;; amdgpu-corpus repo=ROCm/rccl kind=compiled arch=gfx1030 opt=O3
	.amdgcn_target "amdgcn-amd-amdhsa--gfx1030"
	.amdhsa_code_object_version 6
	.text
	.p2align	2                               ; -- Begin function __ockl_fprintf_append_string_n
	.type	__ockl_fprintf_append_string_n,@function
__ockl_fprintf_append_string_n:         ; @__ockl_fprintf_append_string_n
; %bb.0:
	s_waitcnt vmcnt(0) expcnt(0) lgkmcnt(0)
	v_or_b32_e32 v2, 2, v0
	v_cmp_eq_u32_e32 vcc_lo, 0, v6
	v_mbcnt_lo_u32_b32 v35, -1, 0
	s_getpc_b64 s[4:5]
	s_add_u32 s4, s4, .str.3@rel32@lo+4
	s_addc_u32 s5, s5, .str.3@rel32@hi+12
	s_mov_b32 s14, 0
	s_cmp_lg_u64 s[4:5], 0
	v_cndmask_b32_e32 v34, v2, v0, vcc_lo
	s_cbranch_scc0 .LBB0_113
; %bb.1:
	s_load_dwordx2 s[6:7], s[8:9], 0x50
	v_and_b32_e32 v0, -3, v34
	s_getpc_b64 s[4:5]
	s_add_u32 s4, s4, .str.3@rel32@lo+4
	s_addc_u32 s5, s5, .str.3@rel32@hi+12
	v_mov_b32_e32 v11, v1
	v_mov_b32_e32 v2, s4
	v_and_b32_e32 v36, 2, v34
	v_mov_b32_e32 v7, 0
	v_mov_b32_e32 v3, s5
	;; [unrolled: 1-line block ×5, first 2 shown]
	s_mov_b32 s15, 0
	s_branch .LBB0_3
.LBB0_2:                                ;   in Loop: Header=BB0_3 Depth=1
	s_or_b32 exec_lo, exec_lo, s12
	v_sub_co_u32 v4, vcc_lo, v4, v30
	v_sub_co_ci_u32_e64 v5, null, v5, v31, vcc_lo
	v_add_co_u32 v2, s4, v2, v30
	v_add_co_ci_u32_e64 v3, null, v3, v31, s4
	v_cmp_eq_u64_e32 vcc_lo, 0, v[4:5]
	s_or_b32 s15, vcc_lo, s15
	s_andn2_b32 exec_lo, exec_lo, s15
	s_cbranch_execz .LBB0_85
.LBB0_3:                                ; =>This Loop Header: Depth=1
                                        ;     Child Loop BB0_6 Depth 2
                                        ;     Child Loop BB0_14 Depth 2
	;; [unrolled: 1-line block ×11, first 2 shown]
	v_cmp_gt_u64_e32 vcc_lo, 56, v[4:5]
	s_mov_b32 s5, exec_lo
	v_cndmask_b32_e32 v31, 0, v5, vcc_lo
	v_cndmask_b32_e32 v30, 56, v4, vcc_lo
	v_add_co_u32 v16, vcc_lo, v2, 8
	v_add_co_ci_u32_e64 v17, null, 0, v3, vcc_lo
	v_cmpx_gt_u64_e32 8, v[4:5]
	s_xor_b32 s5, exec_lo, s5
	s_cbranch_execz .LBB0_9
; %bb.4:                                ;   in Loop: Header=BB0_3 Depth=1
	s_waitcnt vmcnt(0)
	v_mov_b32_e32 v12, 0
	v_mov_b32_e32 v13, 0
	s_mov_b32 s12, exec_lo
	v_cmpx_ne_u64_e32 0, v[4:5]
	s_cbranch_execz .LBB0_8
; %bb.5:                                ;   in Loop: Header=BB0_3 Depth=1
	v_lshlrev_b64 v[14:15], 3, v[30:31]
	v_mov_b32_e32 v12, 0
	v_mov_b32_e32 v16, v3
	;; [unrolled: 1-line block ×4, first 2 shown]
	s_mov_b64 s[10:11], 0
	s_mov_b32 s13, 0
	.p2align	6
.LBB0_6:                                ;   Parent Loop BB0_3 Depth=1
                                        ; =>  This Inner Loop Header: Depth=2
	global_load_ubyte v0, v[15:16], off
	v_mov_b32_e32 v18, s14
	v_add_co_u32 v15, vcc_lo, v15, 1
	v_add_co_ci_u32_e64 v16, null, 0, v16, vcc_lo
	s_waitcnt vmcnt(0)
	v_and_b32_e32 v17, 0xffff, v0
	v_lshlrev_b64 v[17:18], s10, v[17:18]
	s_add_u32 s10, s10, 8
	s_addc_u32 s11, s11, 0
	v_cmp_eq_u32_e64 s4, s10, v14
	v_or_b32_e32 v13, v18, v13
	v_or_b32_e32 v12, v17, v12
	s_or_b32 s13, s4, s13
	s_andn2_b32 exec_lo, exec_lo, s13
	s_cbranch_execnz .LBB0_6
; %bb.7:                                ;   in Loop: Header=BB0_3 Depth=1
	s_or_b32 exec_lo, exec_lo, s13
.LBB0_8:                                ;   in Loop: Header=BB0_3 Depth=1
	s_or_b32 exec_lo, exec_lo, s12
	v_mov_b32_e32 v17, v3
	v_mov_b32_e32 v16, v2
.LBB0_9:                                ;   in Loop: Header=BB0_3 Depth=1
	s_or_saveexec_b32 s4, s5
	v_mov_b32_e32 v0, 0
	s_xor_b32 exec_lo, exec_lo, s4
	s_cbranch_execz .LBB0_11
; %bb.10:                               ;   in Loop: Header=BB0_3 Depth=1
	global_load_dwordx2 v[12:13], v[2:3], off
	v_add_nc_u32_e32 v0, -8, v30
.LBB0_11:                               ;   in Loop: Header=BB0_3 Depth=1
	s_or_b32 exec_lo, exec_lo, s4
	v_add_co_u32 v18, s4, v16, 8
	v_add_co_ci_u32_e64 v19, null, 0, v17, s4
                                        ; implicit-def: $vgpr14_vgpr15
	s_mov_b32 s4, exec_lo
	v_cmpx_gt_u32_e32 8, v0
	s_xor_b32 s12, exec_lo, s4
	s_cbranch_execz .LBB0_17
; %bb.12:                               ;   in Loop: Header=BB0_3 Depth=1
	v_mov_b32_e32 v14, 0
	v_mov_b32_e32 v15, 0
	s_mov_b32 s13, exec_lo
	v_cmpx_ne_u32_e32 0, v0
	s_cbranch_execz .LBB0_16
; %bb.13:                               ;   in Loop: Header=BB0_3 Depth=1
	v_mov_b32_e32 v14, 0
	v_mov_b32_e32 v15, 0
	s_mov_b64 s[4:5], 0
	s_mov_b32 s16, 0
	s_mov_b64 s[10:11], 0
	.p2align	6
.LBB0_14:                               ;   Parent Loop BB0_3 Depth=1
                                        ; =>  This Inner Loop Header: Depth=2
	v_add_co_u32 v18, vcc_lo, v16, s10
	v_add_co_ci_u32_e64 v19, null, s11, v17, vcc_lo
	s_add_u32 s10, s10, 1
	s_addc_u32 s11, s11, 0
	v_cmp_eq_u32_e32 vcc_lo, s10, v0
	global_load_ubyte v6, v[18:19], off
	v_mov_b32_e32 v19, s14
	s_waitcnt vmcnt(0)
	v_and_b32_e32 v18, 0xffff, v6
	v_lshlrev_b64 v[18:19], s4, v[18:19]
	s_add_u32 s4, s4, 8
	s_addc_u32 s5, s5, 0
	s_or_b32 s16, vcc_lo, s16
	v_or_b32_e32 v15, v19, v15
	v_or_b32_e32 v14, v18, v14
	s_andn2_b32 exec_lo, exec_lo, s16
	s_cbranch_execnz .LBB0_14
; %bb.15:                               ;   in Loop: Header=BB0_3 Depth=1
	s_or_b32 exec_lo, exec_lo, s16
.LBB0_16:                               ;   in Loop: Header=BB0_3 Depth=1
	s_or_b32 exec_lo, exec_lo, s13
	v_mov_b32_e32 v19, v17
	v_mov_b32_e32 v18, v16
                                        ; implicit-def: $vgpr0
.LBB0_17:                               ;   in Loop: Header=BB0_3 Depth=1
	s_or_saveexec_b32 s4, s12
	v_mov_b32_e32 v6, 0
	s_xor_b32 exec_lo, exec_lo, s4
	s_cbranch_execz .LBB0_19
; %bb.18:                               ;   in Loop: Header=BB0_3 Depth=1
	global_load_dwordx2 v[14:15], v[16:17], off
	v_add_nc_u32_e32 v6, -8, v0
.LBB0_19:                               ;   in Loop: Header=BB0_3 Depth=1
	s_or_b32 exec_lo, exec_lo, s4
	v_add_co_u32 v20, s4, v18, 8
	v_add_co_ci_u32_e64 v21, null, 0, v19, s4
	s_mov_b32 s4, exec_lo
	v_cmpx_gt_u32_e32 8, v6
	s_xor_b32 s12, exec_lo, s4
	s_cbranch_execz .LBB0_25
; %bb.20:                               ;   in Loop: Header=BB0_3 Depth=1
	v_mov_b32_e32 v16, 0
	v_mov_b32_e32 v17, 0
	s_mov_b32 s13, exec_lo
	v_cmpx_ne_u32_e32 0, v6
	s_cbranch_execz .LBB0_24
; %bb.21:                               ;   in Loop: Header=BB0_3 Depth=1
	v_mov_b32_e32 v16, 0
	v_mov_b32_e32 v17, 0
	s_mov_b64 s[4:5], 0
	s_mov_b32 s16, 0
	s_mov_b64 s[10:11], 0
	.p2align	6
.LBB0_22:                               ;   Parent Loop BB0_3 Depth=1
                                        ; =>  This Inner Loop Header: Depth=2
	v_add_co_u32 v20, vcc_lo, v18, s10
	v_add_co_ci_u32_e64 v21, null, s11, v19, vcc_lo
	s_add_u32 s10, s10, 1
	s_addc_u32 s11, s11, 0
	v_cmp_eq_u32_e32 vcc_lo, s10, v6
	global_load_ubyte v0, v[20:21], off
	v_mov_b32_e32 v21, s14
	s_waitcnt vmcnt(0)
	v_and_b32_e32 v20, 0xffff, v0
	v_lshlrev_b64 v[20:21], s4, v[20:21]
	s_add_u32 s4, s4, 8
	s_addc_u32 s5, s5, 0
	s_or_b32 s16, vcc_lo, s16
	v_or_b32_e32 v17, v21, v17
	v_or_b32_e32 v16, v20, v16
	s_andn2_b32 exec_lo, exec_lo, s16
	s_cbranch_execnz .LBB0_22
; %bb.23:                               ;   in Loop: Header=BB0_3 Depth=1
	s_or_b32 exec_lo, exec_lo, s16
.LBB0_24:                               ;   in Loop: Header=BB0_3 Depth=1
	s_or_b32 exec_lo, exec_lo, s13
	v_mov_b32_e32 v21, v19
	v_mov_b32_e32 v20, v18
                                        ; implicit-def: $vgpr6
.LBB0_25:                               ;   in Loop: Header=BB0_3 Depth=1
	s_or_saveexec_b32 s4, s12
	v_mov_b32_e32 v0, 0
	s_xor_b32 exec_lo, exec_lo, s4
	s_cbranch_execz .LBB0_27
; %bb.26:                               ;   in Loop: Header=BB0_3 Depth=1
	global_load_dwordx2 v[16:17], v[18:19], off
	v_add_nc_u32_e32 v0, -8, v6
.LBB0_27:                               ;   in Loop: Header=BB0_3 Depth=1
	s_or_b32 exec_lo, exec_lo, s4
	v_add_co_u32 v22, s4, v20, 8
	v_add_co_ci_u32_e64 v23, null, 0, v21, s4
                                        ; implicit-def: $vgpr18_vgpr19
	s_mov_b32 s4, exec_lo
	v_cmpx_gt_u32_e32 8, v0
	s_xor_b32 s12, exec_lo, s4
	s_cbranch_execz .LBB0_33
; %bb.28:                               ;   in Loop: Header=BB0_3 Depth=1
	v_mov_b32_e32 v18, 0
	v_mov_b32_e32 v19, 0
	s_mov_b32 s13, exec_lo
	v_cmpx_ne_u32_e32 0, v0
	s_cbranch_execz .LBB0_32
; %bb.29:                               ;   in Loop: Header=BB0_3 Depth=1
	v_mov_b32_e32 v18, 0
	v_mov_b32_e32 v19, 0
	s_mov_b64 s[4:5], 0
	s_mov_b32 s16, 0
	s_mov_b64 s[10:11], 0
	.p2align	6
.LBB0_30:                               ;   Parent Loop BB0_3 Depth=1
                                        ; =>  This Inner Loop Header: Depth=2
	v_add_co_u32 v22, vcc_lo, v20, s10
	v_add_co_ci_u32_e64 v23, null, s11, v21, vcc_lo
	s_add_u32 s10, s10, 1
	s_addc_u32 s11, s11, 0
	v_cmp_eq_u32_e32 vcc_lo, s10, v0
	global_load_ubyte v6, v[22:23], off
	v_mov_b32_e32 v23, s14
	s_waitcnt vmcnt(0)
	v_and_b32_e32 v22, 0xffff, v6
	v_lshlrev_b64 v[22:23], s4, v[22:23]
	s_add_u32 s4, s4, 8
	s_addc_u32 s5, s5, 0
	s_or_b32 s16, vcc_lo, s16
	v_or_b32_e32 v19, v23, v19
	v_or_b32_e32 v18, v22, v18
	s_andn2_b32 exec_lo, exec_lo, s16
	s_cbranch_execnz .LBB0_30
; %bb.31:                               ;   in Loop: Header=BB0_3 Depth=1
	s_or_b32 exec_lo, exec_lo, s16
.LBB0_32:                               ;   in Loop: Header=BB0_3 Depth=1
	s_or_b32 exec_lo, exec_lo, s13
	v_mov_b32_e32 v23, v21
	v_mov_b32_e32 v22, v20
                                        ; implicit-def: $vgpr0
.LBB0_33:                               ;   in Loop: Header=BB0_3 Depth=1
	s_or_saveexec_b32 s4, s12
	v_mov_b32_e32 v6, 0
	s_xor_b32 exec_lo, exec_lo, s4
	s_cbranch_execz .LBB0_35
; %bb.34:                               ;   in Loop: Header=BB0_3 Depth=1
	global_load_dwordx2 v[18:19], v[20:21], off
	v_add_nc_u32_e32 v6, -8, v0
.LBB0_35:                               ;   in Loop: Header=BB0_3 Depth=1
	s_or_b32 exec_lo, exec_lo, s4
	v_add_co_u32 v24, s4, v22, 8
	v_add_co_ci_u32_e64 v25, null, 0, v23, s4
	s_mov_b32 s4, exec_lo
	v_cmpx_gt_u32_e32 8, v6
	s_xor_b32 s12, exec_lo, s4
	s_cbranch_execz .LBB0_41
; %bb.36:                               ;   in Loop: Header=BB0_3 Depth=1
	v_mov_b32_e32 v20, 0
	v_mov_b32_e32 v21, 0
	s_mov_b32 s13, exec_lo
	v_cmpx_ne_u32_e32 0, v6
	s_cbranch_execz .LBB0_40
; %bb.37:                               ;   in Loop: Header=BB0_3 Depth=1
	v_mov_b32_e32 v20, 0
	v_mov_b32_e32 v21, 0
	s_mov_b64 s[4:5], 0
	s_mov_b32 s16, 0
	s_mov_b64 s[10:11], 0
	.p2align	6
.LBB0_38:                               ;   Parent Loop BB0_3 Depth=1
                                        ; =>  This Inner Loop Header: Depth=2
	v_add_co_u32 v24, vcc_lo, v22, s10
	v_add_co_ci_u32_e64 v25, null, s11, v23, vcc_lo
	s_add_u32 s10, s10, 1
	s_addc_u32 s11, s11, 0
	v_cmp_eq_u32_e32 vcc_lo, s10, v6
	global_load_ubyte v0, v[24:25], off
	v_mov_b32_e32 v25, s14
	s_waitcnt vmcnt(0)
	v_and_b32_e32 v24, 0xffff, v0
	v_lshlrev_b64 v[24:25], s4, v[24:25]
	s_add_u32 s4, s4, 8
	s_addc_u32 s5, s5, 0
	s_or_b32 s16, vcc_lo, s16
	v_or_b32_e32 v21, v25, v21
	v_or_b32_e32 v20, v24, v20
	s_andn2_b32 exec_lo, exec_lo, s16
	s_cbranch_execnz .LBB0_38
; %bb.39:                               ;   in Loop: Header=BB0_3 Depth=1
	s_or_b32 exec_lo, exec_lo, s16
.LBB0_40:                               ;   in Loop: Header=BB0_3 Depth=1
	s_or_b32 exec_lo, exec_lo, s13
	v_mov_b32_e32 v25, v23
	v_mov_b32_e32 v24, v22
                                        ; implicit-def: $vgpr6
.LBB0_41:                               ;   in Loop: Header=BB0_3 Depth=1
	s_or_saveexec_b32 s4, s12
	v_mov_b32_e32 v0, 0
	s_xor_b32 exec_lo, exec_lo, s4
	s_cbranch_execz .LBB0_43
; %bb.42:                               ;   in Loop: Header=BB0_3 Depth=1
	global_load_dwordx2 v[20:21], v[22:23], off
	v_add_nc_u32_e32 v0, -8, v6
.LBB0_43:                               ;   in Loop: Header=BB0_3 Depth=1
	s_or_b32 exec_lo, exec_lo, s4
	v_add_co_u32 v26, s4, v24, 8
	v_add_co_ci_u32_e64 v27, null, 0, v25, s4
                                        ; implicit-def: $vgpr22_vgpr23
	s_mov_b32 s4, exec_lo
	v_cmpx_gt_u32_e32 8, v0
	s_xor_b32 s12, exec_lo, s4
	s_cbranch_execz .LBB0_49
; %bb.44:                               ;   in Loop: Header=BB0_3 Depth=1
	v_mov_b32_e32 v22, 0
	v_mov_b32_e32 v23, 0
	s_mov_b32 s13, exec_lo
	v_cmpx_ne_u32_e32 0, v0
	s_cbranch_execz .LBB0_48
; %bb.45:                               ;   in Loop: Header=BB0_3 Depth=1
	v_mov_b32_e32 v22, 0
	v_mov_b32_e32 v23, 0
	s_mov_b64 s[4:5], 0
	s_mov_b32 s16, 0
	s_mov_b64 s[10:11], 0
	.p2align	6
.LBB0_46:                               ;   Parent Loop BB0_3 Depth=1
                                        ; =>  This Inner Loop Header: Depth=2
	v_add_co_u32 v26, vcc_lo, v24, s10
	v_add_co_ci_u32_e64 v27, null, s11, v25, vcc_lo
	s_add_u32 s10, s10, 1
	s_addc_u32 s11, s11, 0
	v_cmp_eq_u32_e32 vcc_lo, s10, v0
	global_load_ubyte v6, v[26:27], off
	v_mov_b32_e32 v27, s14
	s_waitcnt vmcnt(0)
	v_and_b32_e32 v26, 0xffff, v6
	v_lshlrev_b64 v[26:27], s4, v[26:27]
	s_add_u32 s4, s4, 8
	s_addc_u32 s5, s5, 0
	s_or_b32 s16, vcc_lo, s16
	v_or_b32_e32 v23, v27, v23
	v_or_b32_e32 v22, v26, v22
	s_andn2_b32 exec_lo, exec_lo, s16
	s_cbranch_execnz .LBB0_46
; %bb.47:                               ;   in Loop: Header=BB0_3 Depth=1
	s_or_b32 exec_lo, exec_lo, s16
.LBB0_48:                               ;   in Loop: Header=BB0_3 Depth=1
	s_or_b32 exec_lo, exec_lo, s13
	v_mov_b32_e32 v27, v25
	v_mov_b32_e32 v26, v24
                                        ; implicit-def: $vgpr0
.LBB0_49:                               ;   in Loop: Header=BB0_3 Depth=1
	s_or_saveexec_b32 s4, s12
	v_mov_b32_e32 v6, 0
	s_xor_b32 exec_lo, exec_lo, s4
	s_cbranch_execz .LBB0_51
; %bb.50:                               ;   in Loop: Header=BB0_3 Depth=1
	global_load_dwordx2 v[22:23], v[24:25], off
	v_add_nc_u32_e32 v6, -8, v0
.LBB0_51:                               ;   in Loop: Header=BB0_3 Depth=1
	s_or_b32 exec_lo, exec_lo, s4
	s_mov_b32 s4, exec_lo
	v_cmpx_gt_u32_e32 8, v6
	s_xor_b32 s10, exec_lo, s4
	s_cbranch_execz .LBB0_57
; %bb.52:                               ;   in Loop: Header=BB0_3 Depth=1
	v_mov_b32_e32 v24, 0
	v_mov_b32_e32 v25, 0
	s_mov_b32 s11, exec_lo
	v_cmpx_ne_u32_e32 0, v6
	s_cbranch_execz .LBB0_56
; %bb.53:                               ;   in Loop: Header=BB0_3 Depth=1
	v_mov_b32_e32 v24, 0
	v_mov_b32_e32 v25, 0
	s_mov_b64 s[4:5], 0
	s_mov_b32 s12, 0
	.p2align	6
.LBB0_54:                               ;   Parent Loop BB0_3 Depth=1
                                        ; =>  This Inner Loop Header: Depth=2
	global_load_ubyte v0, v[26:27], off
	v_mov_b32_e32 v29, s14
	v_add_nc_u32_e32 v6, -1, v6
	v_add_co_u32 v26, vcc_lo, v26, 1
	v_add_co_ci_u32_e64 v27, null, 0, v27, vcc_lo
	v_cmp_eq_u32_e32 vcc_lo, 0, v6
	s_waitcnt vmcnt(0)
	v_and_b32_e32 v28, 0xffff, v0
	v_lshlrev_b64 v[28:29], s4, v[28:29]
	s_add_u32 s4, s4, 8
	s_addc_u32 s5, s5, 0
	s_or_b32 s12, vcc_lo, s12
	v_or_b32_e32 v25, v29, v25
	v_or_b32_e32 v24, v28, v24
	s_andn2_b32 exec_lo, exec_lo, s12
	s_cbranch_execnz .LBB0_54
; %bb.55:                               ;   in Loop: Header=BB0_3 Depth=1
	s_or_b32 exec_lo, exec_lo, s12
.LBB0_56:                               ;   in Loop: Header=BB0_3 Depth=1
	s_or_b32 exec_lo, exec_lo, s11
                                        ; implicit-def: $vgpr26_vgpr27
.LBB0_57:                               ;   in Loop: Header=BB0_3 Depth=1
	s_andn2_saveexec_b32 s4, s10
	s_cbranch_execz .LBB0_59
; %bb.58:                               ;   in Loop: Header=BB0_3 Depth=1
	global_load_dwordx2 v[24:25], v[26:27], off
.LBB0_59:                               ;   in Loop: Header=BB0_3 Depth=1
	s_or_b32 exec_lo, exec_lo, s4
	v_readfirstlane_b32 s4, v35
	v_mov_b32_e32 v32, 0
	v_mov_b32_e32 v33, 0
	v_cmp_eq_u32_e64 s4, s4, v35
	s_and_saveexec_b32 s5, s4
	s_cbranch_execz .LBB0_65
; %bb.60:                               ;   in Loop: Header=BB0_3 Depth=1
	s_waitcnt lgkmcnt(0)
	global_load_dwordx2 v[28:29], v7, s[6:7] offset:24 glc dlc
	s_waitcnt vmcnt(0)
	buffer_gl1_inv
	buffer_gl0_inv
	s_clause 0x1
	global_load_dwordx2 v[26:27], v7, s[6:7] offset:40
	global_load_dwordx2 v[32:33], v7, s[6:7]
	s_mov_b32 s10, exec_lo
	s_waitcnt vmcnt(1)
	v_and_b32_e32 v0, v27, v29
	v_and_b32_e32 v6, v26, v28
	v_mul_lo_u32 v0, v0, 24
	v_mul_hi_u32 v26, v6, 24
	v_mul_lo_u32 v6, v6, 24
	v_add_nc_u32_e32 v0, v26, v0
	s_waitcnt vmcnt(0)
	v_add_co_u32 v26, vcc_lo, v32, v6
	v_add_co_ci_u32_e64 v27, null, v33, v0, vcc_lo
	global_load_dwordx2 v[26:27], v[26:27], off glc dlc
	s_waitcnt vmcnt(0)
	global_atomic_cmpswap_x2 v[32:33], v7, v[26:29], s[6:7] offset:24 glc
	s_waitcnt vmcnt(0)
	buffer_gl1_inv
	buffer_gl0_inv
	v_cmpx_ne_u64_e64 v[32:33], v[28:29]
	s_cbranch_execz .LBB0_64
; %bb.61:                               ;   in Loop: Header=BB0_3 Depth=1
	s_mov_b32 s11, 0
	.p2align	6
.LBB0_62:                               ;   Parent Loop BB0_3 Depth=1
                                        ; =>  This Inner Loop Header: Depth=2
	s_sleep 1
	s_clause 0x1
	global_load_dwordx2 v[26:27], v7, s[6:7] offset:40
	global_load_dwordx2 v[37:38], v7, s[6:7]
	v_mov_b32_e32 v28, v32
	v_mov_b32_e32 v29, v33
	s_waitcnt vmcnt(1)
	v_and_b32_e32 v0, v26, v28
	v_and_b32_e32 v6, v27, v29
	s_waitcnt vmcnt(0)
	v_mad_u64_u32 v[32:33], null, v0, 24, v[37:38]
	v_mov_b32_e32 v0, v33
	v_mad_u64_u32 v[26:27], null, v6, 24, v[0:1]
	v_mov_b32_e32 v33, v26
	global_load_dwordx2 v[26:27], v[32:33], off glc dlc
	s_waitcnt vmcnt(0)
	global_atomic_cmpswap_x2 v[32:33], v7, v[26:29], s[6:7] offset:24 glc
	s_waitcnt vmcnt(0)
	buffer_gl1_inv
	buffer_gl0_inv
	v_cmp_eq_u64_e32 vcc_lo, v[32:33], v[28:29]
	s_or_b32 s11, vcc_lo, s11
	s_andn2_b32 exec_lo, exec_lo, s11
	s_cbranch_execnz .LBB0_62
; %bb.63:                               ;   in Loop: Header=BB0_3 Depth=1
	s_or_b32 exec_lo, exec_lo, s11
.LBB0_64:                               ;   in Loop: Header=BB0_3 Depth=1
	s_or_b32 exec_lo, exec_lo, s10
.LBB0_65:                               ;   in Loop: Header=BB0_3 Depth=1
	s_or_b32 exec_lo, exec_lo, s5
	s_waitcnt lgkmcnt(0)
	s_clause 0x1
	global_load_dwordx2 v[37:38], v7, s[6:7] offset:40
	global_load_dwordx4 v[26:29], v7, s[6:7]
	v_readfirstlane_b32 s11, v33
	v_readfirstlane_b32 s10, v32
	s_mov_b32 s5, exec_lo
	s_waitcnt vmcnt(1)
	v_readfirstlane_b32 s12, v37
	v_readfirstlane_b32 s13, v38
	s_and_b64 s[12:13], s[12:13], s[10:11]
	s_mul_i32 s16, s13, 24
	s_mul_hi_u32 s17, s12, 24
	s_mul_i32 s18, s12, 24
	s_add_i32 s17, s17, s16
	s_waitcnt vmcnt(0)
	v_add_co_u32 v32, vcc_lo, v26, s18
	v_add_co_ci_u32_e64 v33, null, s17, v27, vcc_lo
	s_and_saveexec_b32 s16, s4
	s_cbranch_execz .LBB0_67
; %bb.66:                               ;   in Loop: Header=BB0_3 Depth=1
	v_mov_b32_e32 v6, s5
	global_store_dwordx4 v[32:33], v[6:9], off offset:8
.LBB0_67:                               ;   in Loop: Header=BB0_3 Depth=1
	s_or_b32 exec_lo, exec_lo, s16
	v_cmp_gt_u64_e32 vcc_lo, 57, v[4:5]
	s_lshl_b64 s[12:13], s[12:13], 12
	v_and_b32_e32 v10, 0xffffff1f, v10
	v_lshl_add_u32 v37, v30, 2, 28
	v_cndmask_b32_e32 v6, 0, v36, vcc_lo
	v_add_co_u32 v0, vcc_lo, v28, s12
	v_add_co_ci_u32_e64 v28, null, s13, v29, vcc_lo
	v_or_b32_e32 v6, v10, v6
	v_lshlrev_b32_e32 v29, 6, v35
	v_readfirstlane_b32 s12, v0
	v_readfirstlane_b32 s13, v28
	v_and_or_b32 v10, 0x1e0, v37, v6
	global_store_dwordx4 v29, v[14:17], s[12:13] offset:16
	global_store_dwordx4 v29, v[10:13], s[12:13]
	global_store_dwordx4 v29, v[18:21], s[12:13] offset:32
	global_store_dwordx4 v29, v[22:25], s[12:13] offset:48
	s_and_saveexec_b32 s5, s4
	s_cbranch_execz .LBB0_75
; %bb.68:                               ;   in Loop: Header=BB0_3 Depth=1
	s_clause 0x1
	global_load_dwordx2 v[18:19], v7, s[6:7] offset:32 glc dlc
	global_load_dwordx2 v[10:11], v7, s[6:7] offset:40
	v_mov_b32_e32 v16, s10
	v_mov_b32_e32 v17, s11
	s_waitcnt vmcnt(0)
	v_readfirstlane_b32 s12, v10
	v_readfirstlane_b32 s13, v11
	s_and_b64 s[12:13], s[12:13], s[10:11]
	s_mul_i32 s13, s13, 24
	s_mul_hi_u32 s16, s12, 24
	s_mul_i32 s12, s12, 24
	s_add_i32 s16, s16, s13
	v_add_co_u32 v14, vcc_lo, v26, s12
	v_add_co_ci_u32_e64 v15, null, s16, v27, vcc_lo
	s_mov_b32 s12, exec_lo
	global_store_dwordx2 v[14:15], v[18:19], off
	s_waitcnt_vscnt null, 0x0
	global_atomic_cmpswap_x2 v[12:13], v7, v[16:19], s[6:7] offset:32 glc
	s_waitcnt vmcnt(0)
	v_cmpx_ne_u64_e64 v[12:13], v[18:19]
	s_cbranch_execz .LBB0_71
; %bb.69:                               ;   in Loop: Header=BB0_3 Depth=1
	s_mov_b32 s13, 0
.LBB0_70:                               ;   Parent Loop BB0_3 Depth=1
                                        ; =>  This Inner Loop Header: Depth=2
	v_mov_b32_e32 v10, s10
	v_mov_b32_e32 v11, s11
	s_sleep 1
	global_store_dwordx2 v[14:15], v[12:13], off
	s_waitcnt_vscnt null, 0x0
	global_atomic_cmpswap_x2 v[10:11], v7, v[10:13], s[6:7] offset:32 glc
	s_waitcnt vmcnt(0)
	v_cmp_eq_u64_e32 vcc_lo, v[10:11], v[12:13]
	v_mov_b32_e32 v13, v11
	v_mov_b32_e32 v12, v10
	s_or_b32 s13, vcc_lo, s13
	s_andn2_b32 exec_lo, exec_lo, s13
	s_cbranch_execnz .LBB0_70
.LBB0_71:                               ;   in Loop: Header=BB0_3 Depth=1
	s_or_b32 exec_lo, exec_lo, s12
	global_load_dwordx2 v[10:11], v7, s[6:7] offset:16
	s_mov_b32 s13, exec_lo
	s_mov_b32 s12, exec_lo
	v_mbcnt_lo_u32_b32 v6, s13, 0
	v_cmpx_eq_u32_e32 0, v6
	s_cbranch_execz .LBB0_73
; %bb.72:                               ;   in Loop: Header=BB0_3 Depth=1
	s_bcnt1_i32_b32 s13, s13
	v_mov_b32_e32 v6, s13
	s_waitcnt vmcnt(0)
	global_atomic_add_x2 v[10:11], v[6:7], off offset:8
.LBB0_73:                               ;   in Loop: Header=BB0_3 Depth=1
	s_or_b32 exec_lo, exec_lo, s12
	s_waitcnt vmcnt(0)
	global_load_dwordx2 v[12:13], v[10:11], off offset:16
	s_waitcnt vmcnt(0)
	v_cmp_eq_u64_e32 vcc_lo, 0, v[12:13]
	s_cbranch_vccnz .LBB0_75
; %bb.74:                               ;   in Loop: Header=BB0_3 Depth=1
	global_load_dword v6, v[10:11], off offset:24
	s_waitcnt vmcnt(0)
	v_readfirstlane_b32 s12, v6
	s_waitcnt_vscnt null, 0x0
	global_store_dwordx2 v[12:13], v[6:7], off
	s_and_b32 m0, s12, 0x7fffff
	s_sendmsg sendmsg(MSG_INTERRUPT)
.LBB0_75:                               ;   in Loop: Header=BB0_3 Depth=1
	s_or_b32 exec_lo, exec_lo, s5
	v_add_co_u32 v10, vcc_lo, v0, v29
	v_add_co_ci_u32_e64 v11, null, 0, v28, vcc_lo
	s_branch .LBB0_79
	.p2align	6
.LBB0_76:                               ;   in Loop: Header=BB0_79 Depth=2
	s_or_b32 exec_lo, exec_lo, s5
	v_readfirstlane_b32 s5, v0
	s_cmp_eq_u32 s5, 0
	s_cbranch_scc1 .LBB0_78
; %bb.77:                               ;   in Loop: Header=BB0_79 Depth=2
	s_sleep 1
	s_cbranch_execnz .LBB0_79
	s_branch .LBB0_81
	.p2align	6
.LBB0_78:                               ;   in Loop: Header=BB0_3 Depth=1
	s_branch .LBB0_81
.LBB0_79:                               ;   Parent Loop BB0_3 Depth=1
                                        ; =>  This Inner Loop Header: Depth=2
	v_mov_b32_e32 v0, 1
	s_and_saveexec_b32 s5, s4
	s_cbranch_execz .LBB0_76
; %bb.80:                               ;   in Loop: Header=BB0_79 Depth=2
	global_load_dword v0, v[32:33], off offset:20 glc dlc
	s_waitcnt vmcnt(0)
	buffer_gl1_inv
	buffer_gl0_inv
	v_and_b32_e32 v0, 1, v0
	s_branch .LBB0_76
.LBB0_81:                               ;   in Loop: Header=BB0_3 Depth=1
	global_load_dwordx4 v[10:13], v[10:11], off
	s_and_saveexec_b32 s12, s4
	s_cbranch_execz .LBB0_2
; %bb.82:                               ;   in Loop: Header=BB0_3 Depth=1
	s_clause 0x2
	global_load_dwordx2 v[12:13], v7, s[6:7] offset:40
	global_load_dwordx2 v[20:21], v7, s[6:7] offset:24 glc dlc
	global_load_dwordx2 v[14:15], v7, s[6:7]
	s_waitcnt vmcnt(2)
	v_readfirstlane_b32 s16, v12
	v_readfirstlane_b32 s17, v13
	s_add_u32 s13, s16, 1
	s_addc_u32 s18, s17, 0
	s_add_u32 s4, s13, s10
	s_addc_u32 s5, s18, s11
	s_cmp_eq_u64 s[4:5], 0
	s_cselect_b32 s5, s18, s5
	s_cselect_b32 s4, s13, s4
	v_mov_b32_e32 v19, s5
	s_and_b64 s[10:11], s[4:5], s[16:17]
	v_mov_b32_e32 v18, s4
	s_mul_i32 s11, s11, 24
	s_mul_hi_u32 s13, s10, 24
	s_mul_i32 s10, s10, 24
	s_add_i32 s13, s13, s11
	s_waitcnt vmcnt(0)
	v_add_co_u32 v16, vcc_lo, v14, s10
	v_add_co_ci_u32_e64 v17, null, s13, v15, vcc_lo
	global_store_dwordx2 v[16:17], v[20:21], off
	s_waitcnt_vscnt null, 0x0
	global_atomic_cmpswap_x2 v[14:15], v7, v[18:21], s[6:7] offset:24 glc
	s_waitcnt vmcnt(0)
	v_cmp_ne_u64_e32 vcc_lo, v[14:15], v[20:21]
	s_and_b32 exec_lo, exec_lo, vcc_lo
	s_cbranch_execz .LBB0_2
; %bb.83:                               ;   in Loop: Header=BB0_3 Depth=1
	s_mov_b32 s10, 0
.LBB0_84:                               ;   Parent Loop BB0_3 Depth=1
                                        ; =>  This Inner Loop Header: Depth=2
	v_mov_b32_e32 v12, s4
	v_mov_b32_e32 v13, s5
	s_sleep 1
	global_store_dwordx2 v[16:17], v[14:15], off
	s_waitcnt_vscnt null, 0x0
	global_atomic_cmpswap_x2 v[12:13], v7, v[12:15], s[6:7] offset:24 glc
	s_waitcnt vmcnt(0)
	v_cmp_eq_u64_e32 vcc_lo, v[12:13], v[14:15]
	v_mov_b32_e32 v15, v13
	v_mov_b32_e32 v14, v12
	s_or_b32 s10, vcc_lo, s10
	s_andn2_b32 exec_lo, exec_lo, s10
	s_cbranch_execnz .LBB0_84
	s_branch .LBB0_2
.LBB0_85:
	s_or_b32 exec_lo, exec_lo, s15
	s_branch .LBB0_114
.LBB0_86:
	s_load_dwordx2 s[6:7], s[8:9], 0x50
	v_readfirstlane_b32 s4, v35
	v_mov_b32_e32 v8, 0
	v_mov_b32_e32 v9, 0
	v_cmp_eq_u32_e64 s4, s4, v35
	s_and_saveexec_b32 s5, s4
	s_cbranch_execz .LBB0_92
; %bb.87:
	v_mov_b32_e32 v0, 0
	s_mov_b32 s8, exec_lo
	s_waitcnt lgkmcnt(0)
	global_load_dwordx2 v[4:5], v0, s[6:7] offset:24 glc dlc
	s_waitcnt vmcnt(0)
	buffer_gl1_inv
	buffer_gl0_inv
	s_clause 0x1
	global_load_dwordx2 v[2:3], v0, s[6:7] offset:40
	global_load_dwordx2 v[6:7], v0, s[6:7]
	s_waitcnt vmcnt(1)
	v_and_b32_e32 v3, v3, v5
	v_and_b32_e32 v2, v2, v4
	v_mul_lo_u32 v3, v3, 24
	v_mul_hi_u32 v8, v2, 24
	v_mul_lo_u32 v2, v2, 24
	v_add_nc_u32_e32 v3, v8, v3
	s_waitcnt vmcnt(0)
	v_add_co_u32 v2, vcc_lo, v6, v2
	v_add_co_ci_u32_e64 v3, null, v7, v3, vcc_lo
	global_load_dwordx2 v[2:3], v[2:3], off glc dlc
	s_waitcnt vmcnt(0)
	global_atomic_cmpswap_x2 v[8:9], v0, v[2:5], s[6:7] offset:24 glc
	s_waitcnt vmcnt(0)
	buffer_gl1_inv
	buffer_gl0_inv
	v_cmpx_ne_u64_e64 v[8:9], v[4:5]
	s_cbranch_execz .LBB0_91
; %bb.88:
	s_mov_b32 s9, 0
	.p2align	6
.LBB0_89:                               ; =>This Inner Loop Header: Depth=1
	s_sleep 1
	s_clause 0x1
	global_load_dwordx2 v[2:3], v0, s[6:7] offset:40
	global_load_dwordx2 v[6:7], v0, s[6:7]
	v_mov_b32_e32 v4, v8
	v_mov_b32_e32 v5, v9
	s_waitcnt vmcnt(1)
	v_and_b32_e32 v2, v2, v4
	v_and_b32_e32 v3, v3, v5
	s_waitcnt vmcnt(0)
	v_mad_u64_u32 v[6:7], null, v2, 24, v[6:7]
	v_mov_b32_e32 v2, v7
	v_mad_u64_u32 v[2:3], null, v3, 24, v[2:3]
	v_mov_b32_e32 v7, v2
	global_load_dwordx2 v[2:3], v[6:7], off glc dlc
	s_waitcnt vmcnt(0)
	global_atomic_cmpswap_x2 v[8:9], v0, v[2:5], s[6:7] offset:24 glc
	s_waitcnt vmcnt(0)
	buffer_gl1_inv
	buffer_gl0_inv
	v_cmp_eq_u64_e32 vcc_lo, v[8:9], v[4:5]
	s_or_b32 s9, vcc_lo, s9
	s_andn2_b32 exec_lo, exec_lo, s9
	s_cbranch_execnz .LBB0_89
; %bb.90:
	s_or_b32 exec_lo, exec_lo, s9
.LBB0_91:
	s_or_b32 exec_lo, exec_lo, s8
.LBB0_92:
	s_or_b32 exec_lo, exec_lo, s5
	v_mov_b32_e32 v2, 0
	v_readfirstlane_b32 s9, v9
	v_readfirstlane_b32 s8, v8
	s_mov_b32 s5, exec_lo
	s_waitcnt lgkmcnt(0)
	s_clause 0x1
	global_load_dwordx2 v[10:11], v2, s[6:7] offset:40
	global_load_dwordx4 v[4:7], v2, s[6:7]
	s_waitcnt vmcnt(1)
	v_readfirstlane_b32 s10, v10
	v_readfirstlane_b32 s11, v11
	s_and_b64 s[10:11], s[10:11], s[8:9]
	s_mul_i32 s12, s11, 24
	s_mul_hi_u32 s13, s10, 24
	s_mul_i32 s14, s10, 24
	s_add_i32 s13, s13, s12
	s_waitcnt vmcnt(0)
	v_add_co_u32 v8, vcc_lo, v4, s14
	v_add_co_ci_u32_e64 v9, null, s13, v5, vcc_lo
	s_and_saveexec_b32 s12, s4
	s_cbranch_execz .LBB0_94
; %bb.93:
	v_mov_b32_e32 v10, s5
	v_mov_b32_e32 v11, v2
	v_mov_b32_e32 v12, 2
	v_mov_b32_e32 v13, 1
	global_store_dwordx4 v[8:9], v[10:13], off offset:8
.LBB0_94:
	s_or_b32 exec_lo, exec_lo, s12
	s_lshl_b64 s[10:11], s[10:11], 12
	s_mov_b32 s12, 0
	v_add_co_u32 v6, vcc_lo, v6, s10
	v_add_co_ci_u32_e64 v7, null, s11, v7, vcc_lo
	s_mov_b32 s13, s12
	s_mov_b32 s14, s12
	;; [unrolled: 1-line block ×3, first 2 shown]
	v_and_or_b32 v0, 0xffffff1f, v34, 32
	v_lshlrev_b32_e32 v14, 6, v35
	v_mov_b32_e32 v3, v2
	v_readfirstlane_b32 s10, v6
	v_readfirstlane_b32 s11, v7
	v_mov_b32_e32 v10, s12
	v_mov_b32_e32 v11, s13
	;; [unrolled: 1-line block ×4, first 2 shown]
	global_store_dwordx4 v14, v[0:3], s[10:11]
	global_store_dwordx4 v14, v[10:13], s[10:11] offset:16
	global_store_dwordx4 v14, v[10:13], s[10:11] offset:32
	;; [unrolled: 1-line block ×3, first 2 shown]
	s_and_saveexec_b32 s5, s4
	s_cbranch_execz .LBB0_102
; %bb.95:
	v_mov_b32_e32 v6, 0
	v_mov_b32_e32 v10, s8
	;; [unrolled: 1-line block ×3, first 2 shown]
	s_mov_b32 s10, exec_lo
	s_clause 0x1
	global_load_dwordx2 v[12:13], v6, s[6:7] offset:32 glc dlc
	global_load_dwordx2 v[0:1], v6, s[6:7] offset:40
	s_waitcnt vmcnt(0)
	v_and_b32_e32 v1, s9, v1
	v_and_b32_e32 v0, s8, v0
	v_mul_lo_u32 v1, v1, 24
	v_mul_hi_u32 v2, v0, 24
	v_mul_lo_u32 v0, v0, 24
	v_add_nc_u32_e32 v1, v2, v1
	v_add_co_u32 v4, vcc_lo, v4, v0
	v_add_co_ci_u32_e64 v5, null, v5, v1, vcc_lo
	global_store_dwordx2 v[4:5], v[12:13], off
	s_waitcnt_vscnt null, 0x0
	global_atomic_cmpswap_x2 v[2:3], v6, v[10:13], s[6:7] offset:32 glc
	s_waitcnt vmcnt(0)
	v_cmpx_ne_u64_e64 v[2:3], v[12:13]
	s_cbranch_execz .LBB0_98
; %bb.96:
	s_mov_b32 s11, 0
.LBB0_97:                               ; =>This Inner Loop Header: Depth=1
	v_mov_b32_e32 v0, s8
	v_mov_b32_e32 v1, s9
	s_sleep 1
	global_store_dwordx2 v[4:5], v[2:3], off
	s_waitcnt_vscnt null, 0x0
	global_atomic_cmpswap_x2 v[0:1], v6, v[0:3], s[6:7] offset:32 glc
	s_waitcnt vmcnt(0)
	v_cmp_eq_u64_e32 vcc_lo, v[0:1], v[2:3]
	v_mov_b32_e32 v3, v1
	v_mov_b32_e32 v2, v0
	s_or_b32 s11, vcc_lo, s11
	s_andn2_b32 exec_lo, exec_lo, s11
	s_cbranch_execnz .LBB0_97
.LBB0_98:
	s_or_b32 exec_lo, exec_lo, s10
	v_mov_b32_e32 v3, 0
	s_mov_b32 s11, exec_lo
	s_mov_b32 s10, exec_lo
	v_mbcnt_lo_u32_b32 v2, s11, 0
	global_load_dwordx2 v[0:1], v3, s[6:7] offset:16
	v_cmpx_eq_u32_e32 0, v2
	s_cbranch_execz .LBB0_100
; %bb.99:
	s_bcnt1_i32_b32 s11, s11
	v_mov_b32_e32 v2, s11
	s_waitcnt vmcnt(0)
	global_atomic_add_x2 v[0:1], v[2:3], off offset:8
.LBB0_100:
	s_or_b32 exec_lo, exec_lo, s10
	s_waitcnt vmcnt(0)
	global_load_dwordx2 v[2:3], v[0:1], off offset:16
	s_waitcnt vmcnt(0)
	v_cmp_eq_u64_e32 vcc_lo, 0, v[2:3]
	s_cbranch_vccnz .LBB0_102
; %bb.101:
	global_load_dword v0, v[0:1], off offset:24
	v_mov_b32_e32 v1, 0
	s_waitcnt vmcnt(0)
	v_readfirstlane_b32 s10, v0
	s_waitcnt_vscnt null, 0x0
	global_store_dwordx2 v[2:3], v[0:1], off
	s_and_b32 m0, s10, 0x7fffff
	s_sendmsg sendmsg(MSG_INTERRUPT)
.LBB0_102:
	s_or_b32 exec_lo, exec_lo, s5
	s_branch .LBB0_106
	.p2align	6
.LBB0_103:                              ;   in Loop: Header=BB0_106 Depth=1
	s_or_b32 exec_lo, exec_lo, s5
	v_readfirstlane_b32 s5, v0
	s_cmp_eq_u32 s5, 0
	s_cbranch_scc1 .LBB0_105
; %bb.104:                              ;   in Loop: Header=BB0_106 Depth=1
	s_sleep 1
	s_cbranch_execnz .LBB0_106
	s_branch .LBB0_108
	.p2align	6
.LBB0_105:
	s_branch .LBB0_108
.LBB0_106:                              ; =>This Inner Loop Header: Depth=1
	v_mov_b32_e32 v0, 1
	s_and_saveexec_b32 s5, s4
	s_cbranch_execz .LBB0_103
; %bb.107:                              ;   in Loop: Header=BB0_106 Depth=1
	global_load_dword v0, v[8:9], off offset:20 glc dlc
	s_waitcnt vmcnt(0)
	buffer_gl1_inv
	buffer_gl0_inv
	v_and_b32_e32 v0, 1, v0
	s_branch .LBB0_103
.LBB0_108:
	s_and_saveexec_b32 s10, s4
	s_cbranch_execz .LBB0_112
; %bb.109:
	v_mov_b32_e32 v6, 0
	s_clause 0x2
	global_load_dwordx2 v[0:1], v6, s[6:7] offset:40
	global_load_dwordx2 v[9:10], v6, s[6:7] offset:24 glc dlc
	global_load_dwordx2 v[2:3], v6, s[6:7]
	s_waitcnt vmcnt(2)
	v_readfirstlane_b32 s12, v0
	v_readfirstlane_b32 s13, v1
	s_add_u32 s11, s12, 1
	s_addc_u32 s14, s13, 0
	s_add_u32 s4, s11, s8
	s_addc_u32 s5, s14, s9
	s_cmp_eq_u64 s[4:5], 0
	s_cselect_b32 s5, s14, s5
	s_cselect_b32 s4, s11, s4
	v_mov_b32_e32 v8, s5
	s_and_b64 s[8:9], s[4:5], s[12:13]
	v_mov_b32_e32 v7, s4
	s_mul_i32 s9, s9, 24
	s_mul_hi_u32 s11, s8, 24
	s_mul_i32 s8, s8, 24
	s_add_i32 s11, s11, s9
	s_waitcnt vmcnt(0)
	v_add_co_u32 v4, vcc_lo, v2, s8
	v_add_co_ci_u32_e64 v5, null, s11, v3, vcc_lo
	global_store_dwordx2 v[4:5], v[9:10], off
	s_waitcnt_vscnt null, 0x0
	global_atomic_cmpswap_x2 v[2:3], v6, v[7:10], s[6:7] offset:24 glc
	s_waitcnt vmcnt(0)
	v_cmp_ne_u64_e32 vcc_lo, v[2:3], v[9:10]
	s_and_b32 exec_lo, exec_lo, vcc_lo
	s_cbranch_execz .LBB0_112
; %bb.110:
	s_mov_b32 s8, 0
.LBB0_111:                              ; =>This Inner Loop Header: Depth=1
	v_mov_b32_e32 v0, s4
	v_mov_b32_e32 v1, s5
	s_sleep 1
	global_store_dwordx2 v[4:5], v[2:3], off
	s_waitcnt_vscnt null, 0x0
	global_atomic_cmpswap_x2 v[0:1], v6, v[0:3], s[6:7] offset:24 glc
	s_waitcnt vmcnt(0)
	v_cmp_eq_u64_e32 vcc_lo, v[0:1], v[2:3]
	v_mov_b32_e32 v3, v1
	v_mov_b32_e32 v2, v0
	s_or_b32 s8, vcc_lo, s8
	s_andn2_b32 exec_lo, exec_lo, s8
	s_cbranch_execnz .LBB0_111
.LBB0_112:
	s_or_b32 exec_lo, exec_lo, s10
	s_waitcnt lgkmcnt(0)
	s_setpc_b64 s[30:31]
.LBB0_113:
	s_cbranch_execnz .LBB0_86
.LBB0_114:
	s_waitcnt vmcnt(0) lgkmcnt(0)
	s_setpc_b64 s[30:31]
.Lfunc_end0:
	.size	__ockl_fprintf_append_string_n, .Lfunc_end0-__ockl_fprintf_append_string_n
                                        ; -- End function
	.set .L__ockl_fprintf_append_string_n.num_vgpr, 39
	.set .L__ockl_fprintf_append_string_n.num_agpr, 0
	.set .L__ockl_fprintf_append_string_n.numbered_sgpr, 32
	.set .L__ockl_fprintf_append_string_n.num_named_barrier, 0
	.set .L__ockl_fprintf_append_string_n.private_seg_size, 0
	.set .L__ockl_fprintf_append_string_n.uses_vcc, 1
	.set .L__ockl_fprintf_append_string_n.uses_flat_scratch, 0
	.set .L__ockl_fprintf_append_string_n.has_dyn_sized_stack, 0
	.set .L__ockl_fprintf_append_string_n.has_recursion, 0
	.set .L__ockl_fprintf_append_string_n.has_indirect_call, 0
	.section	.AMDGPU.csdata,"",@progbits
; Function info:
; codeLenInByte = 4528
; TotalNumSgprs: 34
; NumVgprs: 39
; ScratchSize: 0
; MemoryBound: 0
	.text
	.p2align	2                               ; -- Begin function __assert_fail
	.type	__assert_fail,@function
__assert_fail:                          ; @__assert_fail
; %bb.0:
	s_waitcnt vmcnt(0) expcnt(0) lgkmcnt(0)
	s_mov_b32 s24, s33
	s_mov_b32 s33, s32
	s_xor_saveexec_b32 s4, -1
	buffer_store_dword v39, off, s[0:3], s33 offset:48 ; 4-byte Folded Spill
	s_mov_b32 exec_lo, s4
	v_writelane_b32 v39, s30, 0
	s_addk_i32 s32, 0x800
	v_writelane_b32 v39, s31, 1
	v_mov_b32_e32 v4, v0
	v_mov_b32_e32 v0, 0
	s_getpc_b64 s[4:5]
	s_add_u32 s4, s4, __const.__assert_fail.fmt@rel32@lo+35
	s_addc_u32 s5, s5, __const.__assert_fail.fmt@rel32@hi+43
	v_mbcnt_lo_u32_b32 v32, -1, 0
	v_mov_b32_e32 v6, 0
	v_mov_b32_e32 v5, v1
	global_load_dwordx4 v[8:11], v0, s[4:5]
	s_getpc_b64 s[4:5]
	s_add_u32 s4, s4, __const.__assert_fail.fmt@rel32@lo+4
	s_addc_u32 s5, s5, __const.__assert_fail.fmt@rel32@hi+12
	s_getpc_b64 s[6:7]
	s_add_u32 s6, s6, __const.__assert_fail.fmt@rel32@lo+20
	s_addc_u32 s7, s7, __const.__assert_fail.fmt@rel32@hi+28
	s_clause 0x1
	s_load_dwordx4 s[12:15], s[4:5], 0x0
	s_load_dwordx4 s[16:19], s[6:7], 0x0
	s_load_dwordx2 s[6:7], s[8:9], 0x50
	v_readfirstlane_b32 s4, v32
	v_mov_b32_e32 v7, 0
	v_cmp_eq_u32_e64 s4, s4, v32
	s_waitcnt lgkmcnt(0)
	v_mov_b32_e32 v1, s15
	v_mov_b32_e32 v2, s14
	;; [unrolled: 1-line block ×8, first 2 shown]
	buffer_store_dword v1, off, s[0:3], s33 offset:12
	buffer_store_dword v2, off, s[0:3], s33 offset:8
	;; [unrolled: 1-line block ×3, first 2 shown]
	buffer_store_dword v12, off, s[0:3], s33
	buffer_store_dword v13, off, s[0:3], s33 offset:28
	buffer_store_dword v14, off, s[0:3], s33 offset:24
	;; [unrolled: 1-line block ×4, first 2 shown]
	s_waitcnt vmcnt(0)
	buffer_store_dword v11, off, s[0:3], s33 offset:43
	buffer_store_dword v10, off, s[0:3], s33 offset:39
	;; [unrolled: 1-line block ×4, first 2 shown]
	s_and_saveexec_b32 s5, s4
	s_cbranch_execz .LBB1_6
; %bb.1:
	global_load_dwordx2 v[8:9], v0, s[6:7] offset:24 glc dlc
	s_waitcnt vmcnt(0)
	buffer_gl1_inv
	buffer_gl0_inv
	s_clause 0x1
	global_load_dwordx2 v[1:2], v0, s[6:7] offset:40
	global_load_dwordx2 v[6:7], v0, s[6:7]
	s_mov_b32 s10, exec_lo
	s_waitcnt vmcnt(1)
	v_and_b32_e32 v2, v2, v9
	v_and_b32_e32 v1, v1, v8
	v_mul_lo_u32 v2, v2, 24
	v_mul_hi_u32 v3, v1, 24
	v_mul_lo_u32 v1, v1, 24
	v_add_nc_u32_e32 v2, v3, v2
	s_waitcnt vmcnt(0)
	v_add_co_u32 v1, vcc_lo, v6, v1
	v_add_co_ci_u32_e64 v2, null, v7, v2, vcc_lo
	global_load_dwordx2 v[6:7], v[1:2], off glc dlc
	s_waitcnt vmcnt(0)
	global_atomic_cmpswap_x2 v[6:7], v0, v[6:9], s[6:7] offset:24 glc
	s_waitcnt vmcnt(0)
	buffer_gl1_inv
	buffer_gl0_inv
	v_cmpx_ne_u64_e64 v[6:7], v[8:9]
	s_cbranch_execz .LBB1_5
; %bb.2:
	v_mov_b32_e32 v1, 0
	s_mov_b32 s11, 0
	.p2align	6
.LBB1_3:                                ; =>This Inner Loop Header: Depth=1
	s_sleep 1
	s_clause 0x1
	global_load_dwordx2 v[2:3], v1, s[6:7] offset:40
	global_load_dwordx2 v[10:11], v1, s[6:7]
	v_mov_b32_e32 v9, v7
	v_mov_b32_e32 v8, v6
	s_waitcnt vmcnt(1)
	v_and_b32_e32 v2, v2, v8
	v_and_b32_e32 v3, v3, v9
	s_waitcnt vmcnt(0)
	v_mad_u64_u32 v[6:7], null, v2, 24, v[10:11]
	v_mov_b32_e32 v2, v7
	v_mad_u64_u32 v[2:3], null, v3, 24, v[2:3]
	v_mov_b32_e32 v7, v2
	global_load_dwordx2 v[6:7], v[6:7], off glc dlc
	s_waitcnt vmcnt(0)
	global_atomic_cmpswap_x2 v[6:7], v1, v[6:9], s[6:7] offset:24 glc
	s_waitcnt vmcnt(0)
	buffer_gl1_inv
	buffer_gl0_inv
	v_cmp_eq_u64_e32 vcc_lo, v[6:7], v[8:9]
	s_or_b32 s11, vcc_lo, s11
	s_andn2_b32 exec_lo, exec_lo, s11
	s_cbranch_execnz .LBB1_3
; %bb.4:
	s_or_b32 exec_lo, exec_lo, s11
.LBB1_5:
	s_or_b32 exec_lo, exec_lo, s10
.LBB1_6:
	s_or_b32 exec_lo, exec_lo, s5
	s_clause 0x1
	global_load_dwordx2 v[8:9], v0, s[6:7] offset:40
	global_load_dwordx4 v[0:3], v0, s[6:7]
	v_readfirstlane_b32 s11, v7
	v_readfirstlane_b32 s10, v6
	s_mov_b32 s5, exec_lo
	s_waitcnt vmcnt(1)
	v_readfirstlane_b32 s12, v8
	v_readfirstlane_b32 s13, v9
	s_and_b64 s[12:13], s[12:13], s[10:11]
	s_mul_i32 s14, s13, 24
	s_mul_hi_u32 s15, s12, 24
	s_mul_i32 s16, s12, 24
	s_add_i32 s15, s15, s14
	s_waitcnt vmcnt(0)
	v_add_co_u32 v10, vcc_lo, v0, s16
	v_add_co_ci_u32_e64 v11, null, s15, v1, vcc_lo
	s_and_saveexec_b32 s14, s4
	s_cbranch_execz .LBB1_8
; %bb.7:
	v_mov_b32_e32 v6, s5
	v_mov_b32_e32 v7, 0
	;; [unrolled: 1-line block ×4, first 2 shown]
	global_store_dwordx4 v[10:11], v[6:9], off offset:8
.LBB1_8:
	s_or_b32 exec_lo, exec_lo, s14
	s_lshl_b64 s[12:13], s[12:13], 12
	v_lshlrev_b32_e32 v33, 6, v32
	v_add_co_u32 v2, vcc_lo, v2, s12
	v_add_co_ci_u32_e64 v3, null, s13, v3, vcc_lo
	v_mov_b32_e32 v7, 0
	s_mov_b32 s12, 0
	v_add_co_u32 v12, vcc_lo, v2, v33
	s_mov_b32 s15, s12
	s_mov_b32 s13, s12
	;; [unrolled: 1-line block ×3, first 2 shown]
	v_mov_b32_e32 v6, 33
	v_mov_b32_e32 v8, 1
	;; [unrolled: 1-line block ×3, first 2 shown]
	v_readfirstlane_b32 s16, v2
	v_readfirstlane_b32 s17, v3
	v_mov_b32_e32 v17, s15
	v_add_co_ci_u32_e64 v13, null, 0, v3, vcc_lo
	v_mov_b32_e32 v16, s14
	v_mov_b32_e32 v15, s13
	;; [unrolled: 1-line block ×3, first 2 shown]
	global_store_dwordx4 v33, v[6:9], s[16:17]
	global_store_dwordx4 v33, v[14:17], s[16:17] offset:16
	global_store_dwordx4 v33, v[14:17], s[16:17] offset:32
	;; [unrolled: 1-line block ×3, first 2 shown]
	s_and_saveexec_b32 s5, s4
	s_cbranch_execz .LBB1_16
; %bb.9:
	s_clause 0x1
	global_load_dwordx2 v[16:17], v7, s[6:7] offset:32 glc dlc
	global_load_dwordx2 v[2:3], v7, s[6:7] offset:40
	v_mov_b32_e32 v14, s10
	v_mov_b32_e32 v15, s11
	s_mov_b32 s12, exec_lo
	s_waitcnt vmcnt(0)
	v_and_b32_e32 v3, s11, v3
	v_and_b32_e32 v2, s10, v2
	v_mul_lo_u32 v3, v3, 24
	v_mul_hi_u32 v6, v2, 24
	v_mul_lo_u32 v2, v2, 24
	v_add_nc_u32_e32 v3, v6, v3
	v_add_co_u32 v8, vcc_lo, v0, v2
	v_add_co_ci_u32_e64 v9, null, v1, v3, vcc_lo
	global_store_dwordx2 v[8:9], v[16:17], off
	s_waitcnt_vscnt null, 0x0
	global_atomic_cmpswap_x2 v[2:3], v7, v[14:17], s[6:7] offset:32 glc
	s_waitcnt vmcnt(0)
	v_cmpx_ne_u64_e64 v[2:3], v[16:17]
	s_cbranch_execz .LBB1_12
; %bb.10:
	v_mov_b32_e32 v6, 0
	s_mov_b32 s13, 0
.LBB1_11:                               ; =>This Inner Loop Header: Depth=1
	v_mov_b32_e32 v0, s10
	v_mov_b32_e32 v1, s11
	s_sleep 1
	global_store_dwordx2 v[8:9], v[2:3], off
	s_waitcnt_vscnt null, 0x0
	global_atomic_cmpswap_x2 v[0:1], v6, v[0:3], s[6:7] offset:32 glc
	s_waitcnt vmcnt(0)
	v_cmp_eq_u64_e32 vcc_lo, v[0:1], v[2:3]
	v_mov_b32_e32 v3, v1
	v_mov_b32_e32 v2, v0
	s_or_b32 s13, vcc_lo, s13
	s_andn2_b32 exec_lo, exec_lo, s13
	s_cbranch_execnz .LBB1_11
.LBB1_12:
	s_or_b32 exec_lo, exec_lo, s12
	v_mov_b32_e32 v3, 0
	s_mov_b32 s13, exec_lo
	s_mov_b32 s12, exec_lo
	v_mbcnt_lo_u32_b32 v2, s13, 0
	global_load_dwordx2 v[0:1], v3, s[6:7] offset:16
	v_cmpx_eq_u32_e32 0, v2
	s_cbranch_execz .LBB1_14
; %bb.13:
	s_bcnt1_i32_b32 s13, s13
	v_mov_b32_e32 v2, s13
	s_waitcnt vmcnt(0)
	global_atomic_add_x2 v[0:1], v[2:3], off offset:8
.LBB1_14:
	s_or_b32 exec_lo, exec_lo, s12
	s_waitcnt vmcnt(0)
	global_load_dwordx2 v[2:3], v[0:1], off offset:16
	s_waitcnt vmcnt(0)
	v_cmp_eq_u64_e32 vcc_lo, 0, v[2:3]
	s_cbranch_vccnz .LBB1_16
; %bb.15:
	global_load_dword v0, v[0:1], off offset:24
	v_mov_b32_e32 v1, 0
	s_waitcnt vmcnt(0)
	v_readfirstlane_b32 s12, v0
	s_waitcnt_vscnt null, 0x0
	global_store_dwordx2 v[2:3], v[0:1], off
	s_and_b32 m0, s12, 0x7fffff
	s_sendmsg sendmsg(MSG_INTERRUPT)
.LBB1_16:
	s_or_b32 exec_lo, exec_lo, s5
	s_branch .LBB1_20
	.p2align	6
.LBB1_17:                               ;   in Loop: Header=BB1_20 Depth=1
	s_or_b32 exec_lo, exec_lo, s5
	v_readfirstlane_b32 s5, v0
	s_cmp_eq_u32 s5, 0
	s_cbranch_scc1 .LBB1_19
; %bb.18:                               ;   in Loop: Header=BB1_20 Depth=1
	s_sleep 1
	s_cbranch_execnz .LBB1_20
	s_branch .LBB1_22
	.p2align	6
.LBB1_19:
	s_branch .LBB1_22
.LBB1_20:                               ; =>This Inner Loop Header: Depth=1
	v_mov_b32_e32 v0, 1
	s_and_saveexec_b32 s5, s4
	s_cbranch_execz .LBB1_17
; %bb.21:                               ;   in Loop: Header=BB1_20 Depth=1
	global_load_dword v0, v[10:11], off offset:20 glc dlc
	s_waitcnt vmcnt(0)
	buffer_gl1_inv
	buffer_gl0_inv
	v_and_b32_e32 v0, 1, v0
	s_branch .LBB1_17
.LBB1_22:
	global_load_dwordx2 v[6:7], v[12:13], off
	s_and_saveexec_b32 s12, s4
	s_cbranch_execz .LBB1_26
; %bb.23:
	v_mov_b32_e32 v10, 0
	s_clause 0x2
	global_load_dwordx2 v[0:1], v10, s[6:7] offset:40
	global_load_dwordx2 v[13:14], v10, s[6:7] offset:24 glc dlc
	global_load_dwordx2 v[2:3], v10, s[6:7]
	s_waitcnt vmcnt(2)
	v_readfirstlane_b32 s14, v0
	v_readfirstlane_b32 s15, v1
	s_add_u32 s13, s14, 1
	s_addc_u32 s16, s15, 0
	s_add_u32 s4, s13, s10
	s_addc_u32 s5, s16, s11
	s_cmp_eq_u64 s[4:5], 0
	s_cselect_b32 s5, s16, s5
	s_cselect_b32 s4, s13, s4
	v_mov_b32_e32 v12, s5
	s_and_b64 s[10:11], s[4:5], s[14:15]
	v_mov_b32_e32 v11, s4
	s_mul_i32 s11, s11, 24
	s_mul_hi_u32 s13, s10, 24
	s_mul_i32 s10, s10, 24
	s_add_i32 s13, s13, s11
	s_waitcnt vmcnt(0)
	v_add_co_u32 v8, vcc_lo, v2, s10
	v_add_co_ci_u32_e64 v9, null, s13, v3, vcc_lo
	global_store_dwordx2 v[8:9], v[13:14], off
	s_waitcnt_vscnt null, 0x0
	global_atomic_cmpswap_x2 v[2:3], v10, v[11:14], s[6:7] offset:24 glc
	s_waitcnt vmcnt(0)
	v_cmp_ne_u64_e32 vcc_lo, v[2:3], v[13:14]
	s_and_b32 exec_lo, exec_lo, vcc_lo
	s_cbranch_execz .LBB1_26
; %bb.24:
	s_mov_b32 s10, 0
.LBB1_25:                               ; =>This Inner Loop Header: Depth=1
	v_mov_b32_e32 v0, s4
	v_mov_b32_e32 v1, s5
	s_sleep 1
	global_store_dwordx2 v[8:9], v[2:3], off
	s_waitcnt_vscnt null, 0x0
	global_atomic_cmpswap_x2 v[0:1], v10, v[0:3], s[6:7] offset:24 glc
	s_waitcnt vmcnt(0)
	v_cmp_eq_u64_e32 vcc_lo, v[0:1], v[2:3]
	v_mov_b32_e32 v3, v1
	v_mov_b32_e32 v2, v0
	s_or_b32 s10, vcc_lo, s10
	s_andn2_b32 exec_lo, exec_lo, s10
	s_cbranch_execnz .LBB1_25
.LBB1_26:
	s_or_b32 exec_lo, exec_lo, s12
	s_lshr_b32 s5, s33, 5
	s_mov_b32 s4, 0
.LBB1_27:                               ; =>This Inner Loop Header: Depth=1
	v_mov_b32_e32 v0, s5
	s_add_i32 s5, s5, 1
	buffer_load_ubyte v0, v0, s[0:3], 0 offen
	s_waitcnt vmcnt(0)
	v_cmp_eq_u16_e32 vcc_lo, 0, v0
	v_mov_b32_e32 v0, s5
	s_or_b32 s4, vcc_lo, s4
	s_andn2_b32 exec_lo, exec_lo, s4
	s_cbranch_execnz .LBB1_27
; %bb.28:
	s_or_b32 exec_lo, exec_lo, s4
	s_lshr_b32 s4, s33, 5
	s_cmp_lg_u32 s4, -1
	s_cbranch_scc0 .LBB1_113
; %bb.29:
	v_lshrrev_b32_e64 v1, 5, s33
	v_and_b32_e32 v34, 2, v6
	v_mov_b32_e32 v9, 0
	v_lshrrev_b32_e64 v35, 5, s33
	v_mov_b32_e32 v10, 2
	v_subrev_nc_u32_e32 v28, v1, v0
	v_and_b32_e32 v0, -3, v6
	v_mov_b32_e32 v1, v7
	v_mov_b32_e32 v11, 1
	s_mov_b32 s15, 0
	v_ashrrev_i32_e32 v29, 31, v28
	s_mov_b32 s14, 0
	s_branch .LBB1_31
.LBB1_30:                               ;   in Loop: Header=BB1_31 Depth=1
	s_or_b32 exec_lo, exec_lo, s12
	v_sub_co_u32 v28, vcc_lo, v28, v36
	v_sub_co_ci_u32_e64 v29, null, v29, v26, vcc_lo
	v_add_nc_u32_e32 v35, v35, v36
	v_cmp_eq_u64_e32 vcc_lo, 0, v[28:29]
	s_or_b32 s14, vcc_lo, s14
	s_andn2_b32 exec_lo, exec_lo, s14
	s_cbranch_execz .LBB1_114
.LBB1_31:                               ; =>This Loop Header: Depth=1
                                        ;     Child Loop BB1_34 Depth 2
                                        ;     Child Loop BB1_42 Depth 2
	;; [unrolled: 1-line block ×11, first 2 shown]
	v_cmp_gt_u64_e32 vcc_lo, 56, v[28:29]
	v_add_nc_u32_e32 v14, 8, v35
	s_mov_b32 s5, exec_lo
	v_cndmask_b32_e32 v36, 56, v28, vcc_lo
	v_cmpx_gt_u64_e32 8, v[28:29]
	s_xor_b32 s5, exec_lo, s5
	s_cbranch_execz .LBB1_37
; %bb.32:                               ;   in Loop: Header=BB1_31 Depth=1
	v_mov_b32_e32 v2, 0
	v_mov_b32_e32 v3, 0
	s_mov_b32 s12, exec_lo
	v_cmpx_ne_u64_e32 0, v[28:29]
	s_cbranch_execz .LBB1_36
; %bb.33:                               ;   in Loop: Header=BB1_31 Depth=1
	v_mov_b32_e32 v2, 0
	v_mov_b32_e32 v3, 0
	s_mov_b64 s[10:11], 0
	s_mov_b32 s13, 0
	s_mov_b32 s16, 0
	.p2align	6
.LBB1_34:                               ;   Parent Loop BB1_31 Depth=1
                                        ; =>  This Inner Loop Header: Depth=2
	v_add_nc_u32_e32 v8, s16, v35
	v_mov_b32_e32 v13, s15
	s_add_i32 s16, s16, 1
	v_cmp_eq_u32_e64 s4, s16, v36
	buffer_load_ubyte v8, v8, s[0:3], 0 offen
	s_waitcnt vmcnt(0)
	v_and_b32_e32 v12, 0xffff, v8
	v_lshlrev_b64 v[12:13], s10, v[12:13]
	s_add_u32 s10, s10, 8
	s_addc_u32 s11, s11, 0
	s_or_b32 s13, s4, s13
	v_or_b32_e32 v3, v13, v3
	v_or_b32_e32 v2, v12, v2
	s_andn2_b32 exec_lo, exec_lo, s13
	s_cbranch_execnz .LBB1_34
; %bb.35:                               ;   in Loop: Header=BB1_31 Depth=1
	s_or_b32 exec_lo, exec_lo, s13
.LBB1_36:                               ;   in Loop: Header=BB1_31 Depth=1
	s_or_b32 exec_lo, exec_lo, s12
	v_mov_b32_e32 v14, v35
.LBB1_37:                               ;   in Loop: Header=BB1_31 Depth=1
	s_or_saveexec_b32 s4, s5
	v_mov_b32_e32 v15, 0
	s_xor_b32 exec_lo, exec_lo, s4
	s_cbranch_execz .LBB1_39
; %bb.38:                               ;   in Loop: Header=BB1_31 Depth=1
	s_clause 0x1
	buffer_load_dword v2, v35, s[0:3], 0 offen
	buffer_load_dword v3, v35, s[0:3], 0 offen offset:4
	v_add_nc_u32_e32 v15, -8, v36
.LBB1_39:                               ;   in Loop: Header=BB1_31 Depth=1
	s_or_b32 exec_lo, exec_lo, s4
	v_add_nc_u32_e32 v8, 8, v14
	s_mov_b32 s5, exec_lo
                                        ; implicit-def: $vgpr12_vgpr13
	v_cmpx_gt_u32_e32 8, v15
	s_xor_b32 s5, exec_lo, s5
	s_cbranch_execz .LBB1_45
; %bb.40:                               ;   in Loop: Header=BB1_31 Depth=1
	v_mov_b32_e32 v12, 0
	v_mov_b32_e32 v13, 0
	s_mov_b32 s12, exec_lo
	v_cmpx_ne_u32_e32 0, v15
	s_cbranch_execz .LBB1_44
; %bb.41:                               ;   in Loop: Header=BB1_31 Depth=1
	v_mov_b32_e32 v12, 0
	v_mov_b32_e32 v13, 0
	s_mov_b64 s[10:11], 0
	s_mov_b32 s13, 0
	s_mov_b32 s16, 0
	.p2align	6
.LBB1_42:                               ;   Parent Loop BB1_31 Depth=1
                                        ; =>  This Inner Loop Header: Depth=2
	v_add_nc_u32_e32 v8, s16, v14
	v_mov_b32_e32 v17, s15
	s_add_i32 s16, s16, 1
	v_cmp_eq_u32_e64 s4, s16, v15
	buffer_load_ubyte v8, v8, s[0:3], 0 offen
	s_waitcnt vmcnt(0)
	v_and_b32_e32 v16, 0xffff, v8
	v_lshlrev_b64 v[16:17], s10, v[16:17]
	s_add_u32 s10, s10, 8
	s_addc_u32 s11, s11, 0
	s_or_b32 s13, s4, s13
	v_or_b32_e32 v13, v17, v13
	v_or_b32_e32 v12, v16, v12
	s_andn2_b32 exec_lo, exec_lo, s13
	s_cbranch_execnz .LBB1_42
; %bb.43:                               ;   in Loop: Header=BB1_31 Depth=1
	s_or_b32 exec_lo, exec_lo, s13
.LBB1_44:                               ;   in Loop: Header=BB1_31 Depth=1
	s_or_b32 exec_lo, exec_lo, s12
	v_mov_b32_e32 v8, v14
                                        ; implicit-def: $vgpr15
.LBB1_45:                               ;   in Loop: Header=BB1_31 Depth=1
	s_or_saveexec_b32 s4, s5
	v_mov_b32_e32 v16, 0
	s_xor_b32 exec_lo, exec_lo, s4
	s_cbranch_execz .LBB1_47
; %bb.46:                               ;   in Loop: Header=BB1_31 Depth=1
	s_clause 0x1
	buffer_load_dword v12, v14, s[0:3], 0 offen
	buffer_load_dword v13, v14, s[0:3], 0 offen offset:4
	v_add_nc_u32_e32 v16, -8, v15
.LBB1_47:                               ;   in Loop: Header=BB1_31 Depth=1
	s_or_b32 exec_lo, exec_lo, s4
	v_add_nc_u32_e32 v18, 8, v8
	s_mov_b32 s5, exec_lo
	v_cmpx_gt_u32_e32 8, v16
	s_xor_b32 s5, exec_lo, s5
	s_cbranch_execz .LBB1_53
; %bb.48:                               ;   in Loop: Header=BB1_31 Depth=1
	v_mov_b32_e32 v14, 0
	v_mov_b32_e32 v15, 0
	s_mov_b32 s12, exec_lo
	v_cmpx_ne_u32_e32 0, v16
	s_cbranch_execz .LBB1_52
; %bb.49:                               ;   in Loop: Header=BB1_31 Depth=1
	v_mov_b32_e32 v14, 0
	v_mov_b32_e32 v15, 0
	s_mov_b64 s[10:11], 0
	s_mov_b32 s13, 0
	s_mov_b32 s16, 0
	.p2align	6
.LBB1_50:                               ;   Parent Loop BB1_31 Depth=1
                                        ; =>  This Inner Loop Header: Depth=2
	v_add_nc_u32_e32 v17, s16, v8
	v_mov_b32_e32 v18, s15
	s_add_i32 s16, s16, 1
	v_cmp_eq_u32_e64 s4, s16, v16
	buffer_load_ubyte v17, v17, s[0:3], 0 offen
	s_waitcnt vmcnt(0)
	v_and_b32_e32 v17, 0xffff, v17
	v_lshlrev_b64 v[17:18], s10, v[17:18]
	s_add_u32 s10, s10, 8
	s_addc_u32 s11, s11, 0
	s_or_b32 s13, s4, s13
	v_or_b32_e32 v15, v18, v15
	v_or_b32_e32 v14, v17, v14
	s_andn2_b32 exec_lo, exec_lo, s13
	s_cbranch_execnz .LBB1_50
; %bb.51:                               ;   in Loop: Header=BB1_31 Depth=1
	s_or_b32 exec_lo, exec_lo, s13
.LBB1_52:                               ;   in Loop: Header=BB1_31 Depth=1
	s_or_b32 exec_lo, exec_lo, s12
	v_mov_b32_e32 v18, v8
                                        ; implicit-def: $vgpr16
.LBB1_53:                               ;   in Loop: Header=BB1_31 Depth=1
	s_or_saveexec_b32 s4, s5
	v_mov_b32_e32 v19, 0
	s_xor_b32 exec_lo, exec_lo, s4
	s_cbranch_execz .LBB1_55
; %bb.54:                               ;   in Loop: Header=BB1_31 Depth=1
	s_clause 0x1
	buffer_load_dword v14, v8, s[0:3], 0 offen
	buffer_load_dword v15, v8, s[0:3], 0 offen offset:4
	v_add_nc_u32_e32 v19, -8, v16
.LBB1_55:                               ;   in Loop: Header=BB1_31 Depth=1
	s_or_b32 exec_lo, exec_lo, s4
	v_add_nc_u32_e32 v8, 8, v18
	s_mov_b32 s5, exec_lo
                                        ; implicit-def: $vgpr16_vgpr17
	v_cmpx_gt_u32_e32 8, v19
	s_xor_b32 s5, exec_lo, s5
	s_cbranch_execz .LBB1_61
; %bb.56:                               ;   in Loop: Header=BB1_31 Depth=1
	v_mov_b32_e32 v16, 0
	v_mov_b32_e32 v17, 0
	s_mov_b32 s12, exec_lo
	v_cmpx_ne_u32_e32 0, v19
	s_cbranch_execz .LBB1_60
; %bb.57:                               ;   in Loop: Header=BB1_31 Depth=1
	v_mov_b32_e32 v16, 0
	v_mov_b32_e32 v17, 0
	s_mov_b64 s[10:11], 0
	s_mov_b32 s13, 0
	s_mov_b32 s16, 0
	.p2align	6
.LBB1_58:                               ;   Parent Loop BB1_31 Depth=1
                                        ; =>  This Inner Loop Header: Depth=2
	v_add_nc_u32_e32 v8, s16, v18
	v_mov_b32_e32 v21, s15
	s_add_i32 s16, s16, 1
	v_cmp_eq_u32_e64 s4, s16, v19
	buffer_load_ubyte v8, v8, s[0:3], 0 offen
	s_waitcnt vmcnt(0)
	v_and_b32_e32 v20, 0xffff, v8
	v_lshlrev_b64 v[20:21], s10, v[20:21]
	s_add_u32 s10, s10, 8
	s_addc_u32 s11, s11, 0
	s_or_b32 s13, s4, s13
	v_or_b32_e32 v17, v21, v17
	v_or_b32_e32 v16, v20, v16
	s_andn2_b32 exec_lo, exec_lo, s13
	s_cbranch_execnz .LBB1_58
; %bb.59:                               ;   in Loop: Header=BB1_31 Depth=1
	s_or_b32 exec_lo, exec_lo, s13
.LBB1_60:                               ;   in Loop: Header=BB1_31 Depth=1
	s_or_b32 exec_lo, exec_lo, s12
	v_mov_b32_e32 v8, v18
                                        ; implicit-def: $vgpr19
.LBB1_61:                               ;   in Loop: Header=BB1_31 Depth=1
	s_or_saveexec_b32 s4, s5
	v_mov_b32_e32 v20, 0
	s_xor_b32 exec_lo, exec_lo, s4
	s_cbranch_execz .LBB1_63
; %bb.62:                               ;   in Loop: Header=BB1_31 Depth=1
	s_clause 0x1
	buffer_load_dword v16, v18, s[0:3], 0 offen
	buffer_load_dword v17, v18, s[0:3], 0 offen offset:4
	v_add_nc_u32_e32 v20, -8, v19
.LBB1_63:                               ;   in Loop: Header=BB1_31 Depth=1
	s_or_b32 exec_lo, exec_lo, s4
	v_add_nc_u32_e32 v22, 8, v8
	s_mov_b32 s5, exec_lo
	v_cmpx_gt_u32_e32 8, v20
	s_xor_b32 s5, exec_lo, s5
	s_cbranch_execz .LBB1_69
; %bb.64:                               ;   in Loop: Header=BB1_31 Depth=1
	v_mov_b32_e32 v18, 0
	v_mov_b32_e32 v19, 0
	s_mov_b32 s12, exec_lo
	v_cmpx_ne_u32_e32 0, v20
	s_cbranch_execz .LBB1_68
; %bb.65:                               ;   in Loop: Header=BB1_31 Depth=1
	v_mov_b32_e32 v18, 0
	v_mov_b32_e32 v19, 0
	s_mov_b64 s[10:11], 0
	s_mov_b32 s13, 0
	s_mov_b32 s16, 0
	.p2align	6
.LBB1_66:                               ;   Parent Loop BB1_31 Depth=1
                                        ; =>  This Inner Loop Header: Depth=2
	v_add_nc_u32_e32 v21, s16, v8
	v_mov_b32_e32 v22, s15
	s_add_i32 s16, s16, 1
	v_cmp_eq_u32_e64 s4, s16, v20
	buffer_load_ubyte v21, v21, s[0:3], 0 offen
	s_waitcnt vmcnt(0)
	v_and_b32_e32 v21, 0xffff, v21
	v_lshlrev_b64 v[21:22], s10, v[21:22]
	s_add_u32 s10, s10, 8
	s_addc_u32 s11, s11, 0
	s_or_b32 s13, s4, s13
	v_or_b32_e32 v19, v22, v19
	v_or_b32_e32 v18, v21, v18
	s_andn2_b32 exec_lo, exec_lo, s13
	s_cbranch_execnz .LBB1_66
; %bb.67:                               ;   in Loop: Header=BB1_31 Depth=1
	s_or_b32 exec_lo, exec_lo, s13
.LBB1_68:                               ;   in Loop: Header=BB1_31 Depth=1
	s_or_b32 exec_lo, exec_lo, s12
	v_mov_b32_e32 v22, v8
                                        ; implicit-def: $vgpr20
.LBB1_69:                               ;   in Loop: Header=BB1_31 Depth=1
	s_or_saveexec_b32 s4, s5
	v_mov_b32_e32 v23, 0
	s_xor_b32 exec_lo, exec_lo, s4
	s_cbranch_execz .LBB1_71
; %bb.70:                               ;   in Loop: Header=BB1_31 Depth=1
	s_clause 0x1
	buffer_load_dword v18, v8, s[0:3], 0 offen
	buffer_load_dword v19, v8, s[0:3], 0 offen offset:4
	v_add_nc_u32_e32 v23, -8, v20
.LBB1_71:                               ;   in Loop: Header=BB1_31 Depth=1
	s_or_b32 exec_lo, exec_lo, s4
	v_add_nc_u32_e32 v8, 8, v22
	s_mov_b32 s5, exec_lo
                                        ; implicit-def: $vgpr20_vgpr21
	v_cmpx_gt_u32_e32 8, v23
	s_xor_b32 s5, exec_lo, s5
	s_cbranch_execz .LBB1_77
; %bb.72:                               ;   in Loop: Header=BB1_31 Depth=1
	v_mov_b32_e32 v20, 0
	v_mov_b32_e32 v21, 0
	s_mov_b32 s12, exec_lo
	v_cmpx_ne_u32_e32 0, v23
	s_cbranch_execz .LBB1_76
; %bb.73:                               ;   in Loop: Header=BB1_31 Depth=1
	v_mov_b32_e32 v20, 0
	v_mov_b32_e32 v21, 0
	s_mov_b64 s[10:11], 0
	s_mov_b32 s13, 0
	s_mov_b32 s16, 0
	.p2align	6
.LBB1_74:                               ;   Parent Loop BB1_31 Depth=1
                                        ; =>  This Inner Loop Header: Depth=2
	v_add_nc_u32_e32 v8, s16, v22
	v_mov_b32_e32 v25, s15
	s_add_i32 s16, s16, 1
	v_cmp_eq_u32_e64 s4, s16, v23
	buffer_load_ubyte v8, v8, s[0:3], 0 offen
	s_waitcnt vmcnt(0)
	v_and_b32_e32 v24, 0xffff, v8
	v_lshlrev_b64 v[24:25], s10, v[24:25]
	s_add_u32 s10, s10, 8
	s_addc_u32 s11, s11, 0
	s_or_b32 s13, s4, s13
	v_or_b32_e32 v21, v25, v21
	v_or_b32_e32 v20, v24, v20
	s_andn2_b32 exec_lo, exec_lo, s13
	s_cbranch_execnz .LBB1_74
; %bb.75:                               ;   in Loop: Header=BB1_31 Depth=1
	s_or_b32 exec_lo, exec_lo, s13
.LBB1_76:                               ;   in Loop: Header=BB1_31 Depth=1
	s_or_b32 exec_lo, exec_lo, s12
	v_mov_b32_e32 v8, v22
                                        ; implicit-def: $vgpr23
.LBB1_77:                               ;   in Loop: Header=BB1_31 Depth=1
	s_or_saveexec_b32 s4, s5
	v_mov_b32_e32 v24, 0
	s_xor_b32 exec_lo, exec_lo, s4
	s_cbranch_execz .LBB1_79
; %bb.78:                               ;   in Loop: Header=BB1_31 Depth=1
	s_clause 0x1
	buffer_load_dword v20, v22, s[0:3], 0 offen
	buffer_load_dword v21, v22, s[0:3], 0 offen offset:4
	v_add_nc_u32_e32 v24, -8, v23
.LBB1_79:                               ;   in Loop: Header=BB1_31 Depth=1
	s_or_b32 exec_lo, exec_lo, s4
	s_mov_b32 s5, exec_lo
	v_cmpx_gt_u32_e32 8, v24
	s_xor_b32 s5, exec_lo, s5
	s_cbranch_execz .LBB1_85
; %bb.80:                               ;   in Loop: Header=BB1_31 Depth=1
	v_mov_b32_e32 v22, 0
	v_mov_b32_e32 v23, 0
	s_mov_b32 s12, exec_lo
	v_cmpx_ne_u32_e32 0, v24
	s_cbranch_execz .LBB1_84
; %bb.81:                               ;   in Loop: Header=BB1_31 Depth=1
	v_mov_b32_e32 v22, 0
	v_mov_b32_e32 v23, 0
	s_mov_b64 s[10:11], 0
	s_mov_b32 s13, 0
	.p2align	6
.LBB1_82:                               ;   Parent Loop BB1_31 Depth=1
                                        ; =>  This Inner Loop Header: Depth=2
	buffer_load_ubyte v25, v8, s[0:3], 0 offen
	v_mov_b32_e32 v26, s15
	v_add_nc_u32_e32 v24, -1, v24
	v_add_nc_u32_e32 v8, 1, v8
	v_cmp_eq_u32_e64 s4, 0, v24
	s_waitcnt vmcnt(0)
	v_and_b32_e32 v25, 0xffff, v25
	v_lshlrev_b64 v[25:26], s10, v[25:26]
	s_add_u32 s10, s10, 8
	s_addc_u32 s11, s11, 0
	s_or_b32 s13, s4, s13
	v_or_b32_e32 v23, v26, v23
	v_or_b32_e32 v22, v25, v22
	s_andn2_b32 exec_lo, exec_lo, s13
	s_cbranch_execnz .LBB1_82
; %bb.83:                               ;   in Loop: Header=BB1_31 Depth=1
	s_or_b32 exec_lo, exec_lo, s13
.LBB1_84:                               ;   in Loop: Header=BB1_31 Depth=1
	s_or_b32 exec_lo, exec_lo, s12
                                        ; implicit-def: $vgpr8
.LBB1_85:                               ;   in Loop: Header=BB1_31 Depth=1
	s_andn2_saveexec_b32 s4, s5
	s_cbranch_execz .LBB1_87
; %bb.86:                               ;   in Loop: Header=BB1_31 Depth=1
	s_clause 0x1
	buffer_load_dword v22, v8, s[0:3], 0 offen
	buffer_load_dword v23, v8, s[0:3], 0 offen offset:4
.LBB1_87:                               ;   in Loop: Header=BB1_31 Depth=1
	s_or_b32 exec_lo, exec_lo, s4
	v_readfirstlane_b32 s4, v32
	v_mov_b32_e32 v30, 0
	v_mov_b32_e32 v31, 0
	v_cmp_eq_u32_e64 s4, s4, v32
	s_and_saveexec_b32 s10, s4
	s_cbranch_execz .LBB1_93
; %bb.88:                               ;   in Loop: Header=BB1_31 Depth=1
	global_load_dwordx2 v[26:27], v9, s[6:7] offset:24 glc dlc
	s_waitcnt vmcnt(0)
	buffer_gl1_inv
	buffer_gl0_inv
	s_clause 0x1
	global_load_dwordx2 v[24:25], v9, s[6:7] offset:40
	global_load_dwordx2 v[30:31], v9, s[6:7]
	s_mov_b32 s11, exec_lo
	s_waitcnt vmcnt(1)
	v_and_b32_e32 v8, v25, v27
	v_and_b32_e32 v24, v24, v26
	v_mul_lo_u32 v8, v8, 24
	v_mul_hi_u32 v25, v24, 24
	v_mul_lo_u32 v24, v24, 24
	v_add_nc_u32_e32 v8, v25, v8
	s_waitcnt vmcnt(0)
	v_add_co_u32 v24, s5, v30, v24
	v_add_co_ci_u32_e64 v25, null, v31, v8, s5
	global_load_dwordx2 v[24:25], v[24:25], off glc dlc
	s_waitcnt vmcnt(0)
	global_atomic_cmpswap_x2 v[30:31], v9, v[24:27], s[6:7] offset:24 glc
	s_waitcnt vmcnt(0)
	buffer_gl1_inv
	buffer_gl0_inv
	v_cmpx_ne_u64_e64 v[30:31], v[26:27]
	s_cbranch_execz .LBB1_92
; %bb.89:                               ;   in Loop: Header=BB1_31 Depth=1
	s_mov_b32 s12, 0
	.p2align	6
.LBB1_90:                               ;   Parent Loop BB1_31 Depth=1
                                        ; =>  This Inner Loop Header: Depth=2
	s_sleep 1
	s_clause 0x1
	global_load_dwordx2 v[24:25], v9, s[6:7] offset:40
	global_load_dwordx2 v[37:38], v9, s[6:7]
	v_mov_b32_e32 v26, v30
	v_mov_b32_e32 v27, v31
	s_waitcnt vmcnt(1)
	v_and_b32_e32 v8, v24, v26
	v_and_b32_e32 v24, v25, v27
	s_waitcnt vmcnt(0)
	v_mad_u64_u32 v[30:31], null, v8, 24, v[37:38]
	v_mov_b32_e32 v8, v31
	v_mad_u64_u32 v[24:25], null, v24, 24, v[8:9]
	v_mov_b32_e32 v31, v24
	global_load_dwordx2 v[24:25], v[30:31], off glc dlc
	s_waitcnt vmcnt(0)
	global_atomic_cmpswap_x2 v[30:31], v9, v[24:27], s[6:7] offset:24 glc
	s_waitcnt vmcnt(0)
	buffer_gl1_inv
	buffer_gl0_inv
	v_cmp_eq_u64_e64 s5, v[30:31], v[26:27]
	s_or_b32 s12, s5, s12
	s_andn2_b32 exec_lo, exec_lo, s12
	s_cbranch_execnz .LBB1_90
; %bb.91:                               ;   in Loop: Header=BB1_31 Depth=1
	s_or_b32 exec_lo, exec_lo, s12
.LBB1_92:                               ;   in Loop: Header=BB1_31 Depth=1
	s_or_b32 exec_lo, exec_lo, s11
.LBB1_93:                               ;   in Loop: Header=BB1_31 Depth=1
	s_or_b32 exec_lo, exec_lo, s10
	s_clause 0x1
	global_load_dwordx2 v[37:38], v9, s[6:7] offset:40
	global_load_dwordx4 v[24:27], v9, s[6:7]
	v_readfirstlane_b32 s11, v31
	v_readfirstlane_b32 s10, v30
	s_mov_b32 s16, exec_lo
	s_waitcnt vmcnt(1)
	v_readfirstlane_b32 s12, v37
	v_readfirstlane_b32 s13, v38
	s_and_b64 s[12:13], s[12:13], s[10:11]
	s_mul_i32 s5, s13, 24
	s_mul_hi_u32 s17, s12, 24
	s_mul_i32 s18, s12, 24
	s_add_i32 s17, s17, s5
	s_waitcnt vmcnt(0)
	v_add_co_u32 v30, s5, v24, s18
	v_add_co_ci_u32_e64 v31, null, s17, v25, s5
	s_and_saveexec_b32 s5, s4
	s_cbranch_execz .LBB1_95
; %bb.94:                               ;   in Loop: Header=BB1_31 Depth=1
	v_mov_b32_e32 v8, s16
	global_store_dwordx4 v[30:31], v[8:11], off offset:8
.LBB1_95:                               ;   in Loop: Header=BB1_31 Depth=1
	s_or_b32 exec_lo, exec_lo, s5
	v_cmp_gt_u64_e64 s5, 57, v[28:29]
	v_and_b32_e32 v0, 0xffffff1f, v0
	s_lshl_b64 s[12:13], s[12:13], 12
	v_cndmask_b32_e64 v8, 0, v34, s5
	v_add_co_u32 v37, s5, v26, s12
	v_add_co_ci_u32_e64 v27, null, s13, v27, s5
	v_lshl_add_u32 v26, v36, 2, 28
	v_or_b32_e32 v0, v0, v8
	v_readfirstlane_b32 s12, v37
	v_readfirstlane_b32 s13, v27
	v_and_or_b32 v0, 0x1e0, v26, v0
	v_cndmask_b32_e32 v26, 0, v29, vcc_lo
	global_store_dwordx4 v33, v[12:15], s[12:13] offset:16
	global_store_dwordx4 v33, v[0:3], s[12:13]
	global_store_dwordx4 v33, v[16:19], s[12:13] offset:32
	global_store_dwordx4 v33, v[20:23], s[12:13] offset:48
	s_and_saveexec_b32 s5, s4
	s_cbranch_execz .LBB1_103
; %bb.96:                               ;   in Loop: Header=BB1_31 Depth=1
	s_clause 0x1
	global_load_dwordx2 v[16:17], v9, s[6:7] offset:32 glc dlc
	global_load_dwordx2 v[0:1], v9, s[6:7] offset:40
	v_mov_b32_e32 v14, s10
	v_mov_b32_e32 v15, s11
	s_waitcnt vmcnt(0)
	v_readfirstlane_b32 s12, v0
	v_readfirstlane_b32 s13, v1
	s_and_b64 s[12:13], s[12:13], s[10:11]
	s_mul_i32 s13, s13, 24
	s_mul_hi_u32 s16, s12, 24
	s_mul_i32 s12, s12, 24
	s_add_i32 s16, s16, s13
	v_add_co_u32 v12, vcc_lo, v24, s12
	v_add_co_ci_u32_e64 v13, null, s16, v25, vcc_lo
	s_mov_b32 s12, exec_lo
	global_store_dwordx2 v[12:13], v[16:17], off
	s_waitcnt_vscnt null, 0x0
	global_atomic_cmpswap_x2 v[2:3], v9, v[14:17], s[6:7] offset:32 glc
	s_waitcnt vmcnt(0)
	v_cmpx_ne_u64_e64 v[2:3], v[16:17]
	s_cbranch_execz .LBB1_99
; %bb.97:                               ;   in Loop: Header=BB1_31 Depth=1
	s_mov_b32 s13, 0
.LBB1_98:                               ;   Parent Loop BB1_31 Depth=1
                                        ; =>  This Inner Loop Header: Depth=2
	v_mov_b32_e32 v0, s10
	v_mov_b32_e32 v1, s11
	s_sleep 1
	global_store_dwordx2 v[12:13], v[2:3], off
	s_waitcnt_vscnt null, 0x0
	global_atomic_cmpswap_x2 v[0:1], v9, v[0:3], s[6:7] offset:32 glc
	s_waitcnt vmcnt(0)
	v_cmp_eq_u64_e32 vcc_lo, v[0:1], v[2:3]
	v_mov_b32_e32 v3, v1
	v_mov_b32_e32 v2, v0
	s_or_b32 s13, vcc_lo, s13
	s_andn2_b32 exec_lo, exec_lo, s13
	s_cbranch_execnz .LBB1_98
.LBB1_99:                               ;   in Loop: Header=BB1_31 Depth=1
	s_or_b32 exec_lo, exec_lo, s12
	global_load_dwordx2 v[0:1], v9, s[6:7] offset:16
	s_mov_b32 s13, exec_lo
	s_mov_b32 s12, exec_lo
	v_mbcnt_lo_u32_b32 v2, s13, 0
	v_cmpx_eq_u32_e32 0, v2
	s_cbranch_execz .LBB1_101
; %bb.100:                              ;   in Loop: Header=BB1_31 Depth=1
	s_bcnt1_i32_b32 s13, s13
	v_mov_b32_e32 v8, s13
	s_waitcnt vmcnt(0)
	global_atomic_add_x2 v[0:1], v[8:9], off offset:8
.LBB1_101:                              ;   in Loop: Header=BB1_31 Depth=1
	s_or_b32 exec_lo, exec_lo, s12
	s_waitcnt vmcnt(0)
	global_load_dwordx2 v[2:3], v[0:1], off offset:16
	s_waitcnt vmcnt(0)
	v_cmp_eq_u64_e32 vcc_lo, 0, v[2:3]
	s_cbranch_vccnz .LBB1_103
; %bb.102:                              ;   in Loop: Header=BB1_31 Depth=1
	global_load_dword v8, v[0:1], off offset:24
	s_waitcnt vmcnt(0)
	v_readfirstlane_b32 s12, v8
	s_waitcnt_vscnt null, 0x0
	global_store_dwordx2 v[2:3], v[8:9], off
	s_and_b32 m0, s12, 0x7fffff
	s_sendmsg sendmsg(MSG_INTERRUPT)
.LBB1_103:                              ;   in Loop: Header=BB1_31 Depth=1
	s_or_b32 exec_lo, exec_lo, s5
	v_add_co_u32 v0, vcc_lo, v37, v33
	v_add_co_ci_u32_e64 v1, null, 0, v27, vcc_lo
	s_branch .LBB1_107
	.p2align	6
.LBB1_104:                              ;   in Loop: Header=BB1_107 Depth=2
	s_or_b32 exec_lo, exec_lo, s5
	v_readfirstlane_b32 s5, v2
	s_cmp_eq_u32 s5, 0
	s_cbranch_scc1 .LBB1_106
; %bb.105:                              ;   in Loop: Header=BB1_107 Depth=2
	s_sleep 1
	s_cbranch_execnz .LBB1_107
	s_branch .LBB1_109
	.p2align	6
.LBB1_106:                              ;   in Loop: Header=BB1_31 Depth=1
	s_branch .LBB1_109
.LBB1_107:                              ;   Parent Loop BB1_31 Depth=1
                                        ; =>  This Inner Loop Header: Depth=2
	v_mov_b32_e32 v2, 1
	s_and_saveexec_b32 s5, s4
	s_cbranch_execz .LBB1_104
; %bb.108:                              ;   in Loop: Header=BB1_107 Depth=2
	global_load_dword v2, v[30:31], off offset:20 glc dlc
	s_waitcnt vmcnt(0)
	buffer_gl1_inv
	buffer_gl0_inv
	v_and_b32_e32 v2, 1, v2
	s_branch .LBB1_104
.LBB1_109:                              ;   in Loop: Header=BB1_31 Depth=1
	global_load_dwordx2 v[0:1], v[0:1], off
	s_and_saveexec_b32 s12, s4
	s_cbranch_execz .LBB1_30
; %bb.110:                              ;   in Loop: Header=BB1_31 Depth=1
	s_clause 0x2
	global_load_dwordx2 v[2:3], v9, s[6:7] offset:40
	global_load_dwordx2 v[16:17], v9, s[6:7] offset:24 glc dlc
	global_load_dwordx2 v[12:13], v9, s[6:7]
	s_waitcnt vmcnt(2)
	v_readfirstlane_b32 s16, v2
	v_readfirstlane_b32 s17, v3
	s_add_u32 s13, s16, 1
	s_addc_u32 s18, s17, 0
	s_add_u32 s4, s13, s10
	s_addc_u32 s5, s18, s11
	s_cmp_eq_u64 s[4:5], 0
	s_cselect_b32 s5, s18, s5
	s_cselect_b32 s4, s13, s4
	v_mov_b32_e32 v15, s5
	s_and_b64 s[10:11], s[4:5], s[16:17]
	v_mov_b32_e32 v14, s4
	s_mul_i32 s11, s11, 24
	s_mul_hi_u32 s13, s10, 24
	s_mul_i32 s10, s10, 24
	s_add_i32 s13, s13, s11
	s_waitcnt vmcnt(0)
	v_add_co_u32 v2, vcc_lo, v12, s10
	v_add_co_ci_u32_e64 v3, null, s13, v13, vcc_lo
	global_store_dwordx2 v[2:3], v[16:17], off
	s_waitcnt_vscnt null, 0x0
	global_atomic_cmpswap_x2 v[14:15], v9, v[14:17], s[6:7] offset:24 glc
	s_waitcnt vmcnt(0)
	v_cmp_ne_u64_e32 vcc_lo, v[14:15], v[16:17]
	s_and_b32 exec_lo, exec_lo, vcc_lo
	s_cbranch_execz .LBB1_30
; %bb.111:                              ;   in Loop: Header=BB1_31 Depth=1
	s_mov_b32 s10, 0
.LBB1_112:                              ;   Parent Loop BB1_31 Depth=1
                                        ; =>  This Inner Loop Header: Depth=2
	v_mov_b32_e32 v12, s4
	v_mov_b32_e32 v13, s5
	s_sleep 1
	global_store_dwordx2 v[2:3], v[14:15], off
	s_waitcnt_vscnt null, 0x0
	global_atomic_cmpswap_x2 v[12:13], v9, v[12:15], s[6:7] offset:24 glc
	s_waitcnt vmcnt(0)
	v_cmp_eq_u64_e32 vcc_lo, v[12:13], v[14:15]
	v_mov_b32_e32 v15, v13
	v_mov_b32_e32 v14, v12
	s_or_b32 s10, vcc_lo, s10
	s_andn2_b32 exec_lo, exec_lo, s10
	s_cbranch_execnz .LBB1_112
	s_branch .LBB1_30
.LBB1_113:
                                        ; implicit-def: $vgpr0_vgpr1
	s_cbranch_execnz .LBB1_115
	s_branch .LBB1_142
.LBB1_114:
	s_or_b32 exec_lo, exec_lo, s14
	s_branch .LBB1_142
.LBB1_115:
	v_readfirstlane_b32 s4, v32
	v_mov_b32_e32 v9, 0
	v_mov_b32_e32 v10, 0
	v_cmp_eq_u32_e64 s4, s4, v32
	s_and_saveexec_b32 s5, s4
	s_cbranch_execz .LBB1_121
; %bb.116:
	s_waitcnt vmcnt(0)
	v_mov_b32_e32 v0, 0
	s_mov_b32 s10, exec_lo
	global_load_dwordx2 v[11:12], v0, s[6:7] offset:24 glc dlc
	s_waitcnt vmcnt(0)
	buffer_gl1_inv
	buffer_gl0_inv
	s_clause 0x1
	global_load_dwordx2 v[1:2], v0, s[6:7] offset:40
	global_load_dwordx2 v[8:9], v0, s[6:7]
	s_waitcnt vmcnt(1)
	v_and_b32_e32 v2, v2, v12
	v_and_b32_e32 v1, v1, v11
	v_mul_lo_u32 v2, v2, 24
	v_mul_hi_u32 v3, v1, 24
	v_mul_lo_u32 v1, v1, 24
	v_add_nc_u32_e32 v2, v3, v2
	s_waitcnt vmcnt(0)
	v_add_co_u32 v1, vcc_lo, v8, v1
	v_add_co_ci_u32_e64 v2, null, v9, v2, vcc_lo
	global_load_dwordx2 v[9:10], v[1:2], off glc dlc
	s_waitcnt vmcnt(0)
	global_atomic_cmpswap_x2 v[9:10], v0, v[9:12], s[6:7] offset:24 glc
	s_waitcnt vmcnt(0)
	buffer_gl1_inv
	buffer_gl0_inv
	v_cmpx_ne_u64_e64 v[9:10], v[11:12]
	s_cbranch_execz .LBB1_120
; %bb.117:
	s_mov_b32 s11, 0
	.p2align	6
.LBB1_118:                              ; =>This Inner Loop Header: Depth=1
	s_sleep 1
	s_clause 0x1
	global_load_dwordx2 v[1:2], v0, s[6:7] offset:40
	global_load_dwordx2 v[13:14], v0, s[6:7]
	v_mov_b32_e32 v12, v10
	v_mov_b32_e32 v11, v9
	s_waitcnt vmcnt(1)
	v_and_b32_e32 v1, v1, v11
	v_and_b32_e32 v2, v2, v12
	s_waitcnt vmcnt(0)
	v_mad_u64_u32 v[8:9], null, v1, 24, v[13:14]
	v_mov_b32_e32 v1, v9
	v_mad_u64_u32 v[1:2], null, v2, 24, v[1:2]
	v_mov_b32_e32 v9, v1
	global_load_dwordx2 v[9:10], v[8:9], off glc dlc
	s_waitcnt vmcnt(0)
	global_atomic_cmpswap_x2 v[9:10], v0, v[9:12], s[6:7] offset:24 glc
	s_waitcnt vmcnt(0)
	buffer_gl1_inv
	buffer_gl0_inv
	v_cmp_eq_u64_e32 vcc_lo, v[9:10], v[11:12]
	s_or_b32 s11, vcc_lo, s11
	s_andn2_b32 exec_lo, exec_lo, s11
	s_cbranch_execnz .LBB1_118
; %bb.119:
	s_or_b32 exec_lo, exec_lo, s11
.LBB1_120:
	s_or_b32 exec_lo, exec_lo, s10
.LBB1_121:
	s_or_b32 exec_lo, exec_lo, s5
	v_mov_b32_e32 v8, 0
	v_readfirstlane_b32 s11, v10
	v_readfirstlane_b32 s10, v9
	s_mov_b32 s5, exec_lo
	s_clause 0x1
	global_load_dwordx2 v[11:12], v8, s[6:7] offset:40
	global_load_dwordx4 v[0:3], v8, s[6:7]
	s_waitcnt vmcnt(1)
	v_readfirstlane_b32 s12, v11
	v_readfirstlane_b32 s13, v12
	s_and_b64 s[12:13], s[12:13], s[10:11]
	s_mul_i32 s14, s13, 24
	s_mul_hi_u32 s15, s12, 24
	s_mul_i32 s16, s12, 24
	s_add_i32 s15, s15, s14
	s_waitcnt vmcnt(0)
	v_add_co_u32 v10, vcc_lo, v0, s16
	v_add_co_ci_u32_e64 v11, null, s15, v1, vcc_lo
	s_and_saveexec_b32 s14, s4
	s_cbranch_execz .LBB1_123
; %bb.122:
	v_mov_b32_e32 v12, s5
	v_mov_b32_e32 v13, v8
	;; [unrolled: 1-line block ×4, first 2 shown]
	global_store_dwordx4 v[10:11], v[12:15], off offset:8
.LBB1_123:
	s_or_b32 exec_lo, exec_lo, s14
	s_lshl_b64 s[12:13], s[12:13], 12
	v_and_or_b32 v6, 0xffffff1f, v6, 32
	v_add_co_u32 v2, vcc_lo, v2, s12
	v_add_co_ci_u32_e64 v3, null, s13, v3, vcc_lo
	s_mov_b32 s12, 0
	v_add_co_u32 v12, vcc_lo, v2, v33
	s_mov_b32 s15, s12
	s_mov_b32 s13, s12
	;; [unrolled: 1-line block ×3, first 2 shown]
	v_mov_b32_e32 v9, v8
	v_readfirstlane_b32 s16, v2
	v_readfirstlane_b32 s17, v3
	v_mov_b32_e32 v17, s15
	v_add_co_ci_u32_e64 v13, null, 0, v3, vcc_lo
	v_mov_b32_e32 v16, s14
	v_mov_b32_e32 v15, s13
	;; [unrolled: 1-line block ×3, first 2 shown]
	global_store_dwordx4 v33, v[6:9], s[16:17]
	global_store_dwordx4 v33, v[14:17], s[16:17] offset:16
	global_store_dwordx4 v33, v[14:17], s[16:17] offset:32
	;; [unrolled: 1-line block ×3, first 2 shown]
	s_and_saveexec_b32 s5, s4
	s_cbranch_execz .LBB1_131
; %bb.124:
	v_mov_b32_e32 v8, 0
	v_mov_b32_e32 v14, s10
	;; [unrolled: 1-line block ×3, first 2 shown]
	s_clause 0x1
	global_load_dwordx2 v[16:17], v8, s[6:7] offset:32 glc dlc
	global_load_dwordx2 v[2:3], v8, s[6:7] offset:40
	s_waitcnt vmcnt(0)
	v_readfirstlane_b32 s12, v2
	v_readfirstlane_b32 s13, v3
	s_and_b64 s[12:13], s[12:13], s[10:11]
	s_mul_i32 s13, s13, 24
	s_mul_hi_u32 s14, s12, 24
	s_mul_i32 s12, s12, 24
	s_add_i32 s14, s14, s13
	v_add_co_u32 v6, vcc_lo, v0, s12
	v_add_co_ci_u32_e64 v7, null, s14, v1, vcc_lo
	s_mov_b32 s12, exec_lo
	global_store_dwordx2 v[6:7], v[16:17], off
	s_waitcnt_vscnt null, 0x0
	global_atomic_cmpswap_x2 v[2:3], v8, v[14:17], s[6:7] offset:32 glc
	s_waitcnt vmcnt(0)
	v_cmpx_ne_u64_e64 v[2:3], v[16:17]
	s_cbranch_execz .LBB1_127
; %bb.125:
	s_mov_b32 s13, 0
.LBB1_126:                              ; =>This Inner Loop Header: Depth=1
	v_mov_b32_e32 v0, s10
	v_mov_b32_e32 v1, s11
	s_sleep 1
	global_store_dwordx2 v[6:7], v[2:3], off
	s_waitcnt_vscnt null, 0x0
	global_atomic_cmpswap_x2 v[0:1], v8, v[0:3], s[6:7] offset:32 glc
	s_waitcnt vmcnt(0)
	v_cmp_eq_u64_e32 vcc_lo, v[0:1], v[2:3]
	v_mov_b32_e32 v3, v1
	v_mov_b32_e32 v2, v0
	s_or_b32 s13, vcc_lo, s13
	s_andn2_b32 exec_lo, exec_lo, s13
	s_cbranch_execnz .LBB1_126
.LBB1_127:
	s_or_b32 exec_lo, exec_lo, s12
	v_mov_b32_e32 v3, 0
	s_mov_b32 s13, exec_lo
	s_mov_b32 s12, exec_lo
	v_mbcnt_lo_u32_b32 v2, s13, 0
	global_load_dwordx2 v[0:1], v3, s[6:7] offset:16
	v_cmpx_eq_u32_e32 0, v2
	s_cbranch_execz .LBB1_129
; %bb.128:
	s_bcnt1_i32_b32 s13, s13
	v_mov_b32_e32 v2, s13
	s_waitcnt vmcnt(0)
	global_atomic_add_x2 v[0:1], v[2:3], off offset:8
.LBB1_129:
	s_or_b32 exec_lo, exec_lo, s12
	s_waitcnt vmcnt(0)
	global_load_dwordx2 v[2:3], v[0:1], off offset:16
	s_waitcnt vmcnt(0)
	v_cmp_eq_u64_e32 vcc_lo, 0, v[2:3]
	s_cbranch_vccnz .LBB1_131
; %bb.130:
	global_load_dword v0, v[0:1], off offset:24
	v_mov_b32_e32 v1, 0
	s_waitcnt vmcnt(0)
	v_readfirstlane_b32 s12, v0
	s_waitcnt_vscnt null, 0x0
	global_store_dwordx2 v[2:3], v[0:1], off
	s_and_b32 m0, s12, 0x7fffff
	s_sendmsg sendmsg(MSG_INTERRUPT)
.LBB1_131:
	s_or_b32 exec_lo, exec_lo, s5
	s_branch .LBB1_135
	.p2align	6
.LBB1_132:                              ;   in Loop: Header=BB1_135 Depth=1
	s_or_b32 exec_lo, exec_lo, s5
	v_readfirstlane_b32 s5, v0
	s_cmp_eq_u32 s5, 0
	s_cbranch_scc1 .LBB1_134
; %bb.133:                              ;   in Loop: Header=BB1_135 Depth=1
	s_sleep 1
	s_cbranch_execnz .LBB1_135
	s_branch .LBB1_137
	.p2align	6
.LBB1_134:
	s_branch .LBB1_137
.LBB1_135:                              ; =>This Inner Loop Header: Depth=1
	v_mov_b32_e32 v0, 1
	s_and_saveexec_b32 s5, s4
	s_cbranch_execz .LBB1_132
; %bb.136:                              ;   in Loop: Header=BB1_135 Depth=1
	global_load_dword v0, v[10:11], off offset:20 glc dlc
	s_waitcnt vmcnt(0)
	buffer_gl1_inv
	buffer_gl0_inv
	v_and_b32_e32 v0, 1, v0
	s_branch .LBB1_132
.LBB1_137:
	global_load_dwordx2 v[0:1], v[12:13], off
	s_and_saveexec_b32 s12, s4
	s_cbranch_execz .LBB1_141
; %bb.138:
	v_mov_b32_e32 v10, 0
	s_clause 0x2
	global_load_dwordx2 v[2:3], v10, s[6:7] offset:40
	global_load_dwordx2 v[13:14], v10, s[6:7] offset:24 glc dlc
	global_load_dwordx2 v[6:7], v10, s[6:7]
	s_waitcnt vmcnt(2)
	v_readfirstlane_b32 s14, v2
	v_readfirstlane_b32 s15, v3
	s_add_u32 s13, s14, 1
	s_addc_u32 s16, s15, 0
	s_add_u32 s4, s13, s10
	s_addc_u32 s5, s16, s11
	s_cmp_eq_u64 s[4:5], 0
	s_cselect_b32 s5, s16, s5
	s_cselect_b32 s4, s13, s4
	v_mov_b32_e32 v12, s5
	s_and_b64 s[10:11], s[4:5], s[14:15]
	v_mov_b32_e32 v11, s4
	s_mul_i32 s11, s11, 24
	s_mul_hi_u32 s13, s10, 24
	s_mul_i32 s10, s10, 24
	s_add_i32 s13, s13, s11
	s_waitcnt vmcnt(0)
	v_add_co_u32 v2, vcc_lo, v6, s10
	v_add_co_ci_u32_e64 v3, null, s13, v7, vcc_lo
	global_store_dwordx2 v[2:3], v[13:14], off
	s_waitcnt_vscnt null, 0x0
	global_atomic_cmpswap_x2 v[8:9], v10, v[11:14], s[6:7] offset:24 glc
	s_waitcnt vmcnt(0)
	v_cmp_ne_u64_e32 vcc_lo, v[8:9], v[13:14]
	s_and_b32 exec_lo, exec_lo, vcc_lo
	s_cbranch_execz .LBB1_141
; %bb.139:
	s_mov_b32 s10, 0
.LBB1_140:                              ; =>This Inner Loop Header: Depth=1
	v_mov_b32_e32 v6, s4
	v_mov_b32_e32 v7, s5
	s_sleep 1
	global_store_dwordx2 v[2:3], v[8:9], off
	s_waitcnt_vscnt null, 0x0
	global_atomic_cmpswap_x2 v[6:7], v10, v[6:9], s[6:7] offset:24 glc
	s_waitcnt vmcnt(0)
	v_cmp_eq_u64_e32 vcc_lo, v[6:7], v[8:9]
	v_mov_b32_e32 v9, v7
	v_mov_b32_e32 v8, v6
	s_or_b32 s10, vcc_lo, s10
	s_andn2_b32 exec_lo, exec_lo, s10
	s_cbranch_execnz .LBB1_140
.LBB1_141:
	s_or_b32 exec_lo, exec_lo, s12
.LBB1_142:
	s_getpc_b64 s[10:11]
	s_add_u32 s10, s10, .str.4@rel32@lo+4
	s_addc_u32 s11, s11, .str.4@rel32@hi+12
	s_cmp_lg_u64 s[10:11], 0
	s_cbranch_scc0 .LBB1_220
; %bb.143:
	s_getpc_b64 s[4:5]
	s_add_u32 s4, s4, .str.4@rel32@lo+80
	s_addc_u32 s5, s5, .str.4@rel32@hi+88
	s_waitcnt vmcnt(0)
	v_and_b32_e32 v30, 2, v0
	v_mov_b32_e32 v11, 0
	v_and_b32_e32 v6, -3, v0
	v_mov_b32_e32 v7, v1
	v_mov_b32_e32 v12, 2
	;; [unrolled: 1-line block ×3, first 2 shown]
	s_sub_i32 s12, s4, s10
	s_ashr_i32 s13, s12, 31
	s_branch .LBB1_145
.LBB1_144:                              ;   in Loop: Header=BB1_145 Depth=1
	s_or_b32 exec_lo, exec_lo, s18
	s_sub_u32 s12, s12, s14
	s_subb_u32 s13, s13, s15
	s_add_u32 s10, s10, s14
	s_addc_u32 s11, s11, s15
	s_cmp_lg_u64 s[12:13], 0
	s_cbranch_scc0 .LBB1_221
.LBB1_145:                              ; =>This Loop Header: Depth=1
                                        ;     Child Loop BB1_148 Depth 2
                                        ;     Child Loop BB1_155 Depth 2
                                        ;     Child Loop BB1_162 Depth 2
                                        ;     Child Loop BB1_169 Depth 2
                                        ;     Child Loop BB1_176 Depth 2
                                        ;     Child Loop BB1_183 Depth 2
                                        ;     Child Loop BB1_190 Depth 2
                                        ;     Child Loop BB1_197 Depth 2
                                        ;     Child Loop BB1_205 Depth 2
                                        ;     Child Loop BB1_214 Depth 2
                                        ;     Child Loop BB1_219 Depth 2
	v_cmp_lt_u64_e64 s4, s[12:13], 56
	v_cmp_gt_u64_e64 s16, s[12:13], 7
	s_and_b32 s4, s4, exec_lo
	s_cselect_b32 s15, s13, 0
	s_cselect_b32 s14, s12, 56
	s_add_u32 s4, s10, 8
	s_addc_u32 s5, s11, 0
	s_and_b32 vcc_lo, exec_lo, s16
	s_cbranch_vccnz .LBB1_150
; %bb.146:                              ;   in Loop: Header=BB1_145 Depth=1
	v_mov_b32_e32 v8, 0
	v_mov_b32_e32 v9, 0
	s_cmp_eq_u64 s[12:13], 0
	s_cbranch_scc1 .LBB1_149
; %bb.147:                              ;   in Loop: Header=BB1_145 Depth=1
	s_lshl_b64 s[4:5], s[14:15], 3
	s_mov_b64 s[16:17], 0
	s_mov_b64 s[18:19], s[10:11]
.LBB1_148:                              ;   Parent Loop BB1_145 Depth=1
                                        ; =>  This Inner Loop Header: Depth=2
	global_load_ubyte v2, v11, s[18:19]
	s_waitcnt vmcnt(0)
	v_and_b32_e32 v10, 0xffff, v2
	v_lshlrev_b64 v[2:3], s16, v[10:11]
	s_add_u32 s16, s16, 8
	s_addc_u32 s17, s17, 0
	s_add_u32 s18, s18, 1
	s_addc_u32 s19, s19, 0
	s_cmp_lg_u32 s4, s16
	v_or_b32_e32 v8, v2, v8
	v_or_b32_e32 v9, v3, v9
	s_cbranch_scc1 .LBB1_148
.LBB1_149:                              ;   in Loop: Header=BB1_145 Depth=1
	s_mov_b64 s[4:5], s[10:11]
	s_mov_b32 s20, 0
	s_cbranch_execz .LBB1_151
	s_branch .LBB1_152
.LBB1_150:                              ;   in Loop: Header=BB1_145 Depth=1
	s_mov_b32 s20, 0
.LBB1_151:                              ;   in Loop: Header=BB1_145 Depth=1
	global_load_dwordx2 v[8:9], v11, s[10:11]
	s_add_i32 s20, s14, -8
.LBB1_152:                              ;   in Loop: Header=BB1_145 Depth=1
	s_add_u32 s16, s4, 8
	s_addc_u32 s17, s5, 0
	s_cmp_gt_u32 s20, 7
	s_cbranch_scc1 .LBB1_157
; %bb.153:                              ;   in Loop: Header=BB1_145 Depth=1
	v_mov_b32_e32 v14, 0
	v_mov_b32_e32 v15, 0
	s_cmp_eq_u32 s20, 0
	s_cbranch_scc1 .LBB1_156
; %bb.154:                              ;   in Loop: Header=BB1_145 Depth=1
	s_mov_b64 s[16:17], 0
	s_mov_b64 s[18:19], 0
.LBB1_155:                              ;   Parent Loop BB1_145 Depth=1
                                        ; =>  This Inner Loop Header: Depth=2
	s_add_u32 s22, s4, s18
	s_addc_u32 s23, s5, s19
	s_add_u32 s18, s18, 1
	global_load_ubyte v2, v11, s[22:23]
	s_addc_u32 s19, s19, 0
	s_waitcnt vmcnt(0)
	v_and_b32_e32 v10, 0xffff, v2
	v_lshlrev_b64 v[2:3], s16, v[10:11]
	s_add_u32 s16, s16, 8
	s_addc_u32 s17, s17, 0
	s_cmp_lg_u32 s20, s18
	v_or_b32_e32 v14, v2, v14
	v_or_b32_e32 v15, v3, v15
	s_cbranch_scc1 .LBB1_155
.LBB1_156:                              ;   in Loop: Header=BB1_145 Depth=1
	s_mov_b64 s[16:17], s[4:5]
	s_mov_b32 s21, 0
	s_cbranch_execz .LBB1_158
	s_branch .LBB1_159
.LBB1_157:                              ;   in Loop: Header=BB1_145 Depth=1
                                        ; implicit-def: $vgpr14_vgpr15
	s_mov_b32 s21, 0
.LBB1_158:                              ;   in Loop: Header=BB1_145 Depth=1
	global_load_dwordx2 v[14:15], v11, s[4:5]
	s_add_i32 s21, s20, -8
.LBB1_159:                              ;   in Loop: Header=BB1_145 Depth=1
	s_add_u32 s4, s16, 8
	s_addc_u32 s5, s17, 0
	s_cmp_gt_u32 s21, 7
	s_cbranch_scc1 .LBB1_164
; %bb.160:                              ;   in Loop: Header=BB1_145 Depth=1
	v_mov_b32_e32 v16, 0
	v_mov_b32_e32 v17, 0
	s_cmp_eq_u32 s21, 0
	s_cbranch_scc1 .LBB1_163
; %bb.161:                              ;   in Loop: Header=BB1_145 Depth=1
	s_mov_b64 s[4:5], 0
	s_mov_b64 s[18:19], 0
.LBB1_162:                              ;   Parent Loop BB1_145 Depth=1
                                        ; =>  This Inner Loop Header: Depth=2
	s_add_u32 s22, s16, s18
	s_addc_u32 s23, s17, s19
	s_add_u32 s18, s18, 1
	global_load_ubyte v2, v11, s[22:23]
	s_addc_u32 s19, s19, 0
	s_waitcnt vmcnt(0)
	v_and_b32_e32 v10, 0xffff, v2
	v_lshlrev_b64 v[2:3], s4, v[10:11]
	s_add_u32 s4, s4, 8
	s_addc_u32 s5, s5, 0
	s_cmp_lg_u32 s21, s18
	v_or_b32_e32 v16, v2, v16
	v_or_b32_e32 v17, v3, v17
	s_cbranch_scc1 .LBB1_162
.LBB1_163:                              ;   in Loop: Header=BB1_145 Depth=1
	s_mov_b64 s[4:5], s[16:17]
	s_mov_b32 s20, 0
	s_cbranch_execz .LBB1_165
	s_branch .LBB1_166
.LBB1_164:                              ;   in Loop: Header=BB1_145 Depth=1
	s_mov_b32 s20, 0
.LBB1_165:                              ;   in Loop: Header=BB1_145 Depth=1
	global_load_dwordx2 v[16:17], v11, s[16:17]
	s_add_i32 s20, s21, -8
.LBB1_166:                              ;   in Loop: Header=BB1_145 Depth=1
	s_add_u32 s16, s4, 8
	s_addc_u32 s17, s5, 0
	s_cmp_gt_u32 s20, 7
	s_cbranch_scc1 .LBB1_171
; %bb.167:                              ;   in Loop: Header=BB1_145 Depth=1
	v_mov_b32_e32 v18, 0
	v_mov_b32_e32 v19, 0
	s_cmp_eq_u32 s20, 0
	s_cbranch_scc1 .LBB1_170
; %bb.168:                              ;   in Loop: Header=BB1_145 Depth=1
	s_mov_b64 s[16:17], 0
	s_mov_b64 s[18:19], 0
.LBB1_169:                              ;   Parent Loop BB1_145 Depth=1
                                        ; =>  This Inner Loop Header: Depth=2
	s_add_u32 s22, s4, s18
	s_addc_u32 s23, s5, s19
	s_add_u32 s18, s18, 1
	global_load_ubyte v2, v11, s[22:23]
	s_addc_u32 s19, s19, 0
	s_waitcnt vmcnt(0)
	v_and_b32_e32 v10, 0xffff, v2
	v_lshlrev_b64 v[2:3], s16, v[10:11]
	s_add_u32 s16, s16, 8
	s_addc_u32 s17, s17, 0
	s_cmp_lg_u32 s20, s18
	v_or_b32_e32 v18, v2, v18
	v_or_b32_e32 v19, v3, v19
	s_cbranch_scc1 .LBB1_169
.LBB1_170:                              ;   in Loop: Header=BB1_145 Depth=1
	s_mov_b64 s[16:17], s[4:5]
	s_mov_b32 s21, 0
	s_cbranch_execz .LBB1_172
	s_branch .LBB1_173
.LBB1_171:                              ;   in Loop: Header=BB1_145 Depth=1
                                        ; implicit-def: $vgpr18_vgpr19
	s_mov_b32 s21, 0
.LBB1_172:                              ;   in Loop: Header=BB1_145 Depth=1
	global_load_dwordx2 v[18:19], v11, s[4:5]
	s_add_i32 s21, s20, -8
.LBB1_173:                              ;   in Loop: Header=BB1_145 Depth=1
	s_add_u32 s4, s16, 8
	s_addc_u32 s5, s17, 0
	s_cmp_gt_u32 s21, 7
	s_cbranch_scc1 .LBB1_178
; %bb.174:                              ;   in Loop: Header=BB1_145 Depth=1
	v_mov_b32_e32 v20, 0
	v_mov_b32_e32 v21, 0
	s_cmp_eq_u32 s21, 0
	s_cbranch_scc1 .LBB1_177
; %bb.175:                              ;   in Loop: Header=BB1_145 Depth=1
	s_mov_b64 s[4:5], 0
	s_mov_b64 s[18:19], 0
.LBB1_176:                              ;   Parent Loop BB1_145 Depth=1
                                        ; =>  This Inner Loop Header: Depth=2
	s_add_u32 s22, s16, s18
	s_addc_u32 s23, s17, s19
	s_add_u32 s18, s18, 1
	global_load_ubyte v2, v11, s[22:23]
	s_addc_u32 s19, s19, 0
	s_waitcnt vmcnt(0)
	v_and_b32_e32 v10, 0xffff, v2
	v_lshlrev_b64 v[2:3], s4, v[10:11]
	s_add_u32 s4, s4, 8
	s_addc_u32 s5, s5, 0
	s_cmp_lg_u32 s21, s18
	v_or_b32_e32 v20, v2, v20
	v_or_b32_e32 v21, v3, v21
	s_cbranch_scc1 .LBB1_176
.LBB1_177:                              ;   in Loop: Header=BB1_145 Depth=1
	s_mov_b64 s[4:5], s[16:17]
	s_mov_b32 s20, 0
	s_cbranch_execz .LBB1_179
	s_branch .LBB1_180
.LBB1_178:                              ;   in Loop: Header=BB1_145 Depth=1
	s_mov_b32 s20, 0
.LBB1_179:                              ;   in Loop: Header=BB1_145 Depth=1
	global_load_dwordx2 v[20:21], v11, s[16:17]
	s_add_i32 s20, s21, -8
.LBB1_180:                              ;   in Loop: Header=BB1_145 Depth=1
	s_add_u32 s16, s4, 8
	s_addc_u32 s17, s5, 0
	s_cmp_gt_u32 s20, 7
	s_cbranch_scc1 .LBB1_185
; %bb.181:                              ;   in Loop: Header=BB1_145 Depth=1
	v_mov_b32_e32 v22, 0
	v_mov_b32_e32 v23, 0
	s_cmp_eq_u32 s20, 0
	s_cbranch_scc1 .LBB1_184
; %bb.182:                              ;   in Loop: Header=BB1_145 Depth=1
	s_mov_b64 s[16:17], 0
	s_mov_b64 s[18:19], 0
.LBB1_183:                              ;   Parent Loop BB1_145 Depth=1
                                        ; =>  This Inner Loop Header: Depth=2
	s_add_u32 s22, s4, s18
	s_addc_u32 s23, s5, s19
	s_add_u32 s18, s18, 1
	global_load_ubyte v2, v11, s[22:23]
	s_addc_u32 s19, s19, 0
	s_waitcnt vmcnt(0)
	v_and_b32_e32 v10, 0xffff, v2
	v_lshlrev_b64 v[2:3], s16, v[10:11]
	s_add_u32 s16, s16, 8
	s_addc_u32 s17, s17, 0
	s_cmp_lg_u32 s20, s18
	v_or_b32_e32 v22, v2, v22
	v_or_b32_e32 v23, v3, v23
	s_cbranch_scc1 .LBB1_183
.LBB1_184:                              ;   in Loop: Header=BB1_145 Depth=1
	s_mov_b64 s[16:17], s[4:5]
	s_mov_b32 s21, 0
	s_cbranch_execz .LBB1_186
	s_branch .LBB1_187
.LBB1_185:                              ;   in Loop: Header=BB1_145 Depth=1
                                        ; implicit-def: $vgpr22_vgpr23
	s_mov_b32 s21, 0
.LBB1_186:                              ;   in Loop: Header=BB1_145 Depth=1
	global_load_dwordx2 v[22:23], v11, s[4:5]
	s_add_i32 s21, s20, -8
.LBB1_187:                              ;   in Loop: Header=BB1_145 Depth=1
	s_cmp_gt_u32 s21, 7
	s_cbranch_scc1 .LBB1_192
; %bb.188:                              ;   in Loop: Header=BB1_145 Depth=1
	v_mov_b32_e32 v24, 0
	v_mov_b32_e32 v25, 0
	s_cmp_eq_u32 s21, 0
	s_cbranch_scc1 .LBB1_191
; %bb.189:                              ;   in Loop: Header=BB1_145 Depth=1
	s_mov_b64 s[4:5], 0
	s_mov_b64 s[18:19], s[16:17]
.LBB1_190:                              ;   Parent Loop BB1_145 Depth=1
                                        ; =>  This Inner Loop Header: Depth=2
	global_load_ubyte v2, v11, s[18:19]
	s_add_i32 s21, s21, -1
	s_waitcnt vmcnt(0)
	v_and_b32_e32 v10, 0xffff, v2
	v_lshlrev_b64 v[2:3], s4, v[10:11]
	s_add_u32 s4, s4, 8
	s_addc_u32 s5, s5, 0
	s_add_u32 s18, s18, 1
	s_addc_u32 s19, s19, 0
	s_cmp_lg_u32 s21, 0
	v_or_b32_e32 v24, v2, v24
	v_or_b32_e32 v25, v3, v25
	s_cbranch_scc1 .LBB1_190
.LBB1_191:                              ;   in Loop: Header=BB1_145 Depth=1
	s_cbranch_execz .LBB1_193
	s_branch .LBB1_194
.LBB1_192:                              ;   in Loop: Header=BB1_145 Depth=1
.LBB1_193:                              ;   in Loop: Header=BB1_145 Depth=1
	global_load_dwordx2 v[24:25], v11, s[16:17]
.LBB1_194:                              ;   in Loop: Header=BB1_145 Depth=1
	v_readfirstlane_b32 s4, v32
	v_mov_b32_e32 v2, 0
	v_mov_b32_e32 v3, 0
	v_cmp_eq_u32_e64 s4, s4, v32
	s_and_saveexec_b32 s5, s4
	s_cbranch_execz .LBB1_200
; %bb.195:                              ;   in Loop: Header=BB1_145 Depth=1
	global_load_dwordx2 v[28:29], v11, s[6:7] offset:24 glc dlc
	s_waitcnt vmcnt(0)
	buffer_gl1_inv
	buffer_gl0_inv
	s_clause 0x1
	global_load_dwordx2 v[2:3], v11, s[6:7] offset:40
	global_load_dwordx2 v[26:27], v11, s[6:7]
	s_mov_b32 s16, exec_lo
	s_waitcnt vmcnt(1)
	v_and_b32_e32 v3, v3, v29
	v_and_b32_e32 v2, v2, v28
	v_mul_lo_u32 v3, v3, 24
	v_mul_hi_u32 v10, v2, 24
	v_mul_lo_u32 v2, v2, 24
	v_add_nc_u32_e32 v3, v10, v3
	s_waitcnt vmcnt(0)
	v_add_co_u32 v2, vcc_lo, v26, v2
	v_add_co_ci_u32_e64 v3, null, v27, v3, vcc_lo
	global_load_dwordx2 v[26:27], v[2:3], off glc dlc
	s_waitcnt vmcnt(0)
	global_atomic_cmpswap_x2 v[2:3], v11, v[26:29], s[6:7] offset:24 glc
	s_waitcnt vmcnt(0)
	buffer_gl1_inv
	buffer_gl0_inv
	v_cmpx_ne_u64_e64 v[2:3], v[28:29]
	s_cbranch_execz .LBB1_199
; %bb.196:                              ;   in Loop: Header=BB1_145 Depth=1
	s_mov_b32 s17, 0
	.p2align	6
.LBB1_197:                              ;   Parent Loop BB1_145 Depth=1
                                        ; =>  This Inner Loop Header: Depth=2
	s_sleep 1
	s_clause 0x1
	global_load_dwordx2 v[26:27], v11, s[6:7] offset:40
	global_load_dwordx2 v[34:35], v11, s[6:7]
	v_mov_b32_e32 v29, v3
	v_mov_b32_e32 v28, v2
	s_waitcnt vmcnt(1)
	v_and_b32_e32 v2, v26, v28
	v_and_b32_e32 v10, v27, v29
	s_waitcnt vmcnt(0)
	v_mad_u64_u32 v[2:3], null, v2, 24, v[34:35]
	v_mad_u64_u32 v[26:27], null, v10, 24, v[3:4]
	v_mov_b32_e32 v3, v26
	global_load_dwordx2 v[26:27], v[2:3], off glc dlc
	s_waitcnt vmcnt(0)
	global_atomic_cmpswap_x2 v[2:3], v11, v[26:29], s[6:7] offset:24 glc
	s_waitcnt vmcnt(0)
	buffer_gl1_inv
	buffer_gl0_inv
	v_cmp_eq_u64_e32 vcc_lo, v[2:3], v[28:29]
	s_or_b32 s17, vcc_lo, s17
	s_andn2_b32 exec_lo, exec_lo, s17
	s_cbranch_execnz .LBB1_197
; %bb.198:                              ;   in Loop: Header=BB1_145 Depth=1
	s_or_b32 exec_lo, exec_lo, s17
.LBB1_199:                              ;   in Loop: Header=BB1_145 Depth=1
	s_or_b32 exec_lo, exec_lo, s16
.LBB1_200:                              ;   in Loop: Header=BB1_145 Depth=1
	s_or_b32 exec_lo, exec_lo, s5
	s_clause 0x1
	global_load_dwordx2 v[34:35], v11, s[6:7] offset:40
	global_load_dwordx4 v[26:29], v11, s[6:7]
	v_readfirstlane_b32 s17, v3
	v_readfirstlane_b32 s16, v2
	s_mov_b32 s5, exec_lo
	s_waitcnt vmcnt(1)
	v_readfirstlane_b32 s18, v34
	v_readfirstlane_b32 s19, v35
	s_and_b64 s[18:19], s[18:19], s[16:17]
	s_mul_i32 s20, s19, 24
	s_mul_hi_u32 s21, s18, 24
	s_mul_i32 s22, s18, 24
	s_add_i32 s21, s21, s20
	s_waitcnt vmcnt(0)
	v_add_co_u32 v2, vcc_lo, v26, s22
	v_add_co_ci_u32_e64 v3, null, s21, v27, vcc_lo
	s_and_saveexec_b32 s20, s4
	s_cbranch_execz .LBB1_202
; %bb.201:                              ;   in Loop: Header=BB1_145 Depth=1
	v_mov_b32_e32 v10, s5
	global_store_dwordx4 v[2:3], v[10:13], off offset:8
.LBB1_202:                              ;   in Loop: Header=BB1_145 Depth=1
	s_or_b32 exec_lo, exec_lo, s20
	v_cmp_lt_u64_e64 vcc_lo, s[12:13], 57
	s_lshl_b64 s[18:19], s[18:19], 12
	v_and_b32_e32 v6, 0xffffff1f, v6
	s_lshl_b32 s5, s14, 2
	s_add_i32 s5, s5, 28
	v_cndmask_b32_e32 v10, 0, v30, vcc_lo
	v_add_co_u32 v28, vcc_lo, v28, s18
	v_add_co_ci_u32_e64 v29, null, s19, v29, vcc_lo
	v_or_b32_e32 v6, v6, v10
	v_readfirstlane_b32 s18, v28
	v_readfirstlane_b32 s19, v29
	v_and_or_b32 v6, 0x1e0, s5, v6
	global_store_dwordx4 v33, v[14:17], s[18:19] offset:16
	global_store_dwordx4 v33, v[6:9], s[18:19]
	global_store_dwordx4 v33, v[18:21], s[18:19] offset:32
	global_store_dwordx4 v33, v[22:25], s[18:19] offset:48
	s_and_saveexec_b32 s5, s4
	s_cbranch_execz .LBB1_210
; %bb.203:                              ;   in Loop: Header=BB1_145 Depth=1
	s_clause 0x1
	global_load_dwordx2 v[18:19], v11, s[6:7] offset:32 glc dlc
	global_load_dwordx2 v[6:7], v11, s[6:7] offset:40
	v_mov_b32_e32 v16, s16
	v_mov_b32_e32 v17, s17
	s_waitcnt vmcnt(0)
	v_readfirstlane_b32 s18, v6
	v_readfirstlane_b32 s19, v7
	s_and_b64 s[18:19], s[18:19], s[16:17]
	s_mul_i32 s19, s19, 24
	s_mul_hi_u32 s20, s18, 24
	s_mul_i32 s18, s18, 24
	s_add_i32 s20, s20, s19
	v_add_co_u32 v14, vcc_lo, v26, s18
	v_add_co_ci_u32_e64 v15, null, s20, v27, vcc_lo
	s_mov_b32 s18, exec_lo
	global_store_dwordx2 v[14:15], v[18:19], off
	s_waitcnt_vscnt null, 0x0
	global_atomic_cmpswap_x2 v[8:9], v11, v[16:19], s[6:7] offset:32 glc
	s_waitcnt vmcnt(0)
	v_cmpx_ne_u64_e64 v[8:9], v[18:19]
	s_cbranch_execz .LBB1_206
; %bb.204:                              ;   in Loop: Header=BB1_145 Depth=1
	s_mov_b32 s19, 0
.LBB1_205:                              ;   Parent Loop BB1_145 Depth=1
                                        ; =>  This Inner Loop Header: Depth=2
	v_mov_b32_e32 v6, s16
	v_mov_b32_e32 v7, s17
	s_sleep 1
	global_store_dwordx2 v[14:15], v[8:9], off
	s_waitcnt_vscnt null, 0x0
	global_atomic_cmpswap_x2 v[6:7], v11, v[6:9], s[6:7] offset:32 glc
	s_waitcnt vmcnt(0)
	v_cmp_eq_u64_e32 vcc_lo, v[6:7], v[8:9]
	v_mov_b32_e32 v9, v7
	v_mov_b32_e32 v8, v6
	s_or_b32 s19, vcc_lo, s19
	s_andn2_b32 exec_lo, exec_lo, s19
	s_cbranch_execnz .LBB1_205
.LBB1_206:                              ;   in Loop: Header=BB1_145 Depth=1
	s_or_b32 exec_lo, exec_lo, s18
	global_load_dwordx2 v[6:7], v11, s[6:7] offset:16
	s_mov_b32 s19, exec_lo
	s_mov_b32 s18, exec_lo
	v_mbcnt_lo_u32_b32 v8, s19, 0
	v_cmpx_eq_u32_e32 0, v8
	s_cbranch_execz .LBB1_208
; %bb.207:                              ;   in Loop: Header=BB1_145 Depth=1
	s_bcnt1_i32_b32 s19, s19
	v_mov_b32_e32 v10, s19
	s_waitcnt vmcnt(0)
	global_atomic_add_x2 v[6:7], v[10:11], off offset:8
.LBB1_208:                              ;   in Loop: Header=BB1_145 Depth=1
	s_or_b32 exec_lo, exec_lo, s18
	s_waitcnt vmcnt(0)
	global_load_dwordx2 v[8:9], v[6:7], off offset:16
	s_waitcnt vmcnt(0)
	v_cmp_eq_u64_e32 vcc_lo, 0, v[8:9]
	s_cbranch_vccnz .LBB1_210
; %bb.209:                              ;   in Loop: Header=BB1_145 Depth=1
	global_load_dword v10, v[6:7], off offset:24
	s_waitcnt vmcnt(0)
	v_readfirstlane_b32 s18, v10
	s_waitcnt_vscnt null, 0x0
	global_store_dwordx2 v[8:9], v[10:11], off
	s_and_b32 m0, s18, 0x7fffff
	s_sendmsg sendmsg(MSG_INTERRUPT)
.LBB1_210:                              ;   in Loop: Header=BB1_145 Depth=1
	s_or_b32 exec_lo, exec_lo, s5
	v_add_co_u32 v6, vcc_lo, v28, v33
	v_add_co_ci_u32_e64 v7, null, 0, v29, vcc_lo
	s_branch .LBB1_214
	.p2align	6
.LBB1_211:                              ;   in Loop: Header=BB1_214 Depth=2
	s_or_b32 exec_lo, exec_lo, s5
	v_readfirstlane_b32 s5, v8
	s_cmp_eq_u32 s5, 0
	s_cbranch_scc1 .LBB1_213
; %bb.212:                              ;   in Loop: Header=BB1_214 Depth=2
	s_sleep 1
	s_cbranch_execnz .LBB1_214
	s_branch .LBB1_216
	.p2align	6
.LBB1_213:                              ;   in Loop: Header=BB1_145 Depth=1
	s_branch .LBB1_216
.LBB1_214:                              ;   Parent Loop BB1_145 Depth=1
                                        ; =>  This Inner Loop Header: Depth=2
	v_mov_b32_e32 v8, 1
	s_and_saveexec_b32 s5, s4
	s_cbranch_execz .LBB1_211
; %bb.215:                              ;   in Loop: Header=BB1_214 Depth=2
	global_load_dword v8, v[2:3], off offset:20 glc dlc
	s_waitcnt vmcnt(0)
	buffer_gl1_inv
	buffer_gl0_inv
	v_and_b32_e32 v8, 1, v8
	s_branch .LBB1_211
.LBB1_216:                              ;   in Loop: Header=BB1_145 Depth=1
	global_load_dwordx2 v[6:7], v[6:7], off
	s_and_saveexec_b32 s18, s4
	s_cbranch_execz .LBB1_144
; %bb.217:                              ;   in Loop: Header=BB1_145 Depth=1
	s_clause 0x2
	global_load_dwordx2 v[2:3], v11, s[6:7] offset:40
	global_load_dwordx2 v[18:19], v11, s[6:7] offset:24 glc dlc
	global_load_dwordx2 v[8:9], v11, s[6:7]
	s_waitcnt vmcnt(2)
	v_readfirstlane_b32 s20, v2
	v_readfirstlane_b32 s21, v3
	s_add_u32 s19, s20, 1
	s_addc_u32 s22, s21, 0
	s_add_u32 s4, s19, s16
	s_addc_u32 s5, s22, s17
	s_cmp_eq_u64 s[4:5], 0
	s_cselect_b32 s5, s22, s5
	s_cselect_b32 s4, s19, s4
	v_mov_b32_e32 v17, s5
	s_and_b64 s[16:17], s[4:5], s[20:21]
	v_mov_b32_e32 v16, s4
	s_mul_i32 s17, s17, 24
	s_mul_hi_u32 s19, s16, 24
	s_mul_i32 s16, s16, 24
	s_add_i32 s19, s19, s17
	s_waitcnt vmcnt(0)
	v_add_co_u32 v2, vcc_lo, v8, s16
	v_add_co_ci_u32_e64 v3, null, s19, v9, vcc_lo
	global_store_dwordx2 v[2:3], v[18:19], off
	s_waitcnt_vscnt null, 0x0
	global_atomic_cmpswap_x2 v[16:17], v11, v[16:19], s[6:7] offset:24 glc
	s_waitcnt vmcnt(0)
	v_cmp_ne_u64_e32 vcc_lo, v[16:17], v[18:19]
	s_and_b32 exec_lo, exec_lo, vcc_lo
	s_cbranch_execz .LBB1_144
; %bb.218:                              ;   in Loop: Header=BB1_145 Depth=1
	s_mov_b32 s16, 0
.LBB1_219:                              ;   Parent Loop BB1_145 Depth=1
                                        ; =>  This Inner Loop Header: Depth=2
	v_mov_b32_e32 v14, s4
	v_mov_b32_e32 v15, s5
	s_sleep 1
	global_store_dwordx2 v[2:3], v[16:17], off
	s_waitcnt_vscnt null, 0x0
	global_atomic_cmpswap_x2 v[8:9], v11, v[14:17], s[6:7] offset:24 glc
	s_waitcnt vmcnt(0)
	v_cmp_eq_u64_e32 vcc_lo, v[8:9], v[16:17]
	v_mov_b32_e32 v17, v9
	v_mov_b32_e32 v16, v8
	s_or_b32 s16, vcc_lo, s16
	s_andn2_b32 exec_lo, exec_lo, s16
	s_cbranch_execnz .LBB1_219
	s_branch .LBB1_144
.LBB1_220:
                                        ; implicit-def: $vgpr6_vgpr7
	s_cbranch_execnz .LBB1_222
	s_branch .LBB1_249
.LBB1_221:
	s_branch .LBB1_249
.LBB1_222:
	v_readfirstlane_b32 s4, v32
	v_mov_b32_e32 v10, 0
	v_mov_b32_e32 v11, 0
	v_cmp_eq_u32_e64 s4, s4, v32
	s_and_saveexec_b32 s5, s4
	s_cbranch_execz .LBB1_228
; %bb.223:
	v_mov_b32_e32 v2, 0
	s_mov_b32 s10, exec_lo
	global_load_dwordx2 v[8:9], v2, s[6:7] offset:24 glc dlc
	s_waitcnt vmcnt(0)
	buffer_gl1_inv
	buffer_gl0_inv
	s_clause 0x1
	global_load_dwordx2 v[6:7], v2, s[6:7] offset:40
	global_load_dwordx2 v[10:11], v2, s[6:7]
	s_waitcnt vmcnt(1)
	v_and_b32_e32 v3, v7, v9
	v_and_b32_e32 v6, v6, v8
	v_mul_lo_u32 v3, v3, 24
	v_mul_hi_u32 v7, v6, 24
	v_mul_lo_u32 v6, v6, 24
	v_add_nc_u32_e32 v3, v7, v3
	s_waitcnt vmcnt(0)
	v_add_co_u32 v6, vcc_lo, v10, v6
	v_add_co_ci_u32_e64 v7, null, v11, v3, vcc_lo
	global_load_dwordx2 v[6:7], v[6:7], off glc dlc
	s_waitcnt vmcnt(0)
	global_atomic_cmpswap_x2 v[10:11], v2, v[6:9], s[6:7] offset:24 glc
	s_waitcnt vmcnt(0)
	buffer_gl1_inv
	buffer_gl0_inv
	v_cmpx_ne_u64_e64 v[10:11], v[8:9]
	s_cbranch_execz .LBB1_227
; %bb.224:
	s_mov_b32 s11, 0
	.p2align	6
.LBB1_225:                              ; =>This Inner Loop Header: Depth=1
	s_sleep 1
	s_clause 0x1
	global_load_dwordx2 v[6:7], v2, s[6:7] offset:40
	global_load_dwordx2 v[12:13], v2, s[6:7]
	v_mov_b32_e32 v8, v10
	v_mov_b32_e32 v9, v11
	s_waitcnt vmcnt(1)
	v_and_b32_e32 v3, v6, v8
	v_and_b32_e32 v6, v7, v9
	s_waitcnt vmcnt(0)
	v_mad_u64_u32 v[10:11], null, v3, 24, v[12:13]
	v_mov_b32_e32 v3, v11
	v_mad_u64_u32 v[6:7], null, v6, 24, v[3:4]
	v_mov_b32_e32 v11, v6
	global_load_dwordx2 v[6:7], v[10:11], off glc dlc
	s_waitcnt vmcnt(0)
	global_atomic_cmpswap_x2 v[10:11], v2, v[6:9], s[6:7] offset:24 glc
	s_waitcnt vmcnt(0)
	buffer_gl1_inv
	buffer_gl0_inv
	v_cmp_eq_u64_e32 vcc_lo, v[10:11], v[8:9]
	s_or_b32 s11, vcc_lo, s11
	s_andn2_b32 exec_lo, exec_lo, s11
	s_cbranch_execnz .LBB1_225
; %bb.226:
	s_or_b32 exec_lo, exec_lo, s11
.LBB1_227:
	s_or_b32 exec_lo, exec_lo, s10
.LBB1_228:
	s_or_b32 exec_lo, exec_lo, s5
	v_mov_b32_e32 v2, 0
	v_readfirstlane_b32 s11, v11
	v_readfirstlane_b32 s10, v10
	s_mov_b32 s5, exec_lo
	s_clause 0x1
	global_load_dwordx2 v[12:13], v2, s[6:7] offset:40
	global_load_dwordx4 v[6:9], v2, s[6:7]
	s_waitcnt vmcnt(1)
	v_readfirstlane_b32 s12, v12
	v_readfirstlane_b32 s13, v13
	s_and_b64 s[12:13], s[12:13], s[10:11]
	s_mul_i32 s14, s13, 24
	s_mul_hi_u32 s15, s12, 24
	s_mul_i32 s16, s12, 24
	s_add_i32 s15, s15, s14
	s_waitcnt vmcnt(0)
	v_add_co_u32 v10, vcc_lo, v6, s16
	v_add_co_ci_u32_e64 v11, null, s15, v7, vcc_lo
	s_and_saveexec_b32 s14, s4
	s_cbranch_execz .LBB1_230
; %bb.229:
	v_mov_b32_e32 v12, s5
	v_mov_b32_e32 v13, v2
	;; [unrolled: 1-line block ×4, first 2 shown]
	global_store_dwordx4 v[10:11], v[12:15], off offset:8
.LBB1_230:
	s_or_b32 exec_lo, exec_lo, s14
	s_lshl_b64 s[12:13], s[12:13], 12
	v_and_or_b32 v0, 0xffffff1f, v0, 32
	v_add_co_u32 v8, vcc_lo, v8, s12
	v_add_co_ci_u32_e64 v9, null, s13, v9, vcc_lo
	s_mov_b32 s12, 0
	v_readfirstlane_b32 s16, v8
	v_add_co_u32 v8, vcc_lo, v8, v33
	s_mov_b32 s13, s12
	s_mov_b32 s14, s12
	;; [unrolled: 1-line block ×3, first 2 shown]
	v_mov_b32_e32 v3, v2
	v_readfirstlane_b32 s17, v9
	v_mov_b32_e32 v12, s12
	v_add_co_ci_u32_e64 v9, null, 0, v9, vcc_lo
	v_mov_b32_e32 v13, s13
	v_mov_b32_e32 v14, s14
	;; [unrolled: 1-line block ×3, first 2 shown]
	global_store_dwordx4 v33, v[0:3], s[16:17]
	global_store_dwordx4 v33, v[12:15], s[16:17] offset:16
	global_store_dwordx4 v33, v[12:15], s[16:17] offset:32
	;; [unrolled: 1-line block ×3, first 2 shown]
	s_and_saveexec_b32 s5, s4
	s_cbranch_execz .LBB1_238
; %bb.231:
	v_mov_b32_e32 v12, 0
	v_mov_b32_e32 v13, s10
	;; [unrolled: 1-line block ×3, first 2 shown]
	s_clause 0x1
	global_load_dwordx2 v[15:16], v12, s[6:7] offset:32 glc dlc
	global_load_dwordx2 v[0:1], v12, s[6:7] offset:40
	s_waitcnt vmcnt(0)
	v_readfirstlane_b32 s12, v0
	v_readfirstlane_b32 s13, v1
	s_and_b64 s[12:13], s[12:13], s[10:11]
	s_mul_i32 s13, s13, 24
	s_mul_hi_u32 s14, s12, 24
	s_mul_i32 s12, s12, 24
	s_add_i32 s14, s14, s13
	v_add_co_u32 v6, vcc_lo, v6, s12
	v_add_co_ci_u32_e64 v7, null, s14, v7, vcc_lo
	s_mov_b32 s12, exec_lo
	global_store_dwordx2 v[6:7], v[15:16], off
	s_waitcnt_vscnt null, 0x0
	global_atomic_cmpswap_x2 v[2:3], v12, v[13:16], s[6:7] offset:32 glc
	s_waitcnt vmcnt(0)
	v_cmpx_ne_u64_e64 v[2:3], v[15:16]
	s_cbranch_execz .LBB1_234
; %bb.232:
	s_mov_b32 s13, 0
.LBB1_233:                              ; =>This Inner Loop Header: Depth=1
	v_mov_b32_e32 v0, s10
	v_mov_b32_e32 v1, s11
	s_sleep 1
	global_store_dwordx2 v[6:7], v[2:3], off
	s_waitcnt_vscnt null, 0x0
	global_atomic_cmpswap_x2 v[0:1], v12, v[0:3], s[6:7] offset:32 glc
	s_waitcnt vmcnt(0)
	v_cmp_eq_u64_e32 vcc_lo, v[0:1], v[2:3]
	v_mov_b32_e32 v3, v1
	v_mov_b32_e32 v2, v0
	s_or_b32 s13, vcc_lo, s13
	s_andn2_b32 exec_lo, exec_lo, s13
	s_cbranch_execnz .LBB1_233
.LBB1_234:
	s_or_b32 exec_lo, exec_lo, s12
	v_mov_b32_e32 v3, 0
	s_mov_b32 s13, exec_lo
	s_mov_b32 s12, exec_lo
	v_mbcnt_lo_u32_b32 v2, s13, 0
	global_load_dwordx2 v[0:1], v3, s[6:7] offset:16
	v_cmpx_eq_u32_e32 0, v2
	s_cbranch_execz .LBB1_236
; %bb.235:
	s_bcnt1_i32_b32 s13, s13
	v_mov_b32_e32 v2, s13
	s_waitcnt vmcnt(0)
	global_atomic_add_x2 v[0:1], v[2:3], off offset:8
.LBB1_236:
	s_or_b32 exec_lo, exec_lo, s12
	s_waitcnt vmcnt(0)
	global_load_dwordx2 v[2:3], v[0:1], off offset:16
	s_waitcnt vmcnt(0)
	v_cmp_eq_u64_e32 vcc_lo, 0, v[2:3]
	s_cbranch_vccnz .LBB1_238
; %bb.237:
	global_load_dword v0, v[0:1], off offset:24
	v_mov_b32_e32 v1, 0
	s_waitcnt vmcnt(0)
	v_readfirstlane_b32 s12, v0
	s_waitcnt_vscnt null, 0x0
	global_store_dwordx2 v[2:3], v[0:1], off
	s_and_b32 m0, s12, 0x7fffff
	s_sendmsg sendmsg(MSG_INTERRUPT)
.LBB1_238:
	s_or_b32 exec_lo, exec_lo, s5
	s_branch .LBB1_242
	.p2align	6
.LBB1_239:                              ;   in Loop: Header=BB1_242 Depth=1
	s_or_b32 exec_lo, exec_lo, s5
	v_readfirstlane_b32 s5, v0
	s_cmp_eq_u32 s5, 0
	s_cbranch_scc1 .LBB1_241
; %bb.240:                              ;   in Loop: Header=BB1_242 Depth=1
	s_sleep 1
	s_cbranch_execnz .LBB1_242
	s_branch .LBB1_244
	.p2align	6
.LBB1_241:
	s_branch .LBB1_244
.LBB1_242:                              ; =>This Inner Loop Header: Depth=1
	v_mov_b32_e32 v0, 1
	s_and_saveexec_b32 s5, s4
	s_cbranch_execz .LBB1_239
; %bb.243:                              ;   in Loop: Header=BB1_242 Depth=1
	global_load_dword v0, v[10:11], off offset:20 glc dlc
	s_waitcnt vmcnt(0)
	buffer_gl1_inv
	buffer_gl0_inv
	v_and_b32_e32 v0, 1, v0
	s_branch .LBB1_239
.LBB1_244:
	global_load_dwordx2 v[6:7], v[8:9], off
	s_and_saveexec_b32 s12, s4
	s_cbranch_execz .LBB1_248
; %bb.245:
	v_mov_b32_e32 v10, 0
	s_clause 0x2
	global_load_dwordx2 v[0:1], v10, s[6:7] offset:40
	global_load_dwordx2 v[13:14], v10, s[6:7] offset:24 glc dlc
	global_load_dwordx2 v[2:3], v10, s[6:7]
	s_waitcnt vmcnt(2)
	v_readfirstlane_b32 s14, v0
	v_readfirstlane_b32 s15, v1
	s_add_u32 s13, s14, 1
	s_addc_u32 s16, s15, 0
	s_add_u32 s4, s13, s10
	s_addc_u32 s5, s16, s11
	s_cmp_eq_u64 s[4:5], 0
	s_cselect_b32 s5, s16, s5
	s_cselect_b32 s4, s13, s4
	v_mov_b32_e32 v12, s5
	s_and_b64 s[10:11], s[4:5], s[14:15]
	v_mov_b32_e32 v11, s4
	s_mul_i32 s11, s11, 24
	s_mul_hi_u32 s13, s10, 24
	s_mul_i32 s10, s10, 24
	s_add_i32 s13, s13, s11
	s_waitcnt vmcnt(0)
	v_add_co_u32 v8, vcc_lo, v2, s10
	v_add_co_ci_u32_e64 v9, null, s13, v3, vcc_lo
	global_store_dwordx2 v[8:9], v[13:14], off
	s_waitcnt_vscnt null, 0x0
	global_atomic_cmpswap_x2 v[2:3], v10, v[11:14], s[6:7] offset:24 glc
	s_waitcnt vmcnt(0)
	v_cmp_ne_u64_e32 vcc_lo, v[2:3], v[13:14]
	s_and_b32 exec_lo, exec_lo, vcc_lo
	s_cbranch_execz .LBB1_248
; %bb.246:
	s_mov_b32 s10, 0
.LBB1_247:                              ; =>This Inner Loop Header: Depth=1
	v_mov_b32_e32 v0, s4
	v_mov_b32_e32 v1, s5
	s_sleep 1
	global_store_dwordx2 v[8:9], v[2:3], off
	s_waitcnt_vscnt null, 0x0
	global_atomic_cmpswap_x2 v[0:1], v10, v[0:3], s[6:7] offset:24 glc
	s_waitcnt vmcnt(0)
	v_cmp_eq_u64_e32 vcc_lo, v[0:1], v[2:3]
	v_mov_b32_e32 v3, v1
	v_mov_b32_e32 v2, v0
	s_or_b32 s10, vcc_lo, s10
	s_andn2_b32 exec_lo, exec_lo, s10
	s_cbranch_execnz .LBB1_247
.LBB1_248:
	s_or_b32 exec_lo, exec_lo, s12
.LBB1_249:
	v_readfirstlane_b32 s4, v32
	v_mov_b32_e32 v10, 0
	v_mov_b32_e32 v11, 0
	v_cmp_eq_u32_e64 s4, s4, v32
	s_and_saveexec_b32 s5, s4
	s_cbranch_execz .LBB1_255
; %bb.250:
	s_waitcnt vmcnt(0)
	v_mov_b32_e32 v0, 0
	s_mov_b32 s10, exec_lo
	global_load_dwordx2 v[12:13], v0, s[6:7] offset:24 glc dlc
	s_waitcnt vmcnt(0)
	buffer_gl1_inv
	buffer_gl0_inv
	s_clause 0x1
	global_load_dwordx2 v[1:2], v0, s[6:7] offset:40
	global_load_dwordx2 v[8:9], v0, s[6:7]
	s_waitcnt vmcnt(1)
	v_and_b32_e32 v2, v2, v13
	v_and_b32_e32 v1, v1, v12
	v_mul_lo_u32 v2, v2, 24
	v_mul_hi_u32 v3, v1, 24
	v_mul_lo_u32 v1, v1, 24
	v_add_nc_u32_e32 v2, v3, v2
	s_waitcnt vmcnt(0)
	v_add_co_u32 v1, vcc_lo, v8, v1
	v_add_co_ci_u32_e64 v2, null, v9, v2, vcc_lo
	global_load_dwordx2 v[10:11], v[1:2], off glc dlc
	s_waitcnt vmcnt(0)
	global_atomic_cmpswap_x2 v[10:11], v0, v[10:13], s[6:7] offset:24 glc
	s_waitcnt vmcnt(0)
	buffer_gl1_inv
	buffer_gl0_inv
	v_cmpx_ne_u64_e64 v[10:11], v[12:13]
	s_cbranch_execz .LBB1_254
; %bb.251:
	s_mov_b32 s11, 0
	.p2align	6
.LBB1_252:                              ; =>This Inner Loop Header: Depth=1
	s_sleep 1
	s_clause 0x1
	global_load_dwordx2 v[1:2], v0, s[6:7] offset:40
	global_load_dwordx2 v[8:9], v0, s[6:7]
	v_mov_b32_e32 v13, v11
	v_mov_b32_e32 v12, v10
	s_waitcnt vmcnt(1)
	v_and_b32_e32 v1, v1, v12
	v_and_b32_e32 v2, v2, v13
	s_waitcnt vmcnt(0)
	v_mad_u64_u32 v[8:9], null, v1, 24, v[8:9]
	v_mov_b32_e32 v1, v9
	v_mad_u64_u32 v[1:2], null, v2, 24, v[1:2]
	v_mov_b32_e32 v9, v1
	global_load_dwordx2 v[10:11], v[8:9], off glc dlc
	s_waitcnt vmcnt(0)
	global_atomic_cmpswap_x2 v[10:11], v0, v[10:13], s[6:7] offset:24 glc
	s_waitcnt vmcnt(0)
	buffer_gl1_inv
	buffer_gl0_inv
	v_cmp_eq_u64_e32 vcc_lo, v[10:11], v[12:13]
	s_or_b32 s11, vcc_lo, s11
	s_andn2_b32 exec_lo, exec_lo, s11
	s_cbranch_execnz .LBB1_252
; %bb.253:
	s_or_b32 exec_lo, exec_lo, s11
.LBB1_254:
	s_or_b32 exec_lo, exec_lo, s10
.LBB1_255:
	s_or_b32 exec_lo, exec_lo, s5
	v_mov_b32_e32 v9, 0
	v_readfirstlane_b32 s11, v11
	v_readfirstlane_b32 s10, v10
	s_mov_b32 s5, exec_lo
	s_clause 0x1
	global_load_dwordx2 v[12:13], v9, s[6:7] offset:40
	global_load_dwordx4 v[0:3], v9, s[6:7]
	s_waitcnt vmcnt(1)
	v_readfirstlane_b32 s12, v12
	v_readfirstlane_b32 s13, v13
	s_and_b64 s[12:13], s[12:13], s[10:11]
	s_mul_i32 s14, s13, 24
	s_mul_hi_u32 s15, s12, 24
	s_mul_i32 s16, s12, 24
	s_add_i32 s15, s15, s14
	s_waitcnt vmcnt(0)
	v_add_co_u32 v10, vcc_lo, v0, s16
	v_add_co_ci_u32_e64 v11, null, s15, v1, vcc_lo
	s_and_saveexec_b32 s14, s4
	s_cbranch_execz .LBB1_257
; %bb.256:
	v_mov_b32_e32 v8, s5
	v_mov_b32_e32 v13, v9
	;; [unrolled: 1-line block ×5, first 2 shown]
	global_store_dwordx4 v[10:11], v[12:15], off offset:8
.LBB1_257:
	s_or_b32 exec_lo, exec_lo, s14
	s_lshl_b64 s[12:13], s[12:13], 12
	v_and_or_b32 v6, 0xffffff1f, v6, 32
	v_add_co_u32 v2, vcc_lo, v2, s12
	v_add_co_ci_u32_e64 v3, null, s13, v3, vcc_lo
	s_mov_b32 s12, 0
	v_add_co_u32 v12, vcc_lo, v2, v33
	s_mov_b32 s15, s12
	s_mov_b32 s13, s12
	;; [unrolled: 1-line block ×3, first 2 shown]
	v_mov_b32_e32 v8, 0x331
	v_readfirstlane_b32 s16, v2
	v_readfirstlane_b32 s17, v3
	v_mov_b32_e32 v17, s15
	v_add_co_ci_u32_e64 v13, null, 0, v3, vcc_lo
	v_mov_b32_e32 v16, s14
	v_mov_b32_e32 v15, s13
	;; [unrolled: 1-line block ×3, first 2 shown]
	global_store_dwordx4 v33, v[6:9], s[16:17]
	global_store_dwordx4 v33, v[14:17], s[16:17] offset:16
	global_store_dwordx4 v33, v[14:17], s[16:17] offset:32
	;; [unrolled: 1-line block ×3, first 2 shown]
	s_and_saveexec_b32 s5, s4
	s_cbranch_execz .LBB1_265
; %bb.258:
	v_mov_b32_e32 v8, 0
	v_mov_b32_e32 v14, s10
	;; [unrolled: 1-line block ×3, first 2 shown]
	s_clause 0x1
	global_load_dwordx2 v[16:17], v8, s[6:7] offset:32 glc dlc
	global_load_dwordx2 v[2:3], v8, s[6:7] offset:40
	s_waitcnt vmcnt(0)
	v_readfirstlane_b32 s12, v2
	v_readfirstlane_b32 s13, v3
	s_and_b64 s[12:13], s[12:13], s[10:11]
	s_mul_i32 s13, s13, 24
	s_mul_hi_u32 s14, s12, 24
	s_mul_i32 s12, s12, 24
	s_add_i32 s14, s14, s13
	v_add_co_u32 v6, vcc_lo, v0, s12
	v_add_co_ci_u32_e64 v7, null, s14, v1, vcc_lo
	s_mov_b32 s12, exec_lo
	global_store_dwordx2 v[6:7], v[16:17], off
	s_waitcnt_vscnt null, 0x0
	global_atomic_cmpswap_x2 v[2:3], v8, v[14:17], s[6:7] offset:32 glc
	s_waitcnt vmcnt(0)
	v_cmpx_ne_u64_e64 v[2:3], v[16:17]
	s_cbranch_execz .LBB1_261
; %bb.259:
	s_mov_b32 s13, 0
.LBB1_260:                              ; =>This Inner Loop Header: Depth=1
	v_mov_b32_e32 v0, s10
	v_mov_b32_e32 v1, s11
	s_sleep 1
	global_store_dwordx2 v[6:7], v[2:3], off
	s_waitcnt_vscnt null, 0x0
	global_atomic_cmpswap_x2 v[0:1], v8, v[0:3], s[6:7] offset:32 glc
	s_waitcnt vmcnt(0)
	v_cmp_eq_u64_e32 vcc_lo, v[0:1], v[2:3]
	v_mov_b32_e32 v3, v1
	v_mov_b32_e32 v2, v0
	s_or_b32 s13, vcc_lo, s13
	s_andn2_b32 exec_lo, exec_lo, s13
	s_cbranch_execnz .LBB1_260
.LBB1_261:
	s_or_b32 exec_lo, exec_lo, s12
	v_mov_b32_e32 v3, 0
	s_mov_b32 s13, exec_lo
	s_mov_b32 s12, exec_lo
	v_mbcnt_lo_u32_b32 v2, s13, 0
	global_load_dwordx2 v[0:1], v3, s[6:7] offset:16
	v_cmpx_eq_u32_e32 0, v2
	s_cbranch_execz .LBB1_263
; %bb.262:
	s_bcnt1_i32_b32 s13, s13
	v_mov_b32_e32 v2, s13
	s_waitcnt vmcnt(0)
	global_atomic_add_x2 v[0:1], v[2:3], off offset:8
.LBB1_263:
	s_or_b32 exec_lo, exec_lo, s12
	s_waitcnt vmcnt(0)
	global_load_dwordx2 v[2:3], v[0:1], off offset:16
	s_waitcnt vmcnt(0)
	v_cmp_eq_u64_e32 vcc_lo, 0, v[2:3]
	s_cbranch_vccnz .LBB1_265
; %bb.264:
	global_load_dword v0, v[0:1], off offset:24
	v_mov_b32_e32 v1, 0
	s_waitcnt vmcnt(0)
	v_readfirstlane_b32 s12, v0
	s_waitcnt_vscnt null, 0x0
	global_store_dwordx2 v[2:3], v[0:1], off
	s_and_b32 m0, s12, 0x7fffff
	s_sendmsg sendmsg(MSG_INTERRUPT)
.LBB1_265:
	s_or_b32 exec_lo, exec_lo, s5
	s_branch .LBB1_269
	.p2align	6
.LBB1_266:                              ;   in Loop: Header=BB1_269 Depth=1
	s_or_b32 exec_lo, exec_lo, s5
	v_readfirstlane_b32 s5, v0
	s_cmp_eq_u32 s5, 0
	s_cbranch_scc1 .LBB1_268
; %bb.267:                              ;   in Loop: Header=BB1_269 Depth=1
	s_sleep 1
	s_cbranch_execnz .LBB1_269
	s_branch .LBB1_271
	.p2align	6
.LBB1_268:
	s_branch .LBB1_271
.LBB1_269:                              ; =>This Inner Loop Header: Depth=1
	v_mov_b32_e32 v0, 1
	s_and_saveexec_b32 s5, s4
	s_cbranch_execz .LBB1_266
; %bb.270:                              ;   in Loop: Header=BB1_269 Depth=1
	global_load_dword v0, v[10:11], off offset:20 glc dlc
	s_waitcnt vmcnt(0)
	buffer_gl1_inv
	buffer_gl0_inv
	v_and_b32_e32 v0, 1, v0
	s_branch .LBB1_266
.LBB1_271:
	global_load_dwordx2 v[0:1], v[12:13], off
	s_and_saveexec_b32 s12, s4
	s_cbranch_execz .LBB1_275
; %bb.272:
	v_mov_b32_e32 v10, 0
	s_clause 0x2
	global_load_dwordx2 v[2:3], v10, s[6:7] offset:40
	global_load_dwordx2 v[13:14], v10, s[6:7] offset:24 glc dlc
	global_load_dwordx2 v[6:7], v10, s[6:7]
	s_waitcnt vmcnt(2)
	v_readfirstlane_b32 s14, v2
	v_readfirstlane_b32 s15, v3
	s_add_u32 s13, s14, 1
	s_addc_u32 s16, s15, 0
	s_add_u32 s4, s13, s10
	s_addc_u32 s5, s16, s11
	s_cmp_eq_u64 s[4:5], 0
	s_cselect_b32 s5, s16, s5
	s_cselect_b32 s4, s13, s4
	v_mov_b32_e32 v12, s5
	s_and_b64 s[10:11], s[4:5], s[14:15]
	v_mov_b32_e32 v11, s4
	s_mul_i32 s11, s11, 24
	s_mul_hi_u32 s13, s10, 24
	s_mul_i32 s10, s10, 24
	s_add_i32 s13, s13, s11
	s_waitcnt vmcnt(0)
	v_add_co_u32 v2, vcc_lo, v6, s10
	v_add_co_ci_u32_e64 v3, null, s13, v7, vcc_lo
	global_store_dwordx2 v[2:3], v[13:14], off
	s_waitcnt_vscnt null, 0x0
	global_atomic_cmpswap_x2 v[8:9], v10, v[11:14], s[6:7] offset:24 glc
	s_waitcnt vmcnt(0)
	v_cmp_ne_u64_e32 vcc_lo, v[8:9], v[13:14]
	s_and_b32 exec_lo, exec_lo, vcc_lo
	s_cbranch_execz .LBB1_275
; %bb.273:
	s_mov_b32 s10, 0
.LBB1_274:                              ; =>This Inner Loop Header: Depth=1
	v_mov_b32_e32 v6, s4
	v_mov_b32_e32 v7, s5
	s_sleep 1
	global_store_dwordx2 v[2:3], v[8:9], off
	s_waitcnt_vscnt null, 0x0
	global_atomic_cmpswap_x2 v[6:7], v10, v[6:9], s[6:7] offset:24 glc
	s_waitcnt vmcnt(0)
	v_cmp_eq_u64_e32 vcc_lo, v[6:7], v[8:9]
	v_mov_b32_e32 v9, v7
	v_mov_b32_e32 v8, v6
	s_or_b32 s10, vcc_lo, s10
	s_andn2_b32 exec_lo, exec_lo, s10
	s_cbranch_execnz .LBB1_274
.LBB1_275:
	s_or_b32 exec_lo, exec_lo, s12
	v_mov_b32_e32 v7, v5
	v_mov_b32_e32 v6, v4
	s_mov_b32 s4, 0
.LBB1_276:                              ; =>This Inner Loop Header: Depth=1
	global_load_ubyte v8, v[6:7], off
	v_add_co_u32 v2, vcc_lo, v6, 1
	v_add_co_ci_u32_e64 v3, null, 0, v7, vcc_lo
	v_mov_b32_e32 v7, v3
	v_mov_b32_e32 v6, v2
	s_waitcnt vmcnt(0)
	v_cmp_eq_u16_e32 vcc_lo, 0, v8
	s_or_b32 s4, vcc_lo, s4
	s_andn2_b32 exec_lo, exec_lo, s4
	s_cbranch_execnz .LBB1_276
; %bb.277:
	s_or_b32 exec_lo, exec_lo, s4
	s_mov_b32 s4, exec_lo
	v_cmpx_ne_u64_e32 0, v[4:5]
	s_xor_b32 s14, exec_lo, s4
	s_cbranch_execz .LBB1_363
; %bb.278:
	v_sub_nc_u32_e32 v26, v2, v4
	v_and_b32_e32 v34, 2, v0
	v_mov_b32_e32 v7, 0
	v_and_b32_e32 v0, -3, v0
	v_mov_b32_e32 v8, 2
	v_ashrrev_i32_e32 v27, 31, v26
	v_mov_b32_e32 v9, 1
	s_mov_b32 s16, 0
	s_mov_b32 s15, 0
	s_branch .LBB1_280
.LBB1_279:                              ;   in Loop: Header=BB1_280 Depth=1
	s_or_b32 exec_lo, exec_lo, s12
	v_sub_co_u32 v26, vcc_lo, v26, v28
	v_sub_co_ci_u32_e64 v27, null, v27, v29, vcc_lo
	v_add_co_u32 v4, s4, v4, v28
	v_add_co_ci_u32_e64 v5, null, v5, v29, s4
	v_cmp_eq_u64_e32 vcc_lo, 0, v[26:27]
	s_or_b32 s15, vcc_lo, s15
	s_andn2_b32 exec_lo, exec_lo, s15
	s_cbranch_execz .LBB1_362
.LBB1_280:                              ; =>This Loop Header: Depth=1
                                        ;     Child Loop BB1_283 Depth 2
                                        ;     Child Loop BB1_291 Depth 2
	;; [unrolled: 1-line block ×11, first 2 shown]
	v_cmp_gt_u64_e32 vcc_lo, 56, v[26:27]
	s_mov_b32 s5, exec_lo
	v_cndmask_b32_e32 v29, 0, v27, vcc_lo
	v_cndmask_b32_e32 v28, 56, v26, vcc_lo
	v_add_co_u32 v12, vcc_lo, v4, 8
	v_add_co_ci_u32_e64 v13, null, 0, v5, vcc_lo
	v_cmpx_gt_u64_e32 8, v[26:27]
	s_xor_b32 s5, exec_lo, s5
	s_cbranch_execz .LBB1_286
; %bb.281:                              ;   in Loop: Header=BB1_280 Depth=1
	v_mov_b32_e32 v2, 0
	v_mov_b32_e32 v3, 0
	s_mov_b32 s12, exec_lo
	v_cmpx_ne_u64_e32 0, v[26:27]
	s_cbranch_execz .LBB1_285
; %bb.282:                              ;   in Loop: Header=BB1_280 Depth=1
	v_lshlrev_b64 v[10:11], 3, v[28:29]
	v_mov_b32_e32 v2, 0
	v_mov_b32_e32 v12, v5
	;; [unrolled: 1-line block ×4, first 2 shown]
	s_mov_b64 s[10:11], 0
	s_mov_b32 s13, 0
	.p2align	6
.LBB1_283:                              ;   Parent Loop BB1_280 Depth=1
                                        ; =>  This Inner Loop Header: Depth=2
	global_load_ubyte v6, v[11:12], off
	v_mov_b32_e32 v14, s16
	v_add_co_u32 v11, vcc_lo, v11, 1
	v_add_co_ci_u32_e64 v12, null, 0, v12, vcc_lo
	s_waitcnt vmcnt(0)
	v_and_b32_e32 v13, 0xffff, v6
	v_lshlrev_b64 v[13:14], s10, v[13:14]
	s_add_u32 s10, s10, 8
	s_addc_u32 s11, s11, 0
	v_cmp_eq_u32_e64 s4, s10, v10
	v_or_b32_e32 v3, v14, v3
	v_or_b32_e32 v2, v13, v2
	s_or_b32 s13, s4, s13
	s_andn2_b32 exec_lo, exec_lo, s13
	s_cbranch_execnz .LBB1_283
; %bb.284:                              ;   in Loop: Header=BB1_280 Depth=1
	s_or_b32 exec_lo, exec_lo, s13
.LBB1_285:                              ;   in Loop: Header=BB1_280 Depth=1
	s_or_b32 exec_lo, exec_lo, s12
	v_mov_b32_e32 v13, v5
	v_mov_b32_e32 v12, v4
.LBB1_286:                              ;   in Loop: Header=BB1_280 Depth=1
	s_or_saveexec_b32 s4, s5
	v_mov_b32_e32 v6, 0
	s_xor_b32 exec_lo, exec_lo, s4
	s_cbranch_execz .LBB1_288
; %bb.287:                              ;   in Loop: Header=BB1_280 Depth=1
	global_load_dwordx2 v[2:3], v[4:5], off
	v_add_nc_u32_e32 v6, -8, v28
.LBB1_288:                              ;   in Loop: Header=BB1_280 Depth=1
	s_or_b32 exec_lo, exec_lo, s4
	v_add_co_u32 v14, s4, v12, 8
	v_add_co_ci_u32_e64 v15, null, 0, v13, s4
                                        ; implicit-def: $vgpr10_vgpr11
	s_mov_b32 s4, exec_lo
	v_cmpx_gt_u32_e32 8, v6
	s_xor_b32 s12, exec_lo, s4
	s_cbranch_execz .LBB1_294
; %bb.289:                              ;   in Loop: Header=BB1_280 Depth=1
	v_mov_b32_e32 v10, 0
	v_mov_b32_e32 v11, 0
	s_mov_b32 s13, exec_lo
	v_cmpx_ne_u32_e32 0, v6
	s_cbranch_execz .LBB1_293
; %bb.290:                              ;   in Loop: Header=BB1_280 Depth=1
	v_mov_b32_e32 v10, 0
	v_mov_b32_e32 v11, 0
	s_mov_b64 s[4:5], 0
	s_mov_b32 s17, 0
	s_mov_b64 s[10:11], 0
	.p2align	6
.LBB1_291:                              ;   Parent Loop BB1_280 Depth=1
                                        ; =>  This Inner Loop Header: Depth=2
	v_add_co_u32 v14, vcc_lo, v12, s10
	v_add_co_ci_u32_e64 v15, null, s11, v13, vcc_lo
	s_add_u32 s10, s10, 1
	s_addc_u32 s11, s11, 0
	v_cmp_eq_u32_e32 vcc_lo, s10, v6
	global_load_ubyte v14, v[14:15], off
	v_mov_b32_e32 v15, s16
	s_waitcnt vmcnt(0)
	v_and_b32_e32 v14, 0xffff, v14
	v_lshlrev_b64 v[14:15], s4, v[14:15]
	s_add_u32 s4, s4, 8
	s_addc_u32 s5, s5, 0
	s_or_b32 s17, vcc_lo, s17
	v_or_b32_e32 v11, v15, v11
	v_or_b32_e32 v10, v14, v10
	s_andn2_b32 exec_lo, exec_lo, s17
	s_cbranch_execnz .LBB1_291
; %bb.292:                              ;   in Loop: Header=BB1_280 Depth=1
	s_or_b32 exec_lo, exec_lo, s17
.LBB1_293:                              ;   in Loop: Header=BB1_280 Depth=1
	s_or_b32 exec_lo, exec_lo, s13
	v_mov_b32_e32 v15, v13
	v_mov_b32_e32 v14, v12
                                        ; implicit-def: $vgpr6
.LBB1_294:                              ;   in Loop: Header=BB1_280 Depth=1
	s_or_saveexec_b32 s4, s12
	v_mov_b32_e32 v18, 0
	s_xor_b32 exec_lo, exec_lo, s4
	s_cbranch_execz .LBB1_296
; %bb.295:                              ;   in Loop: Header=BB1_280 Depth=1
	global_load_dwordx2 v[10:11], v[12:13], off
	v_add_nc_u32_e32 v18, -8, v6
.LBB1_296:                              ;   in Loop: Header=BB1_280 Depth=1
	s_or_b32 exec_lo, exec_lo, s4
	v_add_co_u32 v16, s4, v14, 8
	v_add_co_ci_u32_e64 v17, null, 0, v15, s4
	s_mov_b32 s4, exec_lo
	v_cmpx_gt_u32_e32 8, v18
	s_xor_b32 s12, exec_lo, s4
	s_cbranch_execz .LBB1_302
; %bb.297:                              ;   in Loop: Header=BB1_280 Depth=1
	v_mov_b32_e32 v12, 0
	v_mov_b32_e32 v13, 0
	s_mov_b32 s13, exec_lo
	v_cmpx_ne_u32_e32 0, v18
	s_cbranch_execz .LBB1_301
; %bb.298:                              ;   in Loop: Header=BB1_280 Depth=1
	v_mov_b32_e32 v12, 0
	v_mov_b32_e32 v13, 0
	s_mov_b64 s[4:5], 0
	s_mov_b32 s17, 0
	s_mov_b64 s[10:11], 0
	.p2align	6
.LBB1_299:                              ;   Parent Loop BB1_280 Depth=1
                                        ; =>  This Inner Loop Header: Depth=2
	v_add_co_u32 v16, vcc_lo, v14, s10
	v_add_co_ci_u32_e64 v17, null, s11, v15, vcc_lo
	s_add_u32 s10, s10, 1
	s_addc_u32 s11, s11, 0
	v_cmp_eq_u32_e32 vcc_lo, s10, v18
	global_load_ubyte v6, v[16:17], off
	v_mov_b32_e32 v17, s16
	s_waitcnt vmcnt(0)
	v_and_b32_e32 v16, 0xffff, v6
	v_lshlrev_b64 v[16:17], s4, v[16:17]
	s_add_u32 s4, s4, 8
	s_addc_u32 s5, s5, 0
	s_or_b32 s17, vcc_lo, s17
	v_or_b32_e32 v13, v17, v13
	v_or_b32_e32 v12, v16, v12
	s_andn2_b32 exec_lo, exec_lo, s17
	s_cbranch_execnz .LBB1_299
; %bb.300:                              ;   in Loop: Header=BB1_280 Depth=1
	s_or_b32 exec_lo, exec_lo, s17
.LBB1_301:                              ;   in Loop: Header=BB1_280 Depth=1
	s_or_b32 exec_lo, exec_lo, s13
	v_mov_b32_e32 v17, v15
	v_mov_b32_e32 v16, v14
                                        ; implicit-def: $vgpr18
.LBB1_302:                              ;   in Loop: Header=BB1_280 Depth=1
	s_or_saveexec_b32 s4, s12
	v_mov_b32_e32 v6, 0
	s_xor_b32 exec_lo, exec_lo, s4
	s_cbranch_execz .LBB1_304
; %bb.303:                              ;   in Loop: Header=BB1_280 Depth=1
	global_load_dwordx2 v[12:13], v[14:15], off
	v_add_nc_u32_e32 v6, -8, v18
.LBB1_304:                              ;   in Loop: Header=BB1_280 Depth=1
	s_or_b32 exec_lo, exec_lo, s4
	v_add_co_u32 v18, s4, v16, 8
	v_add_co_ci_u32_e64 v19, null, 0, v17, s4
                                        ; implicit-def: $vgpr14_vgpr15
	s_mov_b32 s4, exec_lo
	v_cmpx_gt_u32_e32 8, v6
	s_xor_b32 s12, exec_lo, s4
	s_cbranch_execz .LBB1_310
; %bb.305:                              ;   in Loop: Header=BB1_280 Depth=1
	v_mov_b32_e32 v14, 0
	v_mov_b32_e32 v15, 0
	s_mov_b32 s13, exec_lo
	v_cmpx_ne_u32_e32 0, v6
	s_cbranch_execz .LBB1_309
; %bb.306:                              ;   in Loop: Header=BB1_280 Depth=1
	v_mov_b32_e32 v14, 0
	v_mov_b32_e32 v15, 0
	s_mov_b64 s[4:5], 0
	s_mov_b32 s17, 0
	s_mov_b64 s[10:11], 0
	.p2align	6
.LBB1_307:                              ;   Parent Loop BB1_280 Depth=1
                                        ; =>  This Inner Loop Header: Depth=2
	v_add_co_u32 v18, vcc_lo, v16, s10
	v_add_co_ci_u32_e64 v19, null, s11, v17, vcc_lo
	s_add_u32 s10, s10, 1
	s_addc_u32 s11, s11, 0
	v_cmp_eq_u32_e32 vcc_lo, s10, v6
	global_load_ubyte v18, v[18:19], off
	v_mov_b32_e32 v19, s16
	s_waitcnt vmcnt(0)
	v_and_b32_e32 v18, 0xffff, v18
	v_lshlrev_b64 v[18:19], s4, v[18:19]
	s_add_u32 s4, s4, 8
	s_addc_u32 s5, s5, 0
	s_or_b32 s17, vcc_lo, s17
	v_or_b32_e32 v15, v19, v15
	v_or_b32_e32 v14, v18, v14
	s_andn2_b32 exec_lo, exec_lo, s17
	s_cbranch_execnz .LBB1_307
; %bb.308:                              ;   in Loop: Header=BB1_280 Depth=1
	s_or_b32 exec_lo, exec_lo, s17
.LBB1_309:                              ;   in Loop: Header=BB1_280 Depth=1
	s_or_b32 exec_lo, exec_lo, s13
	v_mov_b32_e32 v19, v17
	v_mov_b32_e32 v18, v16
                                        ; implicit-def: $vgpr6
.LBB1_310:                              ;   in Loop: Header=BB1_280 Depth=1
	s_or_saveexec_b32 s4, s12
	v_mov_b32_e32 v22, 0
	s_xor_b32 exec_lo, exec_lo, s4
	s_cbranch_execz .LBB1_312
; %bb.311:                              ;   in Loop: Header=BB1_280 Depth=1
	global_load_dwordx2 v[14:15], v[16:17], off
	v_add_nc_u32_e32 v22, -8, v6
.LBB1_312:                              ;   in Loop: Header=BB1_280 Depth=1
	s_or_b32 exec_lo, exec_lo, s4
	v_add_co_u32 v20, s4, v18, 8
	v_add_co_ci_u32_e64 v21, null, 0, v19, s4
	s_mov_b32 s4, exec_lo
	v_cmpx_gt_u32_e32 8, v22
	s_xor_b32 s12, exec_lo, s4
	s_cbranch_execz .LBB1_318
; %bb.313:                              ;   in Loop: Header=BB1_280 Depth=1
	v_mov_b32_e32 v16, 0
	v_mov_b32_e32 v17, 0
	s_mov_b32 s13, exec_lo
	v_cmpx_ne_u32_e32 0, v22
	s_cbranch_execz .LBB1_317
; %bb.314:                              ;   in Loop: Header=BB1_280 Depth=1
	v_mov_b32_e32 v16, 0
	v_mov_b32_e32 v17, 0
	s_mov_b64 s[4:5], 0
	s_mov_b32 s17, 0
	s_mov_b64 s[10:11], 0
	.p2align	6
.LBB1_315:                              ;   Parent Loop BB1_280 Depth=1
                                        ; =>  This Inner Loop Header: Depth=2
	v_add_co_u32 v20, vcc_lo, v18, s10
	v_add_co_ci_u32_e64 v21, null, s11, v19, vcc_lo
	s_add_u32 s10, s10, 1
	s_addc_u32 s11, s11, 0
	v_cmp_eq_u32_e32 vcc_lo, s10, v22
	global_load_ubyte v6, v[20:21], off
	v_mov_b32_e32 v21, s16
	s_waitcnt vmcnt(0)
	v_and_b32_e32 v20, 0xffff, v6
	v_lshlrev_b64 v[20:21], s4, v[20:21]
	s_add_u32 s4, s4, 8
	s_addc_u32 s5, s5, 0
	s_or_b32 s17, vcc_lo, s17
	v_or_b32_e32 v17, v21, v17
	v_or_b32_e32 v16, v20, v16
	s_andn2_b32 exec_lo, exec_lo, s17
	s_cbranch_execnz .LBB1_315
; %bb.316:                              ;   in Loop: Header=BB1_280 Depth=1
	s_or_b32 exec_lo, exec_lo, s17
.LBB1_317:                              ;   in Loop: Header=BB1_280 Depth=1
	s_or_b32 exec_lo, exec_lo, s13
	v_mov_b32_e32 v21, v19
	v_mov_b32_e32 v20, v18
                                        ; implicit-def: $vgpr22
.LBB1_318:                              ;   in Loop: Header=BB1_280 Depth=1
	s_or_saveexec_b32 s4, s12
	v_mov_b32_e32 v6, 0
	s_xor_b32 exec_lo, exec_lo, s4
	s_cbranch_execz .LBB1_320
; %bb.319:                              ;   in Loop: Header=BB1_280 Depth=1
	global_load_dwordx2 v[16:17], v[18:19], off
	v_add_nc_u32_e32 v6, -8, v22
.LBB1_320:                              ;   in Loop: Header=BB1_280 Depth=1
	s_or_b32 exec_lo, exec_lo, s4
	v_add_co_u32 v22, s4, v20, 8
	v_add_co_ci_u32_e64 v23, null, 0, v21, s4
                                        ; implicit-def: $vgpr18_vgpr19
	s_mov_b32 s4, exec_lo
	v_cmpx_gt_u32_e32 8, v6
	s_xor_b32 s12, exec_lo, s4
	s_cbranch_execz .LBB1_326
; %bb.321:                              ;   in Loop: Header=BB1_280 Depth=1
	v_mov_b32_e32 v18, 0
	v_mov_b32_e32 v19, 0
	s_mov_b32 s13, exec_lo
	v_cmpx_ne_u32_e32 0, v6
	s_cbranch_execz .LBB1_325
; %bb.322:                              ;   in Loop: Header=BB1_280 Depth=1
	v_mov_b32_e32 v18, 0
	v_mov_b32_e32 v19, 0
	s_mov_b64 s[4:5], 0
	s_mov_b32 s17, 0
	s_mov_b64 s[10:11], 0
	.p2align	6
.LBB1_323:                              ;   Parent Loop BB1_280 Depth=1
                                        ; =>  This Inner Loop Header: Depth=2
	v_add_co_u32 v22, vcc_lo, v20, s10
	v_add_co_ci_u32_e64 v23, null, s11, v21, vcc_lo
	s_add_u32 s10, s10, 1
	s_addc_u32 s11, s11, 0
	v_cmp_eq_u32_e32 vcc_lo, s10, v6
	global_load_ubyte v22, v[22:23], off
	v_mov_b32_e32 v23, s16
	s_waitcnt vmcnt(0)
	v_and_b32_e32 v22, 0xffff, v22
	v_lshlrev_b64 v[22:23], s4, v[22:23]
	s_add_u32 s4, s4, 8
	s_addc_u32 s5, s5, 0
	s_or_b32 s17, vcc_lo, s17
	v_or_b32_e32 v19, v23, v19
	v_or_b32_e32 v18, v22, v18
	s_andn2_b32 exec_lo, exec_lo, s17
	s_cbranch_execnz .LBB1_323
; %bb.324:                              ;   in Loop: Header=BB1_280 Depth=1
	s_or_b32 exec_lo, exec_lo, s17
.LBB1_325:                              ;   in Loop: Header=BB1_280 Depth=1
	s_or_b32 exec_lo, exec_lo, s13
	v_mov_b32_e32 v23, v21
	v_mov_b32_e32 v22, v20
                                        ; implicit-def: $vgpr6
.LBB1_326:                              ;   in Loop: Header=BB1_280 Depth=1
	s_or_saveexec_b32 s4, s12
	v_mov_b32_e32 v24, 0
	s_xor_b32 exec_lo, exec_lo, s4
	s_cbranch_execz .LBB1_328
; %bb.327:                              ;   in Loop: Header=BB1_280 Depth=1
	global_load_dwordx2 v[18:19], v[20:21], off
	v_add_nc_u32_e32 v24, -8, v6
.LBB1_328:                              ;   in Loop: Header=BB1_280 Depth=1
	s_or_b32 exec_lo, exec_lo, s4
	s_mov_b32 s4, exec_lo
	v_cmpx_gt_u32_e32 8, v24
	s_xor_b32 s10, exec_lo, s4
	s_cbranch_execz .LBB1_334
; %bb.329:                              ;   in Loop: Header=BB1_280 Depth=1
	v_mov_b32_e32 v20, 0
	v_mov_b32_e32 v21, 0
	s_mov_b32 s11, exec_lo
	v_cmpx_ne_u32_e32 0, v24
	s_cbranch_execz .LBB1_333
; %bb.330:                              ;   in Loop: Header=BB1_280 Depth=1
	v_mov_b32_e32 v20, 0
	v_mov_b32_e32 v21, 0
	s_mov_b64 s[4:5], 0
	s_mov_b32 s12, 0
	.p2align	6
.LBB1_331:                              ;   Parent Loop BB1_280 Depth=1
                                        ; =>  This Inner Loop Header: Depth=2
	global_load_ubyte v6, v[22:23], off
	v_mov_b32_e32 v31, s16
	v_add_nc_u32_e32 v24, -1, v24
	v_add_co_u32 v22, vcc_lo, v22, 1
	v_add_co_ci_u32_e64 v23, null, 0, v23, vcc_lo
	v_cmp_eq_u32_e32 vcc_lo, 0, v24
	s_waitcnt vmcnt(0)
	v_and_b32_e32 v30, 0xffff, v6
	v_lshlrev_b64 v[30:31], s4, v[30:31]
	s_add_u32 s4, s4, 8
	s_addc_u32 s5, s5, 0
	s_or_b32 s12, vcc_lo, s12
	v_or_b32_e32 v21, v31, v21
	v_or_b32_e32 v20, v30, v20
	s_andn2_b32 exec_lo, exec_lo, s12
	s_cbranch_execnz .LBB1_331
; %bb.332:                              ;   in Loop: Header=BB1_280 Depth=1
	s_or_b32 exec_lo, exec_lo, s12
.LBB1_333:                              ;   in Loop: Header=BB1_280 Depth=1
	s_or_b32 exec_lo, exec_lo, s11
                                        ; implicit-def: $vgpr22_vgpr23
.LBB1_334:                              ;   in Loop: Header=BB1_280 Depth=1
	s_andn2_saveexec_b32 s4, s10
	s_cbranch_execz .LBB1_336
; %bb.335:                              ;   in Loop: Header=BB1_280 Depth=1
	global_load_dwordx2 v[20:21], v[22:23], off
.LBB1_336:                              ;   in Loop: Header=BB1_280 Depth=1
	s_or_b32 exec_lo, exec_lo, s4
	v_readfirstlane_b32 s4, v32
	v_mov_b32_e32 v30, 0
	v_mov_b32_e32 v31, 0
	v_cmp_eq_u32_e64 s4, s4, v32
	s_and_saveexec_b32 s5, s4
	s_cbranch_execz .LBB1_342
; %bb.337:                              ;   in Loop: Header=BB1_280 Depth=1
	global_load_dwordx2 v[24:25], v7, s[6:7] offset:24 glc dlc
	s_waitcnt vmcnt(0)
	buffer_gl1_inv
	buffer_gl0_inv
	s_clause 0x1
	global_load_dwordx2 v[22:23], v7, s[6:7] offset:40
	global_load_dwordx2 v[30:31], v7, s[6:7]
	s_mov_b32 s10, exec_lo
	s_waitcnt vmcnt(1)
	v_and_b32_e32 v6, v23, v25
	v_and_b32_e32 v22, v22, v24
	v_mul_lo_u32 v6, v6, 24
	v_mul_hi_u32 v23, v22, 24
	v_mul_lo_u32 v22, v22, 24
	v_add_nc_u32_e32 v6, v23, v6
	s_waitcnt vmcnt(0)
	v_add_co_u32 v22, vcc_lo, v30, v22
	v_add_co_ci_u32_e64 v23, null, v31, v6, vcc_lo
	global_load_dwordx2 v[22:23], v[22:23], off glc dlc
	s_waitcnt vmcnt(0)
	global_atomic_cmpswap_x2 v[30:31], v7, v[22:25], s[6:7] offset:24 glc
	s_waitcnt vmcnt(0)
	buffer_gl1_inv
	buffer_gl0_inv
	v_cmpx_ne_u64_e64 v[30:31], v[24:25]
	s_cbranch_execz .LBB1_341
; %bb.338:                              ;   in Loop: Header=BB1_280 Depth=1
	s_mov_b32 s11, 0
	.p2align	6
.LBB1_339:                              ;   Parent Loop BB1_280 Depth=1
                                        ; =>  This Inner Loop Header: Depth=2
	s_sleep 1
	s_clause 0x1
	global_load_dwordx2 v[22:23], v7, s[6:7] offset:40
	global_load_dwordx2 v[35:36], v7, s[6:7]
	v_mov_b32_e32 v24, v30
	v_mov_b32_e32 v25, v31
	s_waitcnt vmcnt(1)
	v_and_b32_e32 v6, v22, v24
	v_and_b32_e32 v22, v23, v25
	s_waitcnt vmcnt(0)
	v_mad_u64_u32 v[30:31], null, v6, 24, v[35:36]
	v_mov_b32_e32 v6, v31
	v_mad_u64_u32 v[22:23], null, v22, 24, v[6:7]
	v_mov_b32_e32 v31, v22
	global_load_dwordx2 v[22:23], v[30:31], off glc dlc
	s_waitcnt vmcnt(0)
	global_atomic_cmpswap_x2 v[30:31], v7, v[22:25], s[6:7] offset:24 glc
	s_waitcnt vmcnt(0)
	buffer_gl1_inv
	buffer_gl0_inv
	v_cmp_eq_u64_e32 vcc_lo, v[30:31], v[24:25]
	s_or_b32 s11, vcc_lo, s11
	s_andn2_b32 exec_lo, exec_lo, s11
	s_cbranch_execnz .LBB1_339
; %bb.340:                              ;   in Loop: Header=BB1_280 Depth=1
	s_or_b32 exec_lo, exec_lo, s11
.LBB1_341:                              ;   in Loop: Header=BB1_280 Depth=1
	s_or_b32 exec_lo, exec_lo, s10
.LBB1_342:                              ;   in Loop: Header=BB1_280 Depth=1
	s_or_b32 exec_lo, exec_lo, s5
	s_clause 0x1
	global_load_dwordx2 v[35:36], v7, s[6:7] offset:40
	global_load_dwordx4 v[22:25], v7, s[6:7]
	v_readfirstlane_b32 s11, v31
	v_readfirstlane_b32 s10, v30
	s_mov_b32 s5, exec_lo
	s_waitcnt vmcnt(1)
	v_readfirstlane_b32 s12, v35
	v_readfirstlane_b32 s13, v36
	s_and_b64 s[12:13], s[12:13], s[10:11]
	s_mul_i32 s17, s13, 24
	s_mul_hi_u32 s18, s12, 24
	s_mul_i32 s19, s12, 24
	s_add_i32 s18, s18, s17
	s_waitcnt vmcnt(0)
	v_add_co_u32 v30, vcc_lo, v22, s19
	v_add_co_ci_u32_e64 v31, null, s18, v23, vcc_lo
	s_and_saveexec_b32 s17, s4
	s_cbranch_execz .LBB1_344
; %bb.343:                              ;   in Loop: Header=BB1_280 Depth=1
	v_mov_b32_e32 v6, s5
	global_store_dwordx4 v[30:31], v[6:9], off offset:8
.LBB1_344:                              ;   in Loop: Header=BB1_280 Depth=1
	s_or_b32 exec_lo, exec_lo, s17
	v_cmp_gt_u64_e32 vcc_lo, 57, v[26:27]
	s_lshl_b64 s[12:13], s[12:13], 12
	v_and_b32_e32 v0, 0xffffff1f, v0
	v_lshl_add_u32 v35, v28, 2, 28
	v_cndmask_b32_e32 v6, 0, v34, vcc_lo
	v_add_co_u32 v24, vcc_lo, v24, s12
	v_add_co_ci_u32_e64 v25, null, s13, v25, vcc_lo
	v_or_b32_e32 v0, v0, v6
	v_readfirstlane_b32 s12, v24
	v_readfirstlane_b32 s13, v25
	v_and_or_b32 v0, 0x1e0, v35, v0
	global_store_dwordx4 v33, v[10:13], s[12:13] offset:16
	global_store_dwordx4 v33, v[14:17], s[12:13] offset:32
	global_store_dwordx4 v33, v[0:3], s[12:13]
	global_store_dwordx4 v33, v[18:21], s[12:13] offset:48
	s_and_saveexec_b32 s5, s4
	s_cbranch_execz .LBB1_352
; %bb.345:                              ;   in Loop: Header=BB1_280 Depth=1
	s_clause 0x1
	global_load_dwordx2 v[14:15], v7, s[6:7] offset:32 glc dlc
	global_load_dwordx2 v[0:1], v7, s[6:7] offset:40
	v_mov_b32_e32 v12, s10
	v_mov_b32_e32 v13, s11
	s_waitcnt vmcnt(0)
	v_readfirstlane_b32 s12, v0
	v_readfirstlane_b32 s13, v1
	s_and_b64 s[12:13], s[12:13], s[10:11]
	s_mul_i32 s13, s13, 24
	s_mul_hi_u32 s17, s12, 24
	s_mul_i32 s12, s12, 24
	s_add_i32 s17, s17, s13
	v_add_co_u32 v10, vcc_lo, v22, s12
	v_add_co_ci_u32_e64 v11, null, s17, v23, vcc_lo
	s_mov_b32 s12, exec_lo
	global_store_dwordx2 v[10:11], v[14:15], off
	s_waitcnt_vscnt null, 0x0
	global_atomic_cmpswap_x2 v[2:3], v7, v[12:15], s[6:7] offset:32 glc
	s_waitcnt vmcnt(0)
	v_cmpx_ne_u64_e64 v[2:3], v[14:15]
	s_cbranch_execz .LBB1_348
; %bb.346:                              ;   in Loop: Header=BB1_280 Depth=1
	s_mov_b32 s13, 0
.LBB1_347:                              ;   Parent Loop BB1_280 Depth=1
                                        ; =>  This Inner Loop Header: Depth=2
	v_mov_b32_e32 v0, s10
	v_mov_b32_e32 v1, s11
	s_sleep 1
	global_store_dwordx2 v[10:11], v[2:3], off
	s_waitcnt_vscnt null, 0x0
	global_atomic_cmpswap_x2 v[0:1], v7, v[0:3], s[6:7] offset:32 glc
	s_waitcnt vmcnt(0)
	v_cmp_eq_u64_e32 vcc_lo, v[0:1], v[2:3]
	v_mov_b32_e32 v3, v1
	v_mov_b32_e32 v2, v0
	s_or_b32 s13, vcc_lo, s13
	s_andn2_b32 exec_lo, exec_lo, s13
	s_cbranch_execnz .LBB1_347
.LBB1_348:                              ;   in Loop: Header=BB1_280 Depth=1
	s_or_b32 exec_lo, exec_lo, s12
	global_load_dwordx2 v[0:1], v7, s[6:7] offset:16
	s_mov_b32 s13, exec_lo
	s_mov_b32 s12, exec_lo
	v_mbcnt_lo_u32_b32 v2, s13, 0
	v_cmpx_eq_u32_e32 0, v2
	s_cbranch_execz .LBB1_350
; %bb.349:                              ;   in Loop: Header=BB1_280 Depth=1
	s_bcnt1_i32_b32 s13, s13
	v_mov_b32_e32 v6, s13
	s_waitcnt vmcnt(0)
	global_atomic_add_x2 v[0:1], v[6:7], off offset:8
.LBB1_350:                              ;   in Loop: Header=BB1_280 Depth=1
	s_or_b32 exec_lo, exec_lo, s12
	s_waitcnt vmcnt(0)
	global_load_dwordx2 v[2:3], v[0:1], off offset:16
	s_waitcnt vmcnt(0)
	v_cmp_eq_u64_e32 vcc_lo, 0, v[2:3]
	s_cbranch_vccnz .LBB1_352
; %bb.351:                              ;   in Loop: Header=BB1_280 Depth=1
	global_load_dword v6, v[0:1], off offset:24
	s_waitcnt vmcnt(0)
	v_readfirstlane_b32 s12, v6
	s_waitcnt_vscnt null, 0x0
	global_store_dwordx2 v[2:3], v[6:7], off
	s_and_b32 m0, s12, 0x7fffff
	s_sendmsg sendmsg(MSG_INTERRUPT)
.LBB1_352:                              ;   in Loop: Header=BB1_280 Depth=1
	s_or_b32 exec_lo, exec_lo, s5
	v_add_co_u32 v0, vcc_lo, v24, v33
	v_add_co_ci_u32_e64 v1, null, 0, v25, vcc_lo
	s_branch .LBB1_356
	.p2align	6
.LBB1_353:                              ;   in Loop: Header=BB1_356 Depth=2
	s_or_b32 exec_lo, exec_lo, s5
	v_readfirstlane_b32 s5, v2
	s_cmp_eq_u32 s5, 0
	s_cbranch_scc1 .LBB1_355
; %bb.354:                              ;   in Loop: Header=BB1_356 Depth=2
	s_sleep 1
	s_cbranch_execnz .LBB1_356
	s_branch .LBB1_358
	.p2align	6
.LBB1_355:                              ;   in Loop: Header=BB1_280 Depth=1
	s_branch .LBB1_358
.LBB1_356:                              ;   Parent Loop BB1_280 Depth=1
                                        ; =>  This Inner Loop Header: Depth=2
	v_mov_b32_e32 v2, 1
	s_and_saveexec_b32 s5, s4
	s_cbranch_execz .LBB1_353
; %bb.357:                              ;   in Loop: Header=BB1_356 Depth=2
	global_load_dword v2, v[30:31], off offset:20 glc dlc
	s_waitcnt vmcnt(0)
	buffer_gl1_inv
	buffer_gl0_inv
	v_and_b32_e32 v2, 1, v2
	s_branch .LBB1_353
.LBB1_358:                              ;   in Loop: Header=BB1_280 Depth=1
	global_load_dwordx2 v[0:1], v[0:1], off
	s_and_saveexec_b32 s12, s4
	s_cbranch_execz .LBB1_279
; %bb.359:                              ;   in Loop: Header=BB1_280 Depth=1
	s_clause 0x2
	global_load_dwordx2 v[2:3], v7, s[6:7] offset:40
	global_load_dwordx2 v[14:15], v7, s[6:7] offset:24 glc dlc
	global_load_dwordx2 v[10:11], v7, s[6:7]
	s_waitcnt vmcnt(2)
	v_readfirstlane_b32 s18, v2
	v_readfirstlane_b32 s19, v3
	s_add_u32 s13, s18, 1
	s_addc_u32 s17, s19, 0
	s_add_u32 s4, s13, s10
	s_addc_u32 s5, s17, s11
	s_cmp_eq_u64 s[4:5], 0
	s_cselect_b32 s5, s17, s5
	s_cselect_b32 s4, s13, s4
	v_mov_b32_e32 v13, s5
	s_and_b64 s[10:11], s[4:5], s[18:19]
	v_mov_b32_e32 v12, s4
	s_mul_i32 s11, s11, 24
	s_mul_hi_u32 s13, s10, 24
	s_mul_i32 s10, s10, 24
	s_add_i32 s13, s13, s11
	s_waitcnt vmcnt(0)
	v_add_co_u32 v2, vcc_lo, v10, s10
	v_add_co_ci_u32_e64 v3, null, s13, v11, vcc_lo
	global_store_dwordx2 v[2:3], v[14:15], off
	s_waitcnt_vscnt null, 0x0
	global_atomic_cmpswap_x2 v[12:13], v7, v[12:15], s[6:7] offset:24 glc
	s_waitcnt vmcnt(0)
	v_cmp_ne_u64_e32 vcc_lo, v[12:13], v[14:15]
	s_and_b32 exec_lo, exec_lo, vcc_lo
	s_cbranch_execz .LBB1_279
; %bb.360:                              ;   in Loop: Header=BB1_280 Depth=1
	s_mov_b32 s10, 0
.LBB1_361:                              ;   Parent Loop BB1_280 Depth=1
                                        ; =>  This Inner Loop Header: Depth=2
	v_mov_b32_e32 v10, s4
	v_mov_b32_e32 v11, s5
	s_sleep 1
	global_store_dwordx2 v[2:3], v[12:13], off
	s_waitcnt_vscnt null, 0x0
	global_atomic_cmpswap_x2 v[10:11], v7, v[10:13], s[6:7] offset:24 glc
	s_waitcnt vmcnt(0)
	v_cmp_eq_u64_e32 vcc_lo, v[10:11], v[12:13]
	v_mov_b32_e32 v13, v11
	v_mov_b32_e32 v12, v10
	s_or_b32 s10, vcc_lo, s10
	s_andn2_b32 exec_lo, exec_lo, s10
	s_cbranch_execnz .LBB1_361
	s_branch .LBB1_279
.LBB1_362:
	s_or_b32 exec_lo, exec_lo, s15
                                        ; implicit-def: $vgpr33
                                        ; implicit-def: $vgpr32
.LBB1_363:
	s_andn2_saveexec_b32 s14, s14
	s_cbranch_execz .LBB1_391
; %bb.364:
	v_readfirstlane_b32 s4, v32
	v_mov_b32_e32 v8, 0
	v_mov_b32_e32 v9, 0
	v_cmp_eq_u32_e64 s4, s4, v32
	s_and_saveexec_b32 s5, s4
	s_cbranch_execz .LBB1_370
; %bb.365:
	v_mov_b32_e32 v2, 0
	s_mov_b32 s10, exec_lo
	global_load_dwordx2 v[5:6], v2, s[6:7] offset:24 glc dlc
	s_waitcnt vmcnt(0)
	buffer_gl1_inv
	buffer_gl0_inv
	s_clause 0x1
	global_load_dwordx2 v[3:4], v2, s[6:7] offset:40
	global_load_dwordx2 v[7:8], v2, s[6:7]
	s_waitcnt vmcnt(1)
	v_and_b32_e32 v4, v4, v6
	v_and_b32_e32 v3, v3, v5
	v_mul_lo_u32 v4, v4, 24
	v_mul_hi_u32 v9, v3, 24
	v_mul_lo_u32 v3, v3, 24
	v_add_nc_u32_e32 v4, v9, v4
	s_waitcnt vmcnt(0)
	v_add_co_u32 v3, vcc_lo, v7, v3
	v_add_co_ci_u32_e64 v4, null, v8, v4, vcc_lo
	global_load_dwordx2 v[3:4], v[3:4], off glc dlc
	s_waitcnt vmcnt(0)
	global_atomic_cmpswap_x2 v[8:9], v2, v[3:6], s[6:7] offset:24 glc
	s_waitcnt vmcnt(0)
	buffer_gl1_inv
	buffer_gl0_inv
	v_cmpx_ne_u64_e64 v[8:9], v[5:6]
	s_cbranch_execz .LBB1_369
; %bb.366:
	s_mov_b32 s11, 0
	.p2align	6
.LBB1_367:                              ; =>This Inner Loop Header: Depth=1
	s_sleep 1
	s_clause 0x1
	global_load_dwordx2 v[3:4], v2, s[6:7] offset:40
	global_load_dwordx2 v[10:11], v2, s[6:7]
	v_mov_b32_e32 v5, v8
	v_mov_b32_e32 v6, v9
	s_waitcnt vmcnt(1)
	v_and_b32_e32 v3, v3, v5
	v_and_b32_e32 v4, v4, v6
	s_waitcnt vmcnt(0)
	v_mad_u64_u32 v[7:8], null, v3, 24, v[10:11]
	v_mov_b32_e32 v3, v8
	v_mad_u64_u32 v[3:4], null, v4, 24, v[3:4]
	v_mov_b32_e32 v8, v3
	global_load_dwordx2 v[3:4], v[7:8], off glc dlc
	s_waitcnt vmcnt(0)
	global_atomic_cmpswap_x2 v[8:9], v2, v[3:6], s[6:7] offset:24 glc
	s_waitcnt vmcnt(0)
	buffer_gl1_inv
	buffer_gl0_inv
	v_cmp_eq_u64_e32 vcc_lo, v[8:9], v[5:6]
	s_or_b32 s11, vcc_lo, s11
	s_andn2_b32 exec_lo, exec_lo, s11
	s_cbranch_execnz .LBB1_367
; %bb.368:
	s_or_b32 exec_lo, exec_lo, s11
.LBB1_369:
	s_or_b32 exec_lo, exec_lo, s10
.LBB1_370:
	s_or_b32 exec_lo, exec_lo, s5
	v_mov_b32_e32 v2, 0
	v_readfirstlane_b32 s11, v9
	v_readfirstlane_b32 s10, v8
	s_mov_b32 s5, exec_lo
	s_clause 0x1
	global_load_dwordx2 v[10:11], v2, s[6:7] offset:40
	global_load_dwordx4 v[4:7], v2, s[6:7]
	s_waitcnt vmcnt(1)
	v_readfirstlane_b32 s12, v10
	v_readfirstlane_b32 s13, v11
	s_and_b64 s[12:13], s[12:13], s[10:11]
	s_mul_i32 s15, s13, 24
	s_mul_hi_u32 s16, s12, 24
	s_mul_i32 s17, s12, 24
	s_add_i32 s16, s16, s15
	s_waitcnt vmcnt(0)
	v_add_co_u32 v8, vcc_lo, v4, s17
	v_add_co_ci_u32_e64 v9, null, s16, v5, vcc_lo
	s_and_saveexec_b32 s15, s4
	s_cbranch_execz .LBB1_372
; %bb.371:
	v_mov_b32_e32 v10, s5
	v_mov_b32_e32 v11, v2
	;; [unrolled: 1-line block ×4, first 2 shown]
	global_store_dwordx4 v[8:9], v[10:13], off offset:8
.LBB1_372:
	s_or_b32 exec_lo, exec_lo, s15
	s_lshl_b64 s[12:13], s[12:13], 12
	s_mov_b32 s16, 0
	v_add_co_u32 v6, vcc_lo, v6, s12
	v_add_co_ci_u32_e64 v7, null, s13, v7, vcc_lo
	s_mov_b32 s17, s16
	v_readfirstlane_b32 s12, v6
	v_add_co_u32 v6, vcc_lo, v6, v33
	s_mov_b32 s18, s16
	s_mov_b32 s19, s16
	v_and_or_b32 v0, 0xffffff1f, v0, 32
	v_mov_b32_e32 v3, v2
	v_readfirstlane_b32 s13, v7
	v_mov_b32_e32 v10, s16
	v_add_co_ci_u32_e64 v7, null, 0, v7, vcc_lo
	v_mov_b32_e32 v11, s17
	v_mov_b32_e32 v12, s18
	;; [unrolled: 1-line block ×3, first 2 shown]
	global_store_dwordx4 v33, v[0:3], s[12:13]
	global_store_dwordx4 v33, v[10:13], s[12:13] offset:16
	global_store_dwordx4 v33, v[10:13], s[12:13] offset:32
	;; [unrolled: 1-line block ×3, first 2 shown]
	s_and_saveexec_b32 s5, s4
	s_cbranch_execz .LBB1_380
; %bb.373:
	v_mov_b32_e32 v10, 0
	v_mov_b32_e32 v11, s10
	;; [unrolled: 1-line block ×3, first 2 shown]
	s_clause 0x1
	global_load_dwordx2 v[13:14], v10, s[6:7] offset:32 glc dlc
	global_load_dwordx2 v[0:1], v10, s[6:7] offset:40
	s_waitcnt vmcnt(0)
	v_readfirstlane_b32 s12, v0
	v_readfirstlane_b32 s13, v1
	s_and_b64 s[12:13], s[12:13], s[10:11]
	s_mul_i32 s13, s13, 24
	s_mul_hi_u32 s15, s12, 24
	s_mul_i32 s12, s12, 24
	s_add_i32 s15, s15, s13
	v_add_co_u32 v4, vcc_lo, v4, s12
	v_add_co_ci_u32_e64 v5, null, s15, v5, vcc_lo
	s_mov_b32 s12, exec_lo
	global_store_dwordx2 v[4:5], v[13:14], off
	s_waitcnt_vscnt null, 0x0
	global_atomic_cmpswap_x2 v[2:3], v10, v[11:14], s[6:7] offset:32 glc
	s_waitcnt vmcnt(0)
	v_cmpx_ne_u64_e64 v[2:3], v[13:14]
	s_cbranch_execz .LBB1_376
; %bb.374:
	s_mov_b32 s13, 0
.LBB1_375:                              ; =>This Inner Loop Header: Depth=1
	v_mov_b32_e32 v0, s10
	v_mov_b32_e32 v1, s11
	s_sleep 1
	global_store_dwordx2 v[4:5], v[2:3], off
	s_waitcnt_vscnt null, 0x0
	global_atomic_cmpswap_x2 v[0:1], v10, v[0:3], s[6:7] offset:32 glc
	s_waitcnt vmcnt(0)
	v_cmp_eq_u64_e32 vcc_lo, v[0:1], v[2:3]
	v_mov_b32_e32 v3, v1
	v_mov_b32_e32 v2, v0
	s_or_b32 s13, vcc_lo, s13
	s_andn2_b32 exec_lo, exec_lo, s13
	s_cbranch_execnz .LBB1_375
.LBB1_376:
	s_or_b32 exec_lo, exec_lo, s12
	v_mov_b32_e32 v3, 0
	s_mov_b32 s13, exec_lo
	s_mov_b32 s12, exec_lo
	v_mbcnt_lo_u32_b32 v2, s13, 0
	global_load_dwordx2 v[0:1], v3, s[6:7] offset:16
	v_cmpx_eq_u32_e32 0, v2
	s_cbranch_execz .LBB1_378
; %bb.377:
	s_bcnt1_i32_b32 s13, s13
	v_mov_b32_e32 v2, s13
	s_waitcnt vmcnt(0)
	global_atomic_add_x2 v[0:1], v[2:3], off offset:8
.LBB1_378:
	s_or_b32 exec_lo, exec_lo, s12
	s_waitcnt vmcnt(0)
	global_load_dwordx2 v[2:3], v[0:1], off offset:16
	s_waitcnt vmcnt(0)
	v_cmp_eq_u64_e32 vcc_lo, 0, v[2:3]
	s_cbranch_vccnz .LBB1_380
; %bb.379:
	global_load_dword v0, v[0:1], off offset:24
	v_mov_b32_e32 v1, 0
	s_waitcnt vmcnt(0)
	v_readfirstlane_b32 s12, v0
	s_waitcnt_vscnt null, 0x0
	global_store_dwordx2 v[2:3], v[0:1], off
	s_and_b32 m0, s12, 0x7fffff
	s_sendmsg sendmsg(MSG_INTERRUPT)
.LBB1_380:
	s_or_b32 exec_lo, exec_lo, s5
	s_branch .LBB1_384
	.p2align	6
.LBB1_381:                              ;   in Loop: Header=BB1_384 Depth=1
	s_or_b32 exec_lo, exec_lo, s5
	v_readfirstlane_b32 s5, v0
	s_cmp_eq_u32 s5, 0
	s_cbranch_scc1 .LBB1_383
; %bb.382:                              ;   in Loop: Header=BB1_384 Depth=1
	s_sleep 1
	s_cbranch_execnz .LBB1_384
	s_branch .LBB1_386
	.p2align	6
.LBB1_383:
	s_branch .LBB1_386
.LBB1_384:                              ; =>This Inner Loop Header: Depth=1
	v_mov_b32_e32 v0, 1
	s_and_saveexec_b32 s5, s4
	s_cbranch_execz .LBB1_381
; %bb.385:                              ;   in Loop: Header=BB1_384 Depth=1
	global_load_dword v0, v[8:9], off offset:20 glc dlc
	s_waitcnt vmcnt(0)
	buffer_gl1_inv
	buffer_gl0_inv
	v_and_b32_e32 v0, 1, v0
	s_branch .LBB1_381
.LBB1_386:
	global_load_dwordx2 v[0:1], v[6:7], off
	s_and_saveexec_b32 s12, s4
	s_cbranch_execz .LBB1_390
; %bb.387:
	v_mov_b32_e32 v8, 0
	s_clause 0x2
	global_load_dwordx2 v[2:3], v8, s[6:7] offset:40
	global_load_dwordx2 v[11:12], v8, s[6:7] offset:24 glc dlc
	global_load_dwordx2 v[4:5], v8, s[6:7]
	s_waitcnt vmcnt(2)
	v_readfirstlane_b32 s16, v2
	v_readfirstlane_b32 s17, v3
	s_add_u32 s13, s16, 1
	s_addc_u32 s15, s17, 0
	s_add_u32 s4, s13, s10
	s_addc_u32 s5, s15, s11
	s_cmp_eq_u64 s[4:5], 0
	s_cselect_b32 s5, s15, s5
	s_cselect_b32 s4, s13, s4
	v_mov_b32_e32 v10, s5
	s_and_b64 s[10:11], s[4:5], s[16:17]
	v_mov_b32_e32 v9, s4
	s_mul_i32 s11, s11, 24
	s_mul_hi_u32 s13, s10, 24
	s_mul_i32 s10, s10, 24
	s_add_i32 s13, s13, s11
	s_waitcnt vmcnt(0)
	v_add_co_u32 v6, vcc_lo, v4, s10
	v_add_co_ci_u32_e64 v7, null, s13, v5, vcc_lo
	global_store_dwordx2 v[6:7], v[11:12], off
	s_waitcnt_vscnt null, 0x0
	global_atomic_cmpswap_x2 v[4:5], v8, v[9:12], s[6:7] offset:24 glc
	s_waitcnt vmcnt(0)
	v_cmp_ne_u64_e32 vcc_lo, v[4:5], v[11:12]
	s_and_b32 exec_lo, exec_lo, vcc_lo
	s_cbranch_execz .LBB1_390
; %bb.388:
	s_mov_b32 s10, 0
.LBB1_389:                              ; =>This Inner Loop Header: Depth=1
	v_mov_b32_e32 v2, s4
	v_mov_b32_e32 v3, s5
	s_sleep 1
	global_store_dwordx2 v[6:7], v[4:5], off
	s_waitcnt_vscnt null, 0x0
	global_atomic_cmpswap_x2 v[2:3], v8, v[2:5], s[6:7] offset:24 glc
	s_waitcnt vmcnt(0)
	v_cmp_eq_u64_e32 vcc_lo, v[2:3], v[4:5]
	v_mov_b32_e32 v5, v3
	v_mov_b32_e32 v4, v2
	s_or_b32 s10, vcc_lo, s10
	s_andn2_b32 exec_lo, exec_lo, s10
	s_cbranch_execnz .LBB1_389
.LBB1_390:
	s_or_b32 exec_lo, exec_lo, s12
.LBB1_391:
	s_or_b32 exec_lo, exec_lo, s14
	s_getpc_b64 s[4:5]
	s_add_u32 s4, s4, .str.3@rel32@lo+4
	s_addc_u32 s5, s5, .str.3@rel32@hi+12
	s_getpc_b64 s[6:7]
	s_add_u32 s6, s6, .str.3@rel32@lo+32
	s_addc_u32 s7, s7, .str.3@rel32@hi+40
	s_sub_i32 s10, s6, s4
	s_getpc_b64 s[6:7]
	s_add_u32 s6, s6, __ockl_fprintf_append_string_n@rel32@lo+4
	s_addc_u32 s7, s7, __ockl_fprintf_append_string_n@rel32@hi+12
	s_ashr_i32 s11, s10, 31
	v_mov_b32_e32 v2, s4
	v_mov_b32_e32 v3, s5
	;; [unrolled: 1-line block ×5, first 2 shown]
	s_swappc_b64 s[30:31], s[6:7]
	s_trap 2
.Lfunc_end1:
	.size	__assert_fail, .Lfunc_end1-__assert_fail
                                        ; -- End function
	.set .L__assert_fail.num_vgpr, max(40, .L__ockl_fprintf_append_string_n.num_vgpr)
	.set .L__assert_fail.num_agpr, max(0, .L__ockl_fprintf_append_string_n.num_agpr)
	.set .L__assert_fail.numbered_sgpr, max(34, .L__ockl_fprintf_append_string_n.numbered_sgpr)
	.set .L__assert_fail.num_named_barrier, max(0, .L__ockl_fprintf_append_string_n.num_named_barrier)
	.set .L__assert_fail.private_seg_size, 64+max(.L__ockl_fprintf_append_string_n.private_seg_size)
	.set .L__assert_fail.uses_vcc, or(1, .L__ockl_fprintf_append_string_n.uses_vcc)
	.set .L__assert_fail.uses_flat_scratch, or(0, .L__ockl_fprintf_append_string_n.uses_flat_scratch)
	.set .L__assert_fail.has_dyn_sized_stack, or(0, .L__ockl_fprintf_append_string_n.has_dyn_sized_stack)
	.set .L__assert_fail.has_recursion, or(0, .L__ockl_fprintf_append_string_n.has_recursion)
	.set .L__assert_fail.has_indirect_call, or(0, .L__ockl_fprintf_append_string_n.has_indirect_call)
	.section	.AMDGPU.csdata,"",@progbits
; Function info:
; codeLenInByte = 15432
; TotalNumSgprs: 36
; NumVgprs: 40
; ScratchSize: 64
; MemoryBound: 0
	.text
	.p2align	2                               ; -- Begin function _ZN12_GLOBAL__N_17runRingI11rccl_float810FuncMinMaxIS1_E11ProtoSimpleILi2ELi2ELi0ELi1ELi0ELi0EELi0ELi0ELi1ELi0EEEviiP15ncclDevWorkColl
	.type	_ZN12_GLOBAL__N_17runRingI11rccl_float810FuncMinMaxIS1_E11ProtoSimpleILi2ELi2ELi0ELi1ELi0ELi0EELi0ELi0ELi1ELi0EEEviiP15ncclDevWorkColl,@function
_ZN12_GLOBAL__N_17runRingI11rccl_float810FuncMinMaxIS1_E11ProtoSimpleILi2ELi2ELi0ELi1ELi0ELi0EELi0ELi0ELi1ELi0EEEviiP15ncclDevWorkColl: ; @_ZN12_GLOBAL__N_17runRingI11rccl_float810FuncMinMaxIS1_E11ProtoSimpleILi2ELi2ELi0ELi1ELi0ELi0EELi0ELi0ELi1ELi0EEEviiP15ncclDevWorkColl
; %bb.0:
	s_waitcnt vmcnt(0) expcnt(0) lgkmcnt(0)
	s_mov_b32 s88, s33
	s_mov_b32 s33, s32
	s_or_saveexec_b32 s4, -1
	buffer_store_dword v109, off, s[0:3], s33 offset:148 ; 4-byte Folded Spill
	s_mov_b32 exec_lo, s4
	s_addk_i32 s32, 0x1400
	buffer_store_dword v40, off, s[0:3], s33 offset:144 ; 4-byte Folded Spill
	buffer_store_dword v41, off, s[0:3], s33 offset:140 ; 4-byte Folded Spill
	;; [unrolled: 1-line block ×36, first 2 shown]
	buffer_store_dword v108, off, s[0:3], s33 ; 4-byte Folded Spill
	v_writelane_b32 v109, s30, 0
	v_writelane_b32 v109, s31, 1
	s_trap 2
	flat_load_dword v9, v[2:3]
	ds_read_b32 v6, v0
                                        ; implicit-def: $vgpr14_vgpr15
                                        ; implicit-def: $vgpr16_vgpr17
                                        ; implicit-def: $vgpr4_vgpr5
	s_waitcnt lgkmcnt(0)
	v_readfirstlane_b32 s25, v6
	s_waitcnt vmcnt(0)
	v_cmp_ne_u32_sdwa s4, v6, v9 src0_sel:DWORD src1_sel:BYTE_0
	s_and_saveexec_b32 s5, s4
	s_xor_b32 s4, exec_lo, s5
	s_cbranch_execz .LBB2_6
; %bb.1:
	v_not_b32_sdwa v8, v9 dst_sel:DWORD dst_unused:UNUSED_PAD src0_sel:BYTE_0
	v_cmp_ne_u32_sdwa s5, v6, v9 src0_sel:DWORD src1_sel:BYTE_1
                                        ; implicit-def: $vgpr14_vgpr15
                                        ; implicit-def: $vgpr16_vgpr17
                                        ; implicit-def: $vgpr4_vgpr5
	s_and_saveexec_b32 s6, s5
	s_xor_b32 s5, exec_lo, s6
	s_cbranch_execz .LBB2_3
; %bb.2:
	s_clause 0x1
	flat_load_dwordx4 v[9:12], v[2:3] offset:72
	flat_load_dwordx2 v[4:5], v[2:3] offset:96
	v_add_nc_u32_e32 v6, v6, v8
                                        ; implicit-def: $vgpr8
	v_ashrrev_i32_e32 v7, 31, v6
	s_waitcnt vmcnt(1) lgkmcnt(1)
	v_mul_lo_u32 v7, v11, v7
	v_mad_u64_u32 v[16:17], null, v11, v6, v[9:10]
	v_mul_lo_u32 v6, v12, v6
	s_waitcnt vmcnt(0) lgkmcnt(0)
	v_lshrrev_b64 v[14:15], 12, v[4:5]
	v_mov_b32_e32 v4, v11
	v_mov_b32_e32 v5, v12
                                        ; implicit-def: $vgpr9
	v_add3_u32 v17, v6, v17, v7
.LBB2_3:
	s_andn2_saveexec_b32 s5, s5
	s_cbranch_execz .LBB2_5
; %bb.4:
	s_clause 0x1
	flat_load_dwordx4 v[10:13], v[2:3] offset:72
	flat_load_dwordx4 v[4:7], v[2:3] offset:88
	s_waitcnt vmcnt(0) lgkmcnt(0)
	v_add_nc_u32_sdwa v6, v9, v8 dst_sel:DWORD dst_unused:UNUSED_PAD src0_sel:BYTE_1 src1_sel:DWORD
	v_ashrrev_i32_e32 v8, 31, v6
	v_mul_lo_u32 v8, v12, v8
	v_mad_u64_u32 v[16:17], null, v12, v6, v[10:11]
	v_mul_lo_u32 v6, v13, v6
	v_lshrrev_b32_e32 v14, 1, v7
	v_add3_u32 v17, v6, v17, v8
.LBB2_5:
	s_or_b32 exec_lo, exec_lo, s5
.LBB2_6:
	s_andn2_saveexec_b32 s4, s4
	s_cbranch_execz .LBB2_8
; %bb.7:
	s_clause 0x1
	flat_load_dwordx2 v[6:7], v[2:3] offset:96
	flat_load_dwordx2 v[4:5], v[2:3] offset:72
	v_mov_b32_e32 v16, 0
	v_mov_b32_e32 v17, 0
	s_waitcnt vmcnt(1) lgkmcnt(1)
	v_lshlrev_b64 v[14:15], 9, v[6:7]
.LBB2_8:
	s_or_b32 exec_lo, exec_lo, s4
	s_trap 2
	ds_read_b64 v[6:7], v0
	s_mov_b32 s5, exec_lo
	s_waitcnt lgkmcnt(0)
	v_cmp_ne_u32_e32 vcc_lo, -1, v6
	v_cndmask_b32_e64 v15, 0, 1, vcc_lo
	v_cmp_ne_u32_e32 vcc_lo, -1, v7
	v_add_co_ci_u32_e64 v8, null, 0, v15, vcc_lo
	v_lshlrev_b32_e32 v6, 1, v8
	v_cmpx_le_u32_e64 v6, v1
	s_xor_b32 s24, exec_lo, s5
	s_cbranch_execnz .LBB2_9
; %bb.6659:
	s_getpc_b64 s[34:35]
.Lpost_getpc0:
	s_add_u32 s34, s34, (.LBB2_6656-.Lpost_getpc0)&4294967295
	s_addc_u32 s35, s35, (.LBB2_6656-.Lpost_getpc0)>>32
	s_setpc_b64 s[34:35]
.LBB2_9:
	s_clause 0x3
	flat_load_dwordx4 v[10:13], v[2:3] offset:16
	flat_load_dwordx2 v[28:29], v[2:3] offset:104
	flat_load_ushort v7, v[2:3] offset:8
	flat_load_dword v6, v[2:3] offset:4
	s_trap 2
	s_load_dword s4, s[8:9], 0x0
	v_mov_b32_e32 v9, 0
	v_mov_b32_e32 v84, 4
	s_waitcnt lgkmcnt(0)
	s_cmp_lt_u32 s12, s4
	s_cselect_b32 s4, 12, 18
	s_add_u32 s4, s8, s4
	s_addc_u32 s5, s9, 0
	global_load_ushort v30, v9, s[4:5]
	ds_read_b32 v9, v0
	s_mov_b32 s5, exec_lo
	s_waitcnt lgkmcnt(0)
	v_readfirstlane_b32 s15, v9
	v_cmpx_ge_u32_e64 v0, v15
	s_cbranch_execz .LBB2_19
; %bb.10:
	v_cmp_ge_u32_e64 s4, v0, v8
                                        ; implicit-def: $vgpr84
	s_and_saveexec_b32 s6, s4
	s_xor_b32 s4, exec_lo, s6
	s_cbranch_execz .LBB2_16
; %bb.11:
	v_cndmask_b32_e64 v9, 0, 1, vcc_lo
	s_mov_b32 s6, exec_lo
	v_sub_nc_u32_e32 v9, v1, v9
	v_cmpx_ge_u32_e64 v0, v9
	s_xor_b32 s6, exec_lo, s6
; %bb.12:
                                        ; implicit-def: $vgpr8
; %bb.13:
	s_or_saveexec_b32 s6, s6
	v_mov_b32_e32 v84, 16
	s_xor_b32 exec_lo, exec_lo, s6
; %bb.14:
	v_sub_nc_u32_e32 v8, v1, v8
	v_cmp_lt_i32_e32 vcc_lo, v0, v8
	v_cndmask_b32_e64 v84, 32, 0, vcc_lo
; %bb.15:
	s_or_b32 exec_lo, exec_lo, s6
.LBB2_16:
	s_andn2_saveexec_b32 s4, s4
; %bb.17:
	v_mov_b32_e32 v84, 8
; %bb.18:
	s_or_b32 exec_lo, exec_lo, s4
.LBB2_19:
	s_or_b32 exec_lo, exec_lo, s5
	v_and_b32_e32 v8, 36, v84
	v_cmp_ne_u32_e32 vcc_lo, 0, v8
	v_mov_b32_e32 v8, -1
	s_and_saveexec_b32 s4, vcc_lo
	s_cbranch_execz .LBB2_21
; %bb.20:
	s_trap 2
	ds_read_b32 v8, v0
.LBB2_21:
	s_or_b32 exec_lo, exec_lo, s4
	v_and_b32_e32 v9, 24, v84
	s_mov_b32 s5, exec_lo
	v_cmpx_ne_u32_e32 0, v9
	s_cbranch_execz .LBB2_23
; %bb.22:
	s_trap 2
	s_waitcnt lgkmcnt(0)
	ds_read_b32 v8, v0
.LBB2_23:
	s_or_b32 exec_lo, exec_lo, s5
	s_waitcnt vmcnt(1)
	v_lshrrev_b64 v[6:7], 31, v[6:7]
	v_mov_b32_e32 v20, 0
	v_mov_b32_e32 v21, 0
	s_waitcnt lgkmcnt(0)
	v_ashrrev_i32_e32 v9, 31, v8
                                        ; implicit-def: $vgpr85
                                        ; implicit-def: $vgpr50_vgpr51
                                        ; implicit-def: $vgpr24_vgpr25
                                        ; implicit-def: $vgpr32_vgpr33
                                        ; implicit-def: $vgpr22_vgpr23
	v_and_b32_e32 v18, 3, v6
	v_mov_b32_e32 v6, 0
	v_mov_b32_e32 v7, 0
	v_and_b32_e32 v34, 0xffff, v18
                                        ; implicit-def: $vgpr18_vgpr19
	s_and_saveexec_b32 s4, vcc_lo
	s_cbranch_execz .LBB2_33
; %bb.24:
	s_trap 2
	ds_read_b64 v[6:7], v0
	v_lshlrev_b64 v[18:19], 3, v[8:9]
	s_mov_b32 s5, exec_lo
	s_waitcnt lgkmcnt(0)
	v_add_co_u32 v6, vcc_lo, v6, v18
	v_add_co_ci_u32_e64 v7, null, v7, v19, vcc_lo
                                        ; implicit-def: $vgpr18_vgpr19
	flat_load_dwordx2 v[6:7], v[6:7]
	s_waitcnt vmcnt(0) lgkmcnt(0)
	v_mad_u64_u32 v[26:27], null, 0xa8, v34, v[6:7]
	flat_load_dword v6, v[26:27] offset:640
	s_waitcnt vmcnt(0) lgkmcnt(0)
	v_cmpx_eq_u32_e32 1, v6
	s_cbranch_execz .LBB2_26
; %bb.25:
	flat_load_dwordx2 v[18:19], v[26:27] offset:648
	v_or_b32_e32 v84, 0x2000, v84
	s_waitcnt vmcnt(0) lgkmcnt(0)
	flat_load_dwordx2 v[6:7], v[18:19]
	s_trap 2
	s_waitcnt vmcnt(0) lgkmcnt(0)
	ds_write_b64 v0, v[6:7]
	flat_load_dwordx2 v[6:7], v[18:19] offset:8
	s_waitcnt vmcnt(0) lgkmcnt(0)
	ds_write_b64 v0, v[6:7]
	flat_load_dwordx2 v[6:7], v[18:19] offset:16
	s_waitcnt vmcnt(0) lgkmcnt(0)
	ds_write_b64 v0, v[6:7]
.LBB2_26:
	s_or_b32 exec_lo, exec_lo, s5
	flat_load_dwordx2 v[6:7], v[26:27] offset:608
	v_and_b32_e32 v20, 32, v84
	s_mov_b32 s5, exec_lo
                                        ; implicit-def: $vgpr22_vgpr23
	s_waitcnt vmcnt(0) lgkmcnt(0)
	v_add_co_u32 v6, vcc_lo, v6, 3
	v_add_co_ci_u32_e64 v51, null, 0, v7, vcc_lo
	v_and_b32_e32 v50, -4, v6
	v_cmpx_ne_u32_e32 0, v20
	s_cbranch_execz .LBB2_28
; %bb.27:
	flat_load_dwordx2 v[22:23], v[26:27] offset:560
	s_waitcnt vmcnt(0) lgkmcnt(0)
	s_waitcnt_vscnt null, 0x0
	flat_store_dwordx2 v[22:23], v[50:51]
.LBB2_28:
	s_or_b32 exec_lo, exec_lo, s5
	v_and_b32_e32 v24, 4, v84
	v_add_co_u32 v20, vcc_lo, 0x1f8, v26
	v_mov_b32_e32 v6, 0
	v_add_co_ci_u32_e64 v21, null, 0, v27, vcc_lo
	v_mov_b32_e32 v7, 0
	v_cmp_ne_u32_e32 vcc_lo, 0, v24
                                        ; implicit-def: $vgpr85
                                        ; implicit-def: $vgpr24_vgpr25
                                        ; implicit-def: $vgpr32_vgpr33
	s_and_saveexec_b32 s5, vcc_lo
	s_cbranch_execz .LBB2_32
; %bb.29:
	v_and_b32_e32 v6, 0x800, v84
	s_mov_b32 s6, exec_lo
	v_cmpx_eq_u32_e32 0, v6
	s_cbranch_execz .LBB2_31
; %bb.30:
	s_trap 2
	ds_write_b64 v0, v[20:21]
.LBB2_31:
	s_or_b32 exec_lo, exec_lo, s6
	flat_load_dwordx2 v[22:23], v[26:27] offset:552
	s_waitcnt vmcnt(0) lgkmcnt(0)
	flat_load_dwordx2 v[32:33], v[22:23] glc dlc
	s_clause 0x2
	flat_load_dwordx2 v[6:7], v[26:27] offset:600
	flat_load_dword v85, v[26:27] offset:576
	flat_load_dwordx2 v[24:25], v[26:27] offset:520
	v_or_b32_e32 v26, 0x100, v84
	s_waitcnt vmcnt(2) lgkmcnt(2)
	v_cmp_eq_u64_e32 vcc_lo, 0, v[6:7]
	v_cndmask_b32_e32 v84, v26, v84, vcc_lo
.LBB2_32:
	s_or_b32 exec_lo, exec_lo, s5
.LBB2_33:
	s_or_b32 exec_lo, exec_lo, s4
	v_and_b32_e32 v26, 24, v84
	v_cmp_ne_u32_e32 vcc_lo, 0, v26
                                        ; implicit-def: $vgpr26_vgpr27
	s_and_saveexec_b32 s4, vcc_lo
	s_cbranch_execz .LBB2_41
; %bb.34:
	s_trap 2
	ds_read_b64 v[6:7], v0
	v_lshlrev_b64 v[8:9], 3, v[8:9]
	v_or_b32_e32 v26, 0x100, v84
	s_waitcnt lgkmcnt(0)
	v_add_co_u32 v6, vcc_lo, v6, v8
	v_add_co_ci_u32_e64 v7, null, v7, v9, vcc_lo
	flat_load_dwordx2 v[6:7], v[6:7]
	s_waitcnt vmcnt(0) lgkmcnt(0)
	v_mad_u64_u32 v[20:21], null, 0xa8, v34, v[6:7]
	flat_load_dwordx4 v[6:9], v[20:21] offset:96
	s_waitcnt vmcnt(0) lgkmcnt(0)
	v_cmp_eq_u64_e32 vcc_lo, 0, v[6:7]
	v_cndmask_b32_e32 v84, v26, v84, vcc_lo
	v_and_b32_e32 v26, 16, v84
	v_cmp_ne_u32_e32 vcc_lo, 0, v26
                                        ; implicit-def: $vgpr26_vgpr27
	s_and_saveexec_b32 s5, vcc_lo
	s_cbranch_execz .LBB2_36
; %bb.35:
	s_clause 0x2
	flat_load_dwordx2 v[22:23], v[20:21] offset:48
	flat_load_dwordx2 v[26:27], v[20:21] offset:120
	;; [unrolled: 1-line block ×3, first 2 shown]
.LBB2_36:
	s_or_b32 exec_lo, exec_lo, s5
	v_add_co_u32 v8, vcc_lo, v8, 3
	v_and_b32_e32 v34, 8, v84
	v_add_co_ci_u32_e64 v51, null, 0, v9, vcc_lo
	v_and_b32_e32 v50, -4, v8
	s_mov_b32 s5, exec_lo
	v_cmpx_ne_u32_e32 0, v34
	s_cbranch_execz .LBB2_40
; %bb.37:
	v_and_b32_e32 v8, 0x800, v84
	s_mov_b32 s6, exec_lo
	v_cmpx_eq_u32_e32 0, v8
	s_cbranch_execz .LBB2_39
; %bb.38:
	s_trap 2
	ds_write_b64 v0, v[20:21]
.LBB2_39:
	s_or_b32 exec_lo, exec_lo, s6
	s_waitcnt vmcnt(2) lgkmcnt(2)
	flat_load_dwordx2 v[22:23], v[20:21] offset:56
	s_waitcnt vmcnt(0) lgkmcnt(0)
	flat_load_dwordx2 v[32:33], v[22:23] glc dlc
	s_clause 0x1
	flat_load_dword v85, v[20:21] offset:72
	flat_load_dwordx2 v[24:25], v[20:21] offset:16
.LBB2_40:
	s_or_b32 exec_lo, exec_lo, s5
.LBB2_41:
	s_or_b32 exec_lo, exec_lo, s4
	v_cmp_eq_u32_e64 s4, 0, v0
	s_and_saveexec_b32 s5, s4
	s_cbranch_execz .LBB2_43
; %bb.42:
	flat_load_dwordx2 v[8:9], v[2:3] offset:32
	ds_write2_b64 v0, v[12:13], v[10:11] offset1:1
	s_trap 2
	s_waitcnt vmcnt(0) lgkmcnt(1)
	ds_write_b64 v0, v[8:9]
	ds_write_b64 v0, v[28:29]
.LBB2_43:
	s_or_b32 exec_lo, exec_lo, s5
	v_mov_b32_e32 v28, 0
	v_mov_b32_e32 v29, 0
	s_mov_b32 s26, exec_lo
	v_cmpx_lt_i64_e32 0, v[4:5]
	s_cbranch_execnz .LBB2_44
; %bb.6661:
	s_getpc_b64 s[34:35]
.Lpost_getpc1:
	s_add_u32 s34, s34, (.LBB2_6622-.Lpost_getpc1)&4294967295
	s_addc_u32 s35, s35, (.LBB2_6622-.Lpost_getpc1)>>32
	s_setpc_b64 s[34:35]
.LBB2_44:
	flat_load_dword v3, v[2:3] offset:4
	v_lshrrev_b32_e32 v87, 5, v1
	s_ashr_i32 s28, s25, 31
	s_add_u32 s40, s25, -1
	v_and_b32_e32 v98, 0x1fe0, v1
	s_addc_u32 s41, s28, -1
	s_add_i32 s42, s25, s25
	s_not_b32 s11, s25
	s_cmp_gt_i32 s25, 0
	v_lshlrev_b32_e32 v117, 9, v87
	s_cselect_b32 s16, s11, -1
	s_ashr_i32 s17, s15, 31
	v_subrev_nc_u32_e32 v119, 32, v98
	s_add_i32 s43, s16, s42
	s_lshr_b32 s16, s17, 25
	v_add_nc_u32_e32 v40, 0xfffffe00, v117
	s_add_i32 s15, s15, s16
	v_and_b32_e32 v8, 31, v31
	v_and_b32_e32 v96, 31, v0
	s_ashr_i32 s45, s15, 7
	v_and_b32_e32 v48, 0x3ffffe00, v14
	s_ashr_i32 s44, s43, 31
	v_ashrrev_i32_e32 v41, 31, v119
	s_cmp_gt_i32 s25, 2
	v_ashrrev_i32_e32 v42, 31, v40
	v_mov_b32_e32 v2, 0
	v_lshrrev_b32_e32 v97, 5, v0
	v_cmp_eq_u32_e64 s11, 0, v8
	v_lshlrev_b32_e32 v8, 4, v96
	s_cselect_b32 s46, -1, 0
	s_add_i32 s17, s25, 1
	v_add_co_u32 v43, s16, v119, 32
	v_mad_i64_i32 v[36:37], null, v48, s25, 0
	v_add_co_ci_u32_e64 v44, null, 0, v41, s16
	v_add_co_u32 v45, s16, 0x200, v40
	v_cmp_ge_u32_e32 vcc_lo, v0, v1
	v_mov_b32_e32 v34, 0
	s_waitcnt vmcnt(2) lgkmcnt(2)
	v_cmp_eq_u64_e64 s7, 0, v[26:27]
	v_cmp_ne_u64_e64 s10, 0, v[26:27]
	v_mov_b32_e32 v28, 0
	v_add_co_ci_u32_e64 v46, null, 0, v42, s16
	v_ashrrev_i32_e32 v86, 31, v85
	v_cmp_eq_u32_e64 s5, 32, v1
	v_cmp_ne_u32_e64 s6, 32, v1
	s_waitcnt vmcnt(1)
	v_cmp_ne_u32_sdwa s29, v1, v30 src0_sel:DWORD src1_sel:WORD_0
	v_mov_b32_e32 v35, 0
	v_lshlrev_b32_e32 v99, 4, v0
	v_mov_b32_e32 v100, 1
	v_mov_b32_e32 v101, 0x90
	;; [unrolled: 1-line block ×10, first 2 shown]
	v_cmp_eq_u32_e64 s12, 0, v96
	v_cmp_lt_u32_e64 s13, v96, v15
	v_lshlrev_b32_e32 v116, 10, v87
	v_lshlrev_b32_e32 v118, 8, v87
	v_cmp_le_u32_e64 s14, v96, v15
	v_mov_b32_e32 v39, v2
	v_lshl_or_b32 v38, v97, 10, v8
	s_mov_b32 s27, 0
	s_trap 2
	s_waitcnt vmcnt(0) lgkmcnt(0)
	v_and_b32_e32 v3, 1, v3
	v_cmp_eq_u32_e64 s15, 1, v3
	s_xor_b32 s47, s15, -1
	s_cmp_ge_i32 s17, s25
	s_cselect_b32 s16, s25, 0
	s_add_i32 s56, s25, -2
	s_sub_i32 s58, s17, s16
	s_xor_b32 s57, vcc_lo, -1
	s_ashr_i32 s20, s28, 31
	s_ashr_i32 s59, s58, 31
	s_sub_i32 s60, 0, s25
	s_branch .LBB2_47
.LBB2_45:                               ;   in Loop: Header=BB2_47 Depth=1
	s_or_b32 exec_lo, exec_lo, s18
.LBB2_46:                               ;   in Loop: Header=BB2_47 Depth=1
	s_or_b32 exec_lo, exec_lo, s17
	v_add_co_u32 v34, vcc_lo, v34, v36
	v_add_co_ci_u32_e64 v35, null, v35, v37, vcc_lo
	v_cmp_ge_i64_e32 vcc_lo, v[34:35], v[4:5]
	s_or_b32 s27, vcc_lo, s27
	s_andn2_b32 exec_lo, exec_lo, s27
	s_cbranch_execnz .LBB2_47
; %bb.6663:
	s_getpc_b64 s[34:35]
.Lpost_getpc2:
	s_add_u32 s34, s34, (.LBB2_6621-.Lpost_getpc2)&4294967295
	s_addc_u32 s35, s35, (.LBB2_6621-.Lpost_getpc2)>>32
	s_setpc_b64 s[34:35]
.LBB2_47:                               ; =>This Loop Header: Depth=1
                                        ;     Child Loop BB2_57 Depth 2
                                        ;       Child Loop BB2_65 Depth 3
                                        ;       Child Loop BB2_89 Depth 3
	;; [unrolled: 1-line block ×9, first 2 shown]
                                        ;     Child Loop BB2_197 Depth 2
                                        ;       Child Loop BB2_203 Depth 3
                                        ;       Child Loop BB2_227 Depth 3
	;; [unrolled: 1-line block ×3, first 2 shown]
                                        ;     Child Loop BB2_269 Depth 2
                                        ;       Child Loop BB2_272 Depth 3
                                        ;         Child Loop BB2_280 Depth 4
                                        ;         Child Loop BB2_308 Depth 4
	;; [unrolled: 1-line block ×9, first 2 shown]
                                        ;       Child Loop BB2_2220 Depth 3
                                        ;         Child Loop BB2_2226 Depth 4
                                        ;         Child Loop BB2_2254 Depth 4
	;; [unrolled: 1-line block ×3, first 2 shown]
                                        ;     Child Loop BB2_2295 Depth 2
                                        ;       Child Loop BB2_2303 Depth 3
                                        ;       Child Loop BB2_2331 Depth 3
	;; [unrolled: 1-line block ×4, first 2 shown]
                                        ;         Child Loop BB2_2950 Depth 4
                                        ;       Child Loop BB2_3084 Depth 3
                                        ;         Child Loop BB2_3661 Depth 4
                                        ;       Child Loop BB2_3799 Depth 3
                                        ;       Child Loop BB2_4153 Depth 3
                                        ;         Child Loop BB2_4190 Depth 4
                                        ;       Child Loop BB2_4213 Depth 3
                                        ;       Child Loop BB2_4922 Depth 3
	;; [unrolled: 1-line block ×6, first 2 shown]
                                        ;     Child Loop BB2_6082 Depth 2
                                        ;       Child Loop BB2_6088 Depth 3
                                        ;       Child Loop BB2_6116 Depth 3
	;; [unrolled: 1-line block ×3, first 2 shown]
                                        ;     Child Loop BB2_6157 Depth 2
                                        ;       Child Loop BB2_6160 Depth 3
                                        ;         Child Loop BB2_6168 Depth 4
                                        ;         Child Loop BB2_6196 Depth 4
	;; [unrolled: 1-line block ×4, first 2 shown]
                                        ;           Child Loop BB2_6239 Depth 5
                                        ;         Child Loop BB2_6245 Depth 4
                                        ;           Child Loop BB2_6246 Depth 5
                                        ;         Child Loop BB2_6253 Depth 4
                                        ;         Child Loop BB2_6258 Depth 4
                                        ;           Child Loop BB2_6259 Depth 5
                                        ;         Child Loop BB2_6271 Depth 4
                                        ;         Child Loop BB2_6276 Depth 4
	;; [unrolled: 1-line block ×6, first 2 shown]
                                        ;       Child Loop BB2_6339 Depth 3
                                        ;         Child Loop BB2_6345 Depth 4
                                        ;         Child Loop BB2_6373 Depth 4
	;; [unrolled: 1-line block ×3, first 2 shown]
                                        ;     Child Loop BB2_6417 Depth 2
                                        ;       Child Loop BB2_6425 Depth 3
                                        ;       Child Loop BB2_6449 Depth 3
	;; [unrolled: 1-line block ×9, first 2 shown]
                                        ;     Child Loop BB2_6555 Depth 2
                                        ;       Child Loop BB2_6561 Depth 3
                                        ;       Child Loop BB2_6585 Depth 3
	;; [unrolled: 1-line block ×3, first 2 shown]
	v_sub_co_u32 v52, vcc_lo, v4, v34
	v_sub_co_ci_u32_e64 v53, null, v5, v35, vcc_lo
	s_mov_b32 s17, exec_lo
	v_cmpx_lt_i64_e64 v[52:53], v[36:37]
	s_cbranch_execz .LBB2_53
; %bb.48:                               ;   in Loop: Header=BB2_47 Depth=1
	v_add_co_u32 v10, vcc_lo, s40, v52
	v_add_co_ci_u32_e64 v11, null, s41, v53, vcc_lo
                                        ; implicit-def: $vgpr8_vgpr9
	s_mov_b32 s16, exec_lo
	v_or_b32_e32 v3, s28, v11
	v_cmpx_ne_u64_e32 0, v[2:3]
	s_xor_b32 s22, exec_lo, s16
	s_cbranch_execz .LBB2_50
; %bb.49:                               ;   in Loop: Header=BB2_47 Depth=1
	s_add_u32 s18, s25, s20
	s_mov_b32 s21, s20
	s_addc_u32 s19, s28, s20
	v_ashrrev_i32_e32 v14, 31, v11
	s_xor_b64 s[18:19], s[18:19], s[20:21]
	v_cvt_f32_u32_e32 v3, s18
	v_cvt_f32_u32_e32 v8, s19
	s_sub_u32 s16, 0, s18
	s_subb_u32 s61, 0, s19
	v_add_co_u32 v9, vcc_lo, v10, v14
	v_fmac_f32_e32 v3, 0x4f800000, v8
	v_xor_b32_e32 v15, v9, v14
	v_rcp_f32_e32 v3, v3
	v_mul_f32_e32 v3, 0x5f7ffffc, v3
	v_mul_f32_e32 v8, 0x2f800000, v3
	v_trunc_f32_e32 v8, v8
	v_fmac_f32_e32 v3, 0xcf800000, v8
	v_cvt_u32_f32_e32 v8, v8
	v_cvt_u32_f32_e32 v3, v3
	v_readfirstlane_b32 s21, v8
	v_readfirstlane_b32 s23, v3
	s_mul_i32 s62, s16, s21
	v_add_co_ci_u32_e64 v3, null, v11, v14, vcc_lo
	s_mul_hi_u32 s72, s16, s23
	s_mul_i32 s63, s61, s23
	s_add_i32 s62, s72, s62
	s_mul_i32 s73, s16, s23
	s_add_i32 s62, s62, s63
	s_mul_hi_u32 s72, s23, s73
	s_mul_i32 s75, s23, s62
	s_mul_hi_u32 s74, s21, s73
	s_mul_i32 s63, s21, s73
	s_mul_hi_u32 s73, s23, s62
	s_add_u32 s72, s72, s75
	s_addc_u32 s73, 0, s73
	s_mul_hi_u32 s76, s21, s62
	s_add_u32 s63, s72, s63
	s_mul_i32 s62, s21, s62
	s_addc_u32 s63, s73, s74
	s_addc_u32 s72, s76, 0
	s_add_u32 s62, s63, s62
	s_addc_u32 s63, 0, s72
	s_add_u32 s23, s23, s62
	s_cselect_b32 s62, -1, 0
	s_mul_hi_u32 s72, s16, s23
	s_cmp_lg_u32 s62, 0
	s_mul_i32 s62, s16, s23
	s_addc_u32 s21, s21, s63
	s_mul_i32 s61, s61, s23
	s_mul_i32 s16, s16, s21
	s_mul_hi_u32 s63, s23, s62
	s_add_i32 s16, s72, s16
	s_mul_hi_u32 s72, s21, s62
	s_add_i32 s16, s16, s61
	s_mul_i32 s61, s21, s62
	s_mul_i32 s74, s23, s16
	s_mul_hi_u32 s73, s23, s16
	s_add_u32 s63, s63, s74
	s_addc_u32 s73, 0, s73
	s_mul_hi_u32 s62, s21, s16
	s_add_u32 s61, s63, s61
	s_mul_i32 s16, s21, s16
	s_addc_u32 s61, s73, s72
	s_addc_u32 s62, s62, 0
	s_add_u32 s16, s61, s16
	s_addc_u32 s61, 0, s62
	s_add_u32 s16, s23, s16
	s_cselect_b32 s23, -1, 0
	v_xor_b32_e32 v3, v3, v14
	s_cmp_lg_u32 s23, 0
	v_mul_hi_u32 v48, v15, s16
	s_addc_u32 s21, s21, s61
	v_mad_u64_u32 v[8:9], null, v15, s21, 0
	v_mad_u64_u32 v[10:11], null, v3, s16, 0
	v_mad_u64_u32 v[12:13], null, v3, s21, 0
	v_add_co_u32 v8, vcc_lo, v48, v8
	v_add_co_ci_u32_e64 v9, null, 0, v9, vcc_lo
	v_add_co_u32 v8, vcc_lo, v8, v10
	v_add_co_ci_u32_e32 v8, vcc_lo, v9, v11, vcc_lo
	v_add_co_ci_u32_e32 v9, vcc_lo, 0, v13, vcc_lo
	v_add_co_u32 v10, vcc_lo, v8, v12
	v_add_co_ci_u32_e64 v11, null, 0, v9, vcc_lo
	v_mul_lo_u32 v12, s19, v10
	v_mad_u64_u32 v[8:9], null, s18, v10, 0
	v_mul_lo_u32 v13, s18, v11
	v_sub_co_u32 v8, vcc_lo, v15, v8
	v_add3_u32 v9, v9, v13, v12
	v_add_co_u32 v13, s16, v10, 2
	v_add_co_ci_u32_e64 v15, null, 0, v11, s16
	v_sub_nc_u32_e32 v12, v3, v9
	v_sub_co_u32 v48, s16, v8, s18
	v_sub_co_ci_u32_e64 v3, null, v3, v9, vcc_lo
	v_subrev_co_ci_u32_e64 v12, null, s19, v12, vcc_lo
	v_cmp_le_u32_e32 vcc_lo, s18, v48
	v_subrev_co_ci_u32_e64 v12, null, 0, v12, s16
	v_cndmask_b32_e64 v9, 0, -1, vcc_lo
	v_cmp_le_u32_e32 vcc_lo, s19, v12
	v_cndmask_b32_e64 v48, 0, -1, vcc_lo
	v_cmp_le_u32_e32 vcc_lo, s18, v8
	;; [unrolled: 2-line block ×3, first 2 shown]
	v_cndmask_b32_e64 v49, 0, -1, vcc_lo
	v_cmp_eq_u32_e32 vcc_lo, s19, v12
	v_cndmask_b32_e32 v9, v48, v9, vcc_lo
	v_add_co_u32 v12, vcc_lo, v10, 1
	v_add_co_ci_u32_e64 v48, null, 0, v11, vcc_lo
	v_cmp_eq_u32_e32 vcc_lo, s19, v3
	v_cndmask_b32_e32 v3, v49, v8, vcc_lo
	v_cmp_ne_u32_e32 vcc_lo, 0, v9
	v_xor_b32_e32 v9, s20, v14
	v_cmp_ne_u32_e64 s16, 0, v3
	v_cndmask_b32_e32 v3, v12, v13, vcc_lo
	v_cndmask_b32_e32 v8, v48, v15, vcc_lo
	v_cndmask_b32_e64 v3, v10, v3, s16
	v_cndmask_b32_e64 v8, v11, v8, s16
	v_xor_b32_e32 v3, v3, v9
	v_xor_b32_e32 v10, v8, v9
	v_sub_co_u32 v8, vcc_lo, v3, v9
	v_sub_co_ci_u32_e64 v9, null, v10, v9, vcc_lo
                                        ; implicit-def: $vgpr10
.LBB2_50:                               ;   in Loop: Header=BB2_47 Depth=1
	s_andn2_saveexec_b32 s16, s22
	s_cbranch_execz .LBB2_52
; %bb.51:                               ;   in Loop: Header=BB2_47 Depth=1
	v_cvt_f32_u32_e32 v3, s25
	v_rcp_iflag_f32_e32 v3, v3
	v_mul_f32_e32 v3, 0x4f7ffffe, v3
	v_cvt_u32_f32_e32 v3, v3
	v_mul_lo_u32 v8, s60, v3
	v_mul_hi_u32 v8, v3, v8
	v_add_nc_u32_e32 v3, v3, v8
	v_mul_hi_u32 v3, v10, v3
	v_mul_lo_u32 v8, v3, s25
	v_add_nc_u32_e32 v9, 1, v3
	v_sub_nc_u32_e32 v8, v10, v8
	v_subrev_nc_u32_e32 v10, s25, v8
	v_cmp_le_u32_e32 vcc_lo, s25, v8
	v_cndmask_b32_e32 v8, v8, v10, vcc_lo
	v_cndmask_b32_e32 v3, v3, v9, vcc_lo
	v_cmp_le_u32_e32 vcc_lo, s25, v8
	v_add_nc_u32_e32 v9, 1, v3
	v_cndmask_b32_e32 v8, v3, v9, vcc_lo
	v_mov_b32_e32 v9, v2
.LBB2_52:                               ;   in Loop: Header=BB2_47 Depth=1
	s_or_b32 exec_lo, exec_lo, s16
	v_add_co_u32 v3, vcc_lo, v8, 15
	v_add_co_ci_u32_e64 v49, null, 0, v9, vcc_lo
	v_and_b32_e32 v48, -16, v3
.LBB2_53:                               ;   in Loop: Header=BB2_47 Depth=1
	s_or_b32 exec_lo, exec_lo, s17
	v_mul_lo_u32 v3, v49, s43
	v_mul_lo_u32 v8, v48, s44
	v_mad_u64_u32 v[10:11], null, v48, s43, 0
	s_waitcnt vmcnt(0) lgkmcnt(1)
	v_mov_b32_e32 v65, 0
	v_add3_u32 v11, v11, v8, v3
	v_sub_co_u32 v8, vcc_lo, v52, v10
	v_sub_co_ci_u32_e64 v9, null, v53, v11, vcc_lo
	v_cmp_lt_i64_e32 vcc_lo, v[48:49], v[8:9]
	v_cndmask_b32_e32 v8, v8, v48, vcc_lo
	v_add_co_u32 v47, vcc_lo, v34, v16
	v_add_co_ci_u32_e64 v56, null, v35, v17, vcc_lo
	v_max_i32_e32 v64, 0, v8
	v_cmp_lt_i32_e32 vcc_lo, 0, v8
	v_add_nc_u32_e32 v3, 31, v64
	s_and_b32 s16, s57, vcc_lo
	v_lshrrev_b32_e32 v3, 1, v3
	v_and_b32_e32 v9, 0x3ffffff0, v3
	v_mov_b32_e32 v3, 0
	v_max_i32_e32 v8, s45, v9
	s_and_saveexec_b32 s18, s16
	s_cbranch_execz .LBB2_193
; %bb.54:                               ;   in Loop: Header=BB2_47 Depth=1
	v_mov_b32_e32 v65, 0
	s_mov_b32 s22, 1
	s_mov_b32 s21, -1
	s_mov_b32 s19, 0
	s_branch .LBB2_57
.LBB2_55:                               ;   in Loop: Header=BB2_57 Depth=2
	s_or_b32 exec_lo, exec_lo, s17
	v_add_co_u32 v50, vcc_lo, v50, 2
	v_add_co_ci_u32_e64 v51, null, 0, v51, vcc_lo
	s_waitcnt vmcnt(0) lgkmcnt(0)
	s_waitcnt_vscnt null, 0x0
	flat_store_dwordx2 v[22:23], v[50:51]
.LBB2_56:                               ;   in Loop: Header=BB2_57 Depth=2
	s_or_b32 exec_lo, exec_lo, s16
	v_add_nc_u32_e32 v65, v8, v65
	s_xor_b32 s16, s21, -1
	v_mov_b32_e32 v3, s22
	s_mov_b32 s21, 0
	s_mov_b32 s22, 2
	v_cmp_ge_i32_e32 vcc_lo, v65, v64
	s_or_b32 s16, s16, vcc_lo
	s_and_b32 s16, exec_lo, s16
	s_or_b32 s19, s16, s19
	s_andn2_b32 exec_lo, exec_lo, s19
	s_cbranch_execz .LBB2_192
.LBB2_57:                               ;   Parent Loop BB2_47 Depth=1
                                        ; =>  This Loop Header: Depth=2
                                        ;       Child Loop BB2_65 Depth 3
                                        ;       Child Loop BB2_89 Depth 3
	;; [unrolled: 1-line block ×9, first 2 shown]
	s_and_saveexec_b32 s16, s4
	s_cbranch_execz .LBB2_59
; %bb.58:                               ;   in Loop: Header=BB2_57 Depth=2
	s_trap 2
	ds_read_b64 v[12:13], v0
	s_waitcnt lgkmcnt(0)
	v_add_co_u32 v3, vcc_lo, v12, v47
	v_add_co_ci_u32_e64 v9, null, v13, v56, vcc_lo
	v_ashrrev_i32_e32 v13, 31, v65
	v_add_co_u32 v3, vcc_lo, v3, v10
	v_add_co_ci_u32_e64 v9, null, v9, v11, vcc_lo
	v_add_co_u32 v12, vcc_lo, v3, v65
	v_add_co_ci_u32_e64 v13, null, v9, v13, vcc_lo
	v_mov_b32_e32 v3, v2
	ds_write_b64 v0, v[12:13]
	ds_write_b64 v0, v[2:3]
.LBB2_59:                               ;   in Loop: Header=BB2_57 Depth=2
	s_or_b32 exec_lo, exec_lo, s16
	v_sub_nc_u32_e32 v3, v64, v65
	v_and_b32_e32 v9, 8, v84
	s_mov_b32 s17, exec_lo
	v_min_i32_e32 v8, v8, v3
	v_cmpx_ne_u32_e32 0, v9
	s_cbranch_execz .LBB2_81
; %bb.60:                               ;   in Loop: Header=BB2_57 Depth=2
	s_waitcnt vmcnt(0)
	v_add_co_u32 v14, vcc_lo, v32, 8
	v_add_co_ci_u32_e64 v15, null, 0, v33, vcc_lo
	v_add_co_u32 v12, vcc_lo, v50, 2
	v_add_co_ci_u32_e64 v13, null, 0, v51, vcc_lo
	s_mov_b32 s23, exec_lo
	v_cmpx_lt_u64_e64 v[14:15], v[12:13]
	s_cbranch_execz .LBB2_72
; %bb.61:                               ;   in Loop: Header=BB2_57 Depth=2
	v_and_b32_e32 v3, 64, v84
	s_mov_b32 s61, 0
	s_mov_b32 s73, 0
                                        ; implicit-def: $sgpr62
                                        ; implicit-def: $sgpr63
                                        ; implicit-def: $sgpr72
	v_cmp_eq_u32_e32 vcc_lo, 0, v3
	s_branch .LBB2_65
.LBB2_62:                               ;   in Loop: Header=BB2_65 Depth=3
	s_waitcnt vmcnt(0) lgkmcnt(0)
	v_add_co_u32 v14, s16, v32, 8
	v_add_co_ci_u32_e64 v15, null, 0, v33, s16
	s_or_b32 s76, s76, exec_lo
	v_cmp_ge_u64_e64 s16, v[14:15], v[12:13]
	s_orn2_b32 s75, s16, exec_lo
.LBB2_63:                               ;   in Loop: Header=BB2_65 Depth=3
	s_or_b32 exec_lo, exec_lo, s78
	s_andn2_b32 s16, s72, exec_lo
	s_and_b32 s72, s76, exec_lo
	s_andn2_b32 s63, s63, exec_lo
	s_and_b32 s75, s75, exec_lo
	s_or_b32 s72, s16, s72
	s_or_b32 s63, s63, s75
.LBB2_64:                               ;   in Loop: Header=BB2_65 Depth=3
	s_or_b32 exec_lo, exec_lo, s74
	s_and_b32 s16, exec_lo, s63
	s_or_b32 s61, s16, s61
	s_andn2_b32 s16, s62, exec_lo
	s_and_b32 s62, s72, exec_lo
	s_or_b32 s62, s16, s62
	s_andn2_b32 exec_lo, exec_lo, s61
	s_cbranch_execz .LBB2_69
.LBB2_65:                               ;   Parent Loop BB2_47 Depth=1
                                        ;     Parent Loop BB2_57 Depth=2
                                        ; =>    This Inner Loop Header: Depth=3
	s_sleep 1
	s_waitcnt vmcnt(0) lgkmcnt(0)
	flat_load_dwordx2 v[32:33], v[22:23] glc dlc
	s_or_b32 s72, s72, exec_lo
	s_or_b32 s63, s63, exec_lo
                                        ; implicit-def: $vgpr3
	s_and_saveexec_b32 s74, vcc_lo
	s_cbranch_execz .LBB2_64
; %bb.66:                               ;   in Loop: Header=BB2_65 Depth=3
	s_cmpk_lt_i32 s73, 0x270f
	s_mov_b32 s75, -1
	s_cselect_b32 s77, -1, 0
	s_cmpk_gt_i32 s73, 0x270e
	s_cbranch_scc0 .LBB2_68
; %bb.67:                               ;   in Loop: Header=BB2_65 Depth=3
	s_trap 2
	ds_read_b64 v[14:15], v0
	s_andn2_b32 s73, s77, exec_lo
	s_mov_b32 s76, 0
	s_waitcnt vmcnt(0) lgkmcnt(0)
	s_waitcnt_vscnt null, 0x0
	flat_load_dword v3, v[14:15] glc dlc
	s_waitcnt vmcnt(0) lgkmcnt(0)
	buffer_gl1_inv
	buffer_gl0_inv
	v_cmp_eq_u32_e64 s16, 0, v3
	s_and_b32 s16, s16, exec_lo
	s_or_b32 s77, s73, s16
	s_mov_b32 s73, 0
	s_and_saveexec_b32 s78, s77
	s_cbranch_execz .LBB2_63
	s_branch .LBB2_62
.LBB2_68:                               ;   in Loop: Header=BB2_65 Depth=3
	s_add_i32 s73, s73, 1
	s_mov_b32 s76, -1
                                        ; implicit-def: $vgpr3
	s_and_saveexec_b32 s78, s77
	s_cbranch_execz .LBB2_63
	s_branch .LBB2_62
.LBB2_69:                               ;   in Loop: Header=BB2_57 Depth=2
	s_or_b32 exec_lo, exec_lo, s61
	s_xor_b32 s16, s62, -1
	s_and_saveexec_b32 s61, s16
	s_xor_b32 s16, exec_lo, s61
	s_cbranch_execz .LBB2_71
; %bb.70:                               ;   in Loop: Header=BB2_57 Depth=2
	v_or_b32_e32 v84, 64, v84
	s_waitcnt vmcnt(0) lgkmcnt(0)
	s_waitcnt_vscnt null, 0x0
	ds_write_b32 v0, v3
	s_trap 2
.LBB2_71:                               ;   in Loop: Header=BB2_57 Depth=2
	s_or_b32 exec_lo, exec_lo, s16
.LBB2_72:                               ;   in Loop: Header=BB2_57 Depth=2
	s_or_b32 exec_lo, exec_lo, s23
	v_and_b32_e32 v3, 0x100, v84
	s_mov_b32 s16, -1
	;;#ASMSTART
	s_wakeup
	;;#ASMEND
                                        ; implicit-def: $vgpr14_vgpr15
	v_cmp_ne_u32_e32 vcc_lo, 0, v3
	v_and_b32_e32 v3, 7, v50
	s_and_saveexec_b32 s23, vcc_lo
	s_cbranch_execz .LBB2_76
; %bb.73:                               ;   in Loop: Header=BB2_57 Depth=2
	v_mad_u64_u32 v[50:51], null, v3, 24, v[6:7]
	v_ashrrev_i32_e32 v9, 31, v8
	flat_load_dword v14, v[50:51]
	flat_store_dwordx2 v[50:51], v[8:9] offset:8
	s_waitcnt vmcnt(0) lgkmcnt(1)
	v_cmp_eq_u32_e64 s16, 1, v14
	v_cmp_ne_u32_e32 vcc_lo, 1, v14
                                        ; implicit-def: $vgpr14_vgpr15
	s_and_saveexec_b32 s61, s16
	s_cbranch_execz .LBB2_75
; %bb.74:                               ;   in Loop: Header=BB2_57 Depth=2
	flat_load_dword v14, v[50:51] offset:4 glc dlc
	s_waitcnt vmcnt(0) lgkmcnt(0)
	v_ashrrev_i32_e32 v15, 31, v14
.LBB2_75:                               ;   in Loop: Header=BB2_57 Depth=2
	s_or_b32 exec_lo, exec_lo, s61
	s_orn2_b32 s16, vcc_lo, exec_lo
.LBB2_76:                               ;   in Loop: Header=BB2_57 Depth=2
	s_or_b32 exec_lo, exec_lo, s23
	s_and_saveexec_b32 s23, s16
; %bb.77:                               ;   in Loop: Header=BB2_57 Depth=2
	v_mad_i64_i32 v[14:15], null, v3, v85, 0
; %bb.78:                               ;   in Loop: Header=BB2_57 Depth=2
	s_or_b32 exec_lo, exec_lo, s23
	v_add_co_u32 v14, vcc_lo, v24, v14
	v_and_b32_e32 v3, 0x2000, v84
	v_add_co_ci_u32_e64 v15, null, v25, v15, vcc_lo
	s_mov_b32 s16, exec_lo
	ds_write_b64 v0, v[14:15] offset:784
	v_cmpx_ne_u32_e32 0, v3
	s_cbranch_execz .LBB2_80
; %bb.79:                               ;   in Loop: Header=BB2_57 Depth=2
	ds_read_b64 v[14:15], v0 offset:872
	s_waitcnt lgkmcnt(0)
	v_add_co_u32 v14, vcc_lo, v14, 1
	v_add_co_ci_u32_e64 v15, null, 0, v15, vcc_lo
	ds_write_b64 v0, v[14:15] offset:872
.LBB2_80:                               ;   in Loop: Header=BB2_57 Depth=2
	s_or_b32 exec_lo, exec_lo, s16
	v_mov_b32_e32 v51, v13
	v_mov_b32_e32 v50, v12
.LBB2_81:                               ;   in Loop: Header=BB2_57 Depth=2
	s_or_b32 exec_lo, exec_lo, s17
	s_and_saveexec_b32 s16, s6
	s_cbranch_execz .LBB2_100
; %bb.82:                               ;   in Loop: Header=BB2_57 Depth=2
	s_and_saveexec_b32 s17, s29
	s_xor_b32 s17, exec_lo, s17
	s_cbranch_execz .LBB2_97
; %bb.83:                               ;   in Loop: Header=BB2_57 Depth=2
	s_and_saveexec_b32 s23, s11
	s_cbranch_execz .LBB2_96
; %bb.84:                               ;   in Loop: Header=BB2_57 Depth=2
	s_mov_b32 s62, exec_lo
	s_mov_b32 s61, exec_lo
	v_mbcnt_lo_u32_b32 v3, s62, 0
	s_waitcnt vmcnt(0) lgkmcnt(0)
	s_waitcnt_vscnt null, 0x0
	buffer_gl1_inv
	buffer_gl0_inv
	v_cmpx_eq_u32_e32 0, v3
	s_cbranch_execz .LBB2_86
; %bb.85:                               ;   in Loop: Header=BB2_57 Depth=2
	s_bcnt1_i32_b32 s62, s62
	v_mov_b32_e32 v13, v2
	v_mov_b32_e32 v12, s62
	ds_add_u64 v0, v[12:13]
	s_trap 2
.LBB2_86:                               ;   in Loop: Header=BB2_57 Depth=2
	s_or_b32 exec_lo, exec_lo, s61
	s_trap 2
	ds_read_b64 v[12:13], v0
	s_waitcnt lgkmcnt(0)
	buffer_gl0_inv
	v_add_co_u32 v28, vcc_lo, v28, v87
	v_add_co_ci_u32_e64 v29, null, 0, v29, vcc_lo
	s_mov_b32 s61, exec_lo
	v_cmpx_lt_u64_e64 v[12:13], v[28:29]
	s_cbranch_execz .LBB2_95
; %bb.87:                               ;   in Loop: Header=BB2_57 Depth=2
	s_mov_b32 s62, 0
	s_mov_b32 s73, 0
                                        ; implicit-def: $sgpr63
                                        ; implicit-def: $sgpr72
	s_inst_prefetch 0x1
	s_branch .LBB2_89
	.p2align	6
.LBB2_88:                               ;   in Loop: Header=BB2_89 Depth=3
	s_or_b32 exec_lo, exec_lo, s75
	s_and_b32 s74, exec_lo, s76
	s_or_b32 s62, s74, s62
	s_andn2_b32 s63, s63, exec_lo
	s_and_b32 s74, s72, exec_lo
	s_or_b32 s63, s63, s74
	s_andn2_b32 exec_lo, exec_lo, s62
	s_cbranch_execz .LBB2_93
.LBB2_89:                               ;   Parent Loop BB2_47 Depth=1
                                        ;     Parent Loop BB2_57 Depth=2
                                        ; =>    This Inner Loop Header: Depth=3
	s_add_i32 s73, s73, 1
	s_cmpk_lg_i32 s73, 0x2710
	s_cselect_b32 s74, -1, 0
	s_and_b32 vcc_lo, exec_lo, s74
	s_cbranch_vccz .LBB2_91
; %bb.90:                               ;   in Loop: Header=BB2_89 Depth=3
	s_mov_b32 s76, -1
	s_or_b32 s72, s72, exec_lo
	s_and_saveexec_b32 s75, s74
	s_cbranch_execz .LBB2_88
	s_branch .LBB2_92
	.p2align	6
.LBB2_91:                               ;   in Loop: Header=BB2_89 Depth=3
	s_trap 2
	ds_read_b64 v[12:13], v0
	s_andn2_b32 s74, s74, exec_lo
	s_mov_b32 s73, 0
	s_waitcnt lgkmcnt(0)
	flat_load_dword v3, v[12:13] glc dlc
	s_waitcnt vmcnt(0) lgkmcnt(0)
	buffer_gl1_inv
	buffer_gl0_inv
	v_cmp_eq_u32_e32 vcc_lo, 0, v3
	s_and_b32 s75, vcc_lo, exec_lo
	s_or_b32 s74, s74, s75
	s_mov_b32 s76, -1
	s_or_b32 s72, s72, exec_lo
	s_and_saveexec_b32 s75, s74
	s_cbranch_execz .LBB2_88
.LBB2_92:                               ;   in Loop: Header=BB2_89 Depth=3
	s_sleep 1
	s_trap 2
	ds_read_b64 v[12:13], v0
	s_waitcnt lgkmcnt(0)
	buffer_gl0_inv
	s_andn2_b32 s72, s72, exec_lo
	v_cmp_ge_u64_e32 vcc_lo, v[12:13], v[28:29]
	s_orn2_b32 s76, vcc_lo, exec_lo
	s_branch .LBB2_88
.LBB2_93:                               ;   in Loop: Header=BB2_57 Depth=2
	s_inst_prefetch 0x2
	s_or_b32 exec_lo, exec_lo, s62
	s_and_saveexec_b32 s62, s63
	s_xor_b32 s62, exec_lo, s62
	s_cbranch_execz .LBB2_95
; %bb.94:                               ;   in Loop: Header=BB2_57 Depth=2
	ds_write_b32 v0, v100
	s_trap 2
.LBB2_95:                               ;   in Loop: Header=BB2_57 Depth=2
	s_or_b32 exec_lo, exec_lo, s61
	;;#ASMSTART
	s_wakeup
	;;#ASMEND
.LBB2_96:                               ;   in Loop: Header=BB2_57 Depth=2
	s_or_b32 exec_lo, exec_lo, s23
.LBB2_97:                               ;   in Loop: Header=BB2_57 Depth=2
	s_andn2_saveexec_b32 s17, s17
	s_cbranch_execz .LBB2_99
; %bb.98:                               ;   in Loop: Header=BB2_57 Depth=2
	s_waitcnt vmcnt(0) lgkmcnt(0)
	s_waitcnt_vscnt null, 0x0
	buffer_gl1_inv
	buffer_gl0_inv
	s_barrier
.LBB2_99:                               ;   in Loop: Header=BB2_57 Depth=2
	s_or_b32 exec_lo, exec_lo, s17
.LBB2_100:                              ;   in Loop: Header=BB2_57 Depth=2
	s_or_b32 exec_lo, exec_lo, s16
	s_trap 2
	ds_read_b32 v3, v0
	v_and_b32_e32 v9, 0x4000, v84
	s_xor_b32 s16, s5, -1
	v_cmp_ne_u32_e32 vcc_lo, 0, v9
	s_and_b32 s17, s16, vcc_lo
	s_and_saveexec_b32 s16, s17
	s_cbranch_execz .LBB2_119
; %bb.101:                              ;   in Loop: Header=BB2_57 Depth=2
	s_and_saveexec_b32 s17, s29
	s_xor_b32 s17, exec_lo, s17
	s_cbranch_execz .LBB2_116
; %bb.102:                              ;   in Loop: Header=BB2_57 Depth=2
	s_and_saveexec_b32 s23, s11
	s_cbranch_execz .LBB2_115
; %bb.103:                              ;   in Loop: Header=BB2_57 Depth=2
	s_mov_b32 s62, exec_lo
	s_mov_b32 s61, exec_lo
	v_mbcnt_lo_u32_b32 v9, s62, 0
	s_waitcnt vmcnt(0) lgkmcnt(0)
	s_waitcnt_vscnt null, 0x0
	buffer_gl1_inv
	buffer_gl0_inv
	v_cmpx_eq_u32_e32 0, v9
	s_cbranch_execz .LBB2_105
; %bb.104:                              ;   in Loop: Header=BB2_57 Depth=2
	s_bcnt1_i32_b32 s62, s62
	v_mov_b32_e32 v13, v2
	v_mov_b32_e32 v12, s62
	ds_add_u64 v0, v[12:13]
	s_trap 2
.LBB2_105:                              ;   in Loop: Header=BB2_57 Depth=2
	s_or_b32 exec_lo, exec_lo, s61
	s_trap 2
	ds_read_b64 v[12:13], v0
	s_waitcnt lgkmcnt(0)
	buffer_gl0_inv
	v_add_co_u32 v28, vcc_lo, v28, v87
	v_add_co_ci_u32_e64 v29, null, 0, v29, vcc_lo
	s_mov_b32 s61, exec_lo
	v_cmpx_lt_u64_e64 v[12:13], v[28:29]
	s_cbranch_execz .LBB2_114
; %bb.106:                              ;   in Loop: Header=BB2_57 Depth=2
	s_mov_b32 s62, 0
	s_mov_b32 s73, 0
                                        ; implicit-def: $sgpr63
                                        ; implicit-def: $sgpr72
	s_inst_prefetch 0x1
	s_branch .LBB2_108
	.p2align	6
.LBB2_107:                              ;   in Loop: Header=BB2_108 Depth=3
	s_or_b32 exec_lo, exec_lo, s75
	s_and_b32 s74, exec_lo, s76
	s_or_b32 s62, s74, s62
	s_andn2_b32 s63, s63, exec_lo
	s_and_b32 s74, s72, exec_lo
	s_or_b32 s63, s63, s74
	s_andn2_b32 exec_lo, exec_lo, s62
	s_cbranch_execz .LBB2_112
.LBB2_108:                              ;   Parent Loop BB2_47 Depth=1
                                        ;     Parent Loop BB2_57 Depth=2
                                        ; =>    This Inner Loop Header: Depth=3
	s_add_i32 s73, s73, 1
	s_cmpk_lg_i32 s73, 0x2710
	s_cselect_b32 s74, -1, 0
	s_and_b32 vcc_lo, exec_lo, s74
	s_cbranch_vccz .LBB2_110
; %bb.109:                              ;   in Loop: Header=BB2_108 Depth=3
	s_mov_b32 s76, -1
	s_or_b32 s72, s72, exec_lo
	s_and_saveexec_b32 s75, s74
	s_cbranch_execz .LBB2_107
	s_branch .LBB2_111
	.p2align	6
.LBB2_110:                              ;   in Loop: Header=BB2_108 Depth=3
	s_trap 2
	ds_read_b64 v[12:13], v0
	s_andn2_b32 s74, s74, exec_lo
	s_mov_b32 s73, 0
	s_waitcnt lgkmcnt(0)
	flat_load_dword v9, v[12:13] glc dlc
	s_waitcnt vmcnt(0) lgkmcnt(0)
	buffer_gl1_inv
	buffer_gl0_inv
	v_cmp_eq_u32_e32 vcc_lo, 0, v9
	s_and_b32 s75, vcc_lo, exec_lo
	s_or_b32 s74, s74, s75
	s_mov_b32 s76, -1
	s_or_b32 s72, s72, exec_lo
	s_and_saveexec_b32 s75, s74
	s_cbranch_execz .LBB2_107
.LBB2_111:                              ;   in Loop: Header=BB2_108 Depth=3
	s_sleep 1
	s_trap 2
	ds_read_b64 v[12:13], v0
	s_waitcnt lgkmcnt(0)
	buffer_gl0_inv
	s_andn2_b32 s72, s72, exec_lo
	v_cmp_ge_u64_e32 vcc_lo, v[12:13], v[28:29]
	s_orn2_b32 s76, vcc_lo, exec_lo
	s_branch .LBB2_107
.LBB2_112:                              ;   in Loop: Header=BB2_57 Depth=2
	s_inst_prefetch 0x2
	s_or_b32 exec_lo, exec_lo, s62
	s_and_saveexec_b32 s62, s63
	s_xor_b32 s62, exec_lo, s62
	s_cbranch_execz .LBB2_114
; %bb.113:                              ;   in Loop: Header=BB2_57 Depth=2
	ds_write_b32 v0, v100
	s_trap 2
.LBB2_114:                              ;   in Loop: Header=BB2_57 Depth=2
	s_or_b32 exec_lo, exec_lo, s61
	;;#ASMSTART
	s_wakeup
	;;#ASMEND
.LBB2_115:                              ;   in Loop: Header=BB2_57 Depth=2
	s_or_b32 exec_lo, exec_lo, s23
.LBB2_116:                              ;   in Loop: Header=BB2_57 Depth=2
	s_andn2_saveexec_b32 s17, s17
	s_cbranch_execz .LBB2_118
; %bb.117:                              ;   in Loop: Header=BB2_57 Depth=2
	s_waitcnt vmcnt(0) lgkmcnt(0)
	s_waitcnt_vscnt null, 0x0
	buffer_gl1_inv
	buffer_gl0_inv
	s_barrier
.LBB2_118:                              ;   in Loop: Header=BB2_57 Depth=2
	s_or_b32 exec_lo, exec_lo, s17
.LBB2_119:                              ;   in Loop: Header=BB2_57 Depth=2
	s_or_b32 exec_lo, exec_lo, s16
	s_trap 2
	ds_read_b64 v[12:13], v0
	s_waitcnt lgkmcnt(0)
	v_cmp_eq_u64_e32 vcc_lo, 0, v[12:13]
	s_cbranch_vccnz .LBB2_127
; %bb.120:                              ;   in Loop: Header=BB2_57 Depth=2
	s_trap 2
	ds_read_b64 v[14:15], v0
	s_waitcnt lgkmcnt(0)
	v_cmp_eq_u64_e32 vcc_lo, 0, v[14:15]
	s_cbranch_vccnz .LBB2_127
; %bb.121:                              ;   in Loop: Header=BB2_57 Depth=2
	s_mov_b32 s16, -1
	s_and_saveexec_b32 s17, s12
	s_cbranch_execz .LBB2_123
; %bb.122:                              ;   in Loop: Header=BB2_57 Depth=2
	ds_read_b32 v9, v0 offset:720
	s_waitcnt lgkmcnt(0)
	v_and_b32_e32 v9, 15, v9
	v_cmp_eq_u32_e32 vcc_lo, 0, v9
	s_orn2_b32 s16, vcc_lo, exec_lo
.LBB2_123:                              ;   in Loop: Header=BB2_57 Depth=2
	s_or_b32 exec_lo, exec_lo, s17
	s_and_saveexec_b32 s17, s13
	s_cbranch_execz .LBB2_125
; %bb.124:                              ;   in Loop: Header=BB2_57 Depth=2
	ds_read_b32 v9, v0 offset:784
	s_waitcnt lgkmcnt(0)
	v_and_b32_e32 v9, 15, v9
	v_cmp_eq_u32_e32 vcc_lo, 0, v9
	s_and_b32 s23, s16, vcc_lo
	s_andn2_b32 s16, s16, exec_lo
	s_and_b32 s23, s23, exec_lo
	s_or_b32 s16, s16, s23
.LBB2_125:                              ;   in Loop: Header=BB2_57 Depth=2
	s_or_b32 exec_lo, exec_lo, s17
	v_cmp_eq_u32_e32 vcc_lo, 0, v3
	s_xor_b32 s16, s16, -1
	v_mov_b32_e32 v55, v0
	v_cndmask_b32_e64 v9, 0, 1, s16
	s_mov_b32 s16, -1
	v_cndmask_b32_e32 v3, 0, v8, vcc_lo
	v_cmp_ne_u32_e32 vcc_lo, 0, v9
	v_mov_b32_e32 v9, 0
	v_mov_b32_e32 v54, v3
	s_cbranch_vccz .LBB2_128
; %bb.126:                              ;   in Loop: Header=BB2_57 Depth=2
	s_and_saveexec_b32 s17, s16
	s_cbranch_execnz .LBB2_139
	s_branch .LBB2_147
.LBB2_127:                              ;   in Loop: Header=BB2_57 Depth=2
	s_mov_b32 s16, 0
	s_and_saveexec_b32 s17, s6
	s_cbranch_execnz .LBB2_148
	s_branch .LBB2_166
.LBB2_128:                              ;   in Loop: Header=BB2_57 Depth=2
	v_ashrrev_i32_e32 v9, 31, v3
	s_mov_b32 s17, exec_lo
	v_lshrrev_b32_e32 v9, 22, v9
	v_add_nc_u32_e32 v9, v3, v9
	v_ashrrev_i32_e32 v9, 10, v9
	v_sub_nc_u32_e32 v67, v9, v97
	v_cmpx_lt_i32_e32 0, v67
	s_cbranch_execz .LBB2_132
; %bb.129:                              ;   in Loop: Header=BB2_57 Depth=2
	v_mov_b32_e32 v55, v39
	v_mov_b32_e32 v54, v38
	s_mov_b32 s23, 0
	.p2align	6
.LBB2_130:                              ;   Parent Loop BB2_47 Depth=1
                                        ;     Parent Loop BB2_57 Depth=2
                                        ; =>    This Inner Loop Header: Depth=3
	v_add_co_u32 v80, vcc_lo, v12, v54
	v_add_co_ci_u32_e64 v81, null, v13, v55, vcc_lo
	v_sub_nc_u32_e32 v67, v67, v87
	v_add_co_u32 v57, vcc_lo, v14, v54
	s_clause 0x1
	global_load_dwordx4 v[68:71], v[80:81], off slc
	global_load_dwordx4 v[80:83], v[80:81], off offset:512 slc
	v_add_co_ci_u32_e64 v58, null, v15, v55, vcc_lo
	v_cmp_gt_i32_e32 vcc_lo, 1, v67
	v_add_co_u32 v54, s16, v54, v116
	v_add_co_ci_u32_e64 v55, null, 0, v55, s16
	s_or_b32 s23, vcc_lo, s23
	s_waitcnt vmcnt(1)
	global_store_dwordx4 v[57:58], v[68:71], off glc slc
	s_waitcnt vmcnt(0)
	global_store_dwordx4 v[57:58], v[80:83], off offset:512 glc slc
	s_andn2_b32 exec_lo, exec_lo, s23
	s_cbranch_execnz .LBB2_130
; %bb.131:                              ;   in Loop: Header=BB2_57 Depth=2
	s_or_b32 exec_lo, exec_lo, s23
.LBB2_132:                              ;   in Loop: Header=BB2_57 Depth=2
	s_or_b32 exec_lo, exec_lo, s17
	v_lshlrev_b32_e32 v66, 10, v9
	v_mov_b32_e32 v9, 0
	s_mov_b32 s16, 0
	s_mov_b32 s23, exec_lo
                                        ; implicit-def: $vgpr54
                                        ; implicit-def: $vgpr55
	v_cmpx_ne_u32_e64 v3, v66
	s_cbranch_execz .LBB2_138
; %bb.133:                              ;   in Loop: Header=BB2_57 Depth=2
	v_lshlrev_b32_e32 v9, 5, v67
	v_sub_nc_u32_e32 v67, v3, v66
	s_mov_b32 s61, exec_lo
	v_sub_nc_u32_e32 v9, v96, v9
	v_ashrrev_i32_e32 v55, 31, v67
	v_ashrrev_i32_e32 v54, 31, v9
	v_lshrrev_b32_e32 v55, 23, v55
	v_lshrrev_b32_e32 v54, 27, v54
	v_add_nc_u32_e32 v69, v67, v55
	v_add_nc_u32_e32 v54, v9, v54
	v_ashrrev_i32_e32 v71, 9, v69
	v_and_b32_e32 v68, 0xffffffe0, v54
	v_ashrrev_i32_e32 v70, 5, v54
	v_sub_nc_u32_e32 v55, v9, v68
	v_and_b32_e32 v9, 0xfffffe00, v69
	v_lshlrev_b32_e32 v68, 4, v55
	v_sub_nc_u32_e32 v54, v67, v9
	v_lshl_add_u32 v69, v70, 9, v68
	v_cmp_lt_i32_e32 vcc_lo, 15, v54
	v_sub_nc_u32_e32 v68, v67, v69
	v_add_co_ci_u32_e64 v71, null, 0, v71, vcc_lo
	v_sub_nc_u32_e32 v67, v71, v70
	v_cmpx_lt_i32_e32 15, v68
	s_cbranch_execz .LBB2_137
; %bb.134:                              ;   in Loop: Header=BB2_57 Depth=2
	v_add_nc_u32_e32 v69, v69, v66
	s_mov_b32 s62, 0
	v_ashrrev_i32_e32 v70, 31, v69
	.p2align	6
.LBB2_135:                              ;   Parent Loop BB2_47 Depth=1
                                        ;     Parent Loop BB2_57 Depth=2
                                        ; =>    This Inner Loop Header: Depth=3
	v_add_co_u32 v80, s16, v12, v69
	v_add_co_ci_u32_e64 v81, null, v13, v70, s16
	v_sub_nc_u32_e32 v68, v68, v117
	v_add_co_u32 v57, s16, v14, v69
	global_load_dwordx4 v[80:83], v[80:81], off slc
	v_add_co_ci_u32_e64 v58, null, v15, v70, s16
	v_cmp_gt_i32_e64 s16, 16, v68
	v_add_co_u32 v69, s17, v69, v117
	v_sub_nc_u32_e32 v67, v67, v87
	v_add_co_ci_u32_e64 v70, null, 0, v70, s17
	s_or_b32 s62, s16, s62
	s_waitcnt vmcnt(0)
	global_store_dwordx4 v[57:58], v[80:83], off glc slc
	s_andn2_b32 exec_lo, exec_lo, s62
	s_cbranch_execnz .LBB2_135
; %bb.136:                              ;   in Loop: Header=BB2_57 Depth=2
	s_or_b32 exec_lo, exec_lo, s62
.LBB2_137:                              ;   in Loop: Header=BB2_57 Depth=2
	s_or_b32 exec_lo, exec_lo, s61
	v_and_b32_e32 v68, 15, v3
	v_cmp_lt_i32_e64 s16, 0, v67
	v_sub_nc_u32_e32 v69, v54, v68
	v_cndmask_b32_e64 v70, 0, v87, s16
	v_cndmask_b32_e32 v54, v54, v68, vcc_lo
	v_cndmask_b32_e32 v68, 0, v69, vcc_lo
	v_sub_nc_u32_e32 v67, v70, v67
	v_cmp_ne_u32_e32 vcc_lo, 0, v54
	v_add3_u32 v9, v9, v66, v68
	v_lshl_add_u32 v55, v67, 5, v55
	s_and_b32 s16, vcc_lo, exec_lo
.LBB2_138:                              ;   in Loop: Header=BB2_57 Depth=2
	s_or_b32 exec_lo, exec_lo, s23
	s_and_saveexec_b32 s17, s16
	s_cbranch_execz .LBB2_147
.LBB2_139:                              ;   in Loop: Header=BB2_57 Depth=2
	v_ashrrev_i32_e32 v66, 31, v55
	v_ashrrev_i32_e32 v67, 31, v54
	s_mov_b32 s16, exec_lo
	v_lshrrev_b32_e32 v66, 27, v66
	v_add_nc_u32_sdwa v67, v54, v67 dst_sel:DWORD dst_unused:UNUSED_PAD src0_sel:DWORD src1_sel:BYTE_3
	v_add_nc_u32_e32 v69, v55, v66
	v_ashrrev_i32_e32 v68, 8, v67
	v_ashrrev_i32_e32 v66, 5, v69
	v_sub_nc_u32_e32 v67, v68, v66
	v_cmpx_lt_i32_e32 0, v67
	s_cbranch_execz .LBB2_143
; %bb.140:                              ;   in Loop: Header=BB2_57 Depth=2
	v_and_b32_e32 v69, 0xffffffe0, v69
	v_lshlrev_b32_e32 v70, 8, v66
	s_mov_b32 s23, 0
	v_sub_nc_u32_e32 v69, v55, v69
	v_add3_u32 v69, v9, v69, v70
	v_ashrrev_i32_e32 v70, 31, v69
.LBB2_141:                              ;   Parent Loop BB2_47 Depth=1
                                        ;     Parent Loop BB2_57 Depth=2
                                        ; =>    This Inner Loop Header: Depth=3
	v_add_co_u32 v80, vcc_lo, v69, v12
	v_add_co_ci_u32_e64 v81, null, v70, v13, vcc_lo
	v_sub_nc_u32_e32 v67, v67, v87
	s_clause 0x7
	flat_load_ubyte v71, v[80:81] slc
	flat_load_ubyte v82, v[80:81] offset:32 slc
	flat_load_ubyte v83, v[80:81] offset:64 slc
	;; [unrolled: 1-line block ×7, first 2 shown]
	v_add_co_u32 v80, vcc_lo, v69, v14
	v_add_co_ci_u32_e64 v81, null, v70, v15, vcc_lo
	v_add_co_u32 v12, vcc_lo, v12, v118
	v_add_co_ci_u32_e64 v13, null, 0, v13, vcc_lo
	;; [unrolled: 2-line block ×3, first 2 shown]
	v_cmp_gt_i32_e32 vcc_lo, 1, v67
	s_waitcnt vmcnt(7) lgkmcnt(7)
	flat_store_byte v[80:81], v71 glc slc
	s_waitcnt vmcnt(6) lgkmcnt(7)
	flat_store_byte v[80:81], v82 offset:32 glc slc
	s_waitcnt vmcnt(5) lgkmcnt(7)
	flat_store_byte v[80:81], v83 offset:64 glc slc
	;; [unrolled: 2-line block ×7, first 2 shown]
	s_or_b32 s23, vcc_lo, s23
	s_andn2_b32 exec_lo, exec_lo, s23
	s_cbranch_execnz .LBB2_141
; %bb.142:                              ;   in Loop: Header=BB2_57 Depth=2
	s_or_b32 exec_lo, exec_lo, s23
.LBB2_143:                              ;   in Loop: Header=BB2_57 Depth=2
	s_or_b32 exec_lo, exec_lo, s16
	v_lshlrev_b32_e32 v12, 8, v68
	v_cmp_ne_u32_e32 vcc_lo, v54, v12
	s_and_b32 exec_lo, exec_lo, vcc_lo
	s_cbranch_execz .LBB2_147
; %bb.144:                              ;   in Loop: Header=BB2_57 Depth=2
	v_lshlrev_b32_e32 v13, 5, v66
	v_lshlrev_b32_e32 v14, 5, v67
	v_sub_nc_u32_e32 v13, v55, v13
	v_sub_nc_u32_e32 v13, v13, v14
	v_add_nc_u32_e32 v15, v12, v13
	v_sub_nc_u32_e32 v14, v54, v15
	v_cmp_lt_i32_e32 vcc_lo, 0, v14
	s_and_b32 exec_lo, exec_lo, vcc_lo
	s_cbranch_execz .LBB2_147
; %bb.145:                              ;   in Loop: Header=BB2_57 Depth=2
	s_trap 2
	ds_read_b64 v[12:13], v0
	v_add_nc_u32_e32 v9, v15, v9
	s_mov_b32 s23, 0
	v_ashrrev_i32_e32 v15, 31, v9
	.p2align	6
.LBB2_146:                              ;   Parent Loop BB2_47 Depth=1
                                        ;     Parent Loop BB2_57 Depth=2
                                        ; =>    This Inner Loop Header: Depth=3
	s_waitcnt lgkmcnt(0)
	v_add_co_u32 v54, vcc_lo, v12, v9
	v_add_co_ci_u32_e64 v55, null, v13, v15, vcc_lo
	v_sub_nc_u32_e32 v14, v14, v98
	v_add_co_u32 v9, s16, v9, v98
	flat_load_ubyte v66, v[54:55] slc
	v_add_co_ci_u32_e64 v15, null, 0, v15, s16
	v_cmp_gt_i32_e32 vcc_lo, 1, v14
	s_or_b32 s23, vcc_lo, s23
	s_waitcnt vmcnt(0) lgkmcnt(0)
	flat_store_byte v[54:55], v66 glc slc
	s_andn2_b32 exec_lo, exec_lo, s23
	s_cbranch_execnz .LBB2_146
.LBB2_147:                              ;   in Loop: Header=BB2_57 Depth=2
	s_or_b32 exec_lo, exec_lo, s17
	v_cmp_lt_i32_e64 s16, 0, v3
	s_and_saveexec_b32 s17, s6
	s_cbranch_execz .LBB2_166
.LBB2_148:                              ;   in Loop: Header=BB2_57 Depth=2
	s_and_saveexec_b32 s23, s29
	s_xor_b32 s23, exec_lo, s23
	s_cbranch_execz .LBB2_163
; %bb.149:                              ;   in Loop: Header=BB2_57 Depth=2
	s_and_saveexec_b32 s61, s11
	s_cbranch_execz .LBB2_162
; %bb.150:                              ;   in Loop: Header=BB2_57 Depth=2
	s_mov_b32 s63, exec_lo
	s_mov_b32 s62, exec_lo
	v_mbcnt_lo_u32_b32 v3, s63, 0
	s_waitcnt vmcnt(0) lgkmcnt(0)
	s_waitcnt_vscnt null, 0x0
	buffer_gl1_inv
	buffer_gl0_inv
	v_cmpx_eq_u32_e32 0, v3
	s_cbranch_execz .LBB2_152
; %bb.151:                              ;   in Loop: Header=BB2_57 Depth=2
	s_bcnt1_i32_b32 s63, s63
	v_mov_b32_e32 v13, v2
	v_mov_b32_e32 v12, s63
	ds_add_u64 v0, v[12:13]
	s_trap 2
.LBB2_152:                              ;   in Loop: Header=BB2_57 Depth=2
	s_or_b32 exec_lo, exec_lo, s62
	s_trap 2
	ds_read_b64 v[12:13], v0
	s_waitcnt lgkmcnt(0)
	buffer_gl0_inv
	v_add_co_u32 v28, vcc_lo, v28, v87
	v_add_co_ci_u32_e64 v29, null, 0, v29, vcc_lo
	s_mov_b32 s62, exec_lo
	v_cmpx_lt_u64_e64 v[12:13], v[28:29]
	s_cbranch_execz .LBB2_161
; %bb.153:                              ;   in Loop: Header=BB2_57 Depth=2
	s_mov_b32 s63, 0
	s_mov_b32 s74, 0
                                        ; implicit-def: $sgpr72
                                        ; implicit-def: $sgpr73
	s_inst_prefetch 0x1
	s_branch .LBB2_155
	.p2align	6
.LBB2_154:                              ;   in Loop: Header=BB2_155 Depth=3
	s_or_b32 exec_lo, exec_lo, s76
	s_and_b32 s75, exec_lo, s77
	s_or_b32 s63, s75, s63
	s_andn2_b32 s72, s72, exec_lo
	s_and_b32 s75, s73, exec_lo
	s_or_b32 s72, s72, s75
	s_andn2_b32 exec_lo, exec_lo, s63
	s_cbranch_execz .LBB2_159
.LBB2_155:                              ;   Parent Loop BB2_47 Depth=1
                                        ;     Parent Loop BB2_57 Depth=2
                                        ; =>    This Inner Loop Header: Depth=3
	s_add_i32 s74, s74, 1
	s_cmpk_lg_i32 s74, 0x2710
	s_cselect_b32 s75, -1, 0
	s_and_b32 vcc_lo, exec_lo, s75
	s_cbranch_vccz .LBB2_157
; %bb.156:                              ;   in Loop: Header=BB2_155 Depth=3
	s_mov_b32 s77, -1
	s_or_b32 s73, s73, exec_lo
	s_and_saveexec_b32 s76, s75
	s_cbranch_execz .LBB2_154
	s_branch .LBB2_158
	.p2align	6
.LBB2_157:                              ;   in Loop: Header=BB2_155 Depth=3
	s_trap 2
	ds_read_b64 v[12:13], v0
	s_andn2_b32 s75, s75, exec_lo
	s_mov_b32 s74, 0
	s_waitcnt lgkmcnt(0)
	flat_load_dword v3, v[12:13] glc dlc
	s_waitcnt vmcnt(0) lgkmcnt(0)
	buffer_gl1_inv
	buffer_gl0_inv
	v_cmp_eq_u32_e32 vcc_lo, 0, v3
	s_and_b32 s76, vcc_lo, exec_lo
	s_or_b32 s75, s75, s76
	s_mov_b32 s77, -1
	s_or_b32 s73, s73, exec_lo
	s_and_saveexec_b32 s76, s75
	s_cbranch_execz .LBB2_154
.LBB2_158:                              ;   in Loop: Header=BB2_155 Depth=3
	s_sleep 1
	s_trap 2
	ds_read_b64 v[12:13], v0
	s_waitcnt lgkmcnt(0)
	buffer_gl0_inv
	s_andn2_b32 s73, s73, exec_lo
	v_cmp_ge_u64_e32 vcc_lo, v[12:13], v[28:29]
	s_orn2_b32 s77, vcc_lo, exec_lo
	s_branch .LBB2_154
.LBB2_159:                              ;   in Loop: Header=BB2_57 Depth=2
	s_inst_prefetch 0x2
	s_or_b32 exec_lo, exec_lo, s63
	s_and_saveexec_b32 s63, s72
	s_xor_b32 s63, exec_lo, s63
	s_cbranch_execz .LBB2_161
; %bb.160:                              ;   in Loop: Header=BB2_57 Depth=2
	ds_write_b32 v0, v100
	s_trap 2
.LBB2_161:                              ;   in Loop: Header=BB2_57 Depth=2
	s_or_b32 exec_lo, exec_lo, s62
	;;#ASMSTART
	s_wakeup
	;;#ASMEND
.LBB2_162:                              ;   in Loop: Header=BB2_57 Depth=2
	s_or_b32 exec_lo, exec_lo, s61
.LBB2_163:                              ;   in Loop: Header=BB2_57 Depth=2
	s_andn2_saveexec_b32 s23, s23
	s_cbranch_execz .LBB2_165
; %bb.164:                              ;   in Loop: Header=BB2_57 Depth=2
	s_waitcnt vmcnt(0) lgkmcnt(0)
	s_waitcnt_vscnt null, 0x0
	buffer_gl1_inv
	buffer_gl0_inv
	s_barrier
.LBB2_165:                              ;   in Loop: Header=BB2_57 Depth=2
	s_or_b32 exec_lo, exec_lo, s23
.LBB2_166:                              ;   in Loop: Header=BB2_57 Depth=2
	s_or_b32 exec_lo, exec_lo, s17
	v_and_b32_e32 v3, 16, v84
	s_and_saveexec_b32 s17, s15
	s_xor_b32 s17, exec_lo, s17
	s_cbranch_execz .LBB2_170
; %bb.167:                              ;   in Loop: Header=BB2_57 Depth=2
	v_and_b32_e32 v3, 16, v84
	v_cmp_ne_u32_e32 vcc_lo, 0, v3
	v_and_b32_e32 v3, 16, v84
	s_and_b32 s23, vcc_lo, s16
	s_and_saveexec_b32 s16, s23
	s_cbranch_execz .LBB2_169
; %bb.168:                              ;   in Loop: Header=BB2_57 Depth=2
	v_mov_b32_e32 v3, 1
	s_waitcnt vmcnt(0) lgkmcnt(0)
	s_waitcnt_vscnt null, 0x0
	buffer_gl1_inv
	buffer_gl0_inv
.LBB2_169:                              ;   in Loop: Header=BB2_57 Depth=2
	s_or_b32 exec_lo, exec_lo, s16
.LBB2_170:                              ;   in Loop: Header=BB2_57 Depth=2
	s_andn2_saveexec_b32 s16, s17
	s_cbranch_execz .LBB2_189
; %bb.171:                              ;   in Loop: Header=BB2_57 Depth=2
	s_and_saveexec_b32 s17, s29
	s_xor_b32 s17, exec_lo, s17
	s_cbranch_execz .LBB2_186
; %bb.172:                              ;   in Loop: Header=BB2_57 Depth=2
	s_and_saveexec_b32 s23, s11
	s_cbranch_execz .LBB2_185
; %bb.173:                              ;   in Loop: Header=BB2_57 Depth=2
	s_mov_b32 s62, exec_lo
	s_mov_b32 s61, exec_lo
	v_mbcnt_lo_u32_b32 v9, s62, 0
	;;#ASMSTART
	s_waitcnt lgkmcnt(0) vmcnt(0)
	;;#ASMEND
	v_cmpx_eq_u32_e32 0, v9
	s_cbranch_execz .LBB2_175
; %bb.174:                              ;   in Loop: Header=BB2_57 Depth=2
	s_bcnt1_i32_b32 s62, s62
	v_mov_b32_e32 v13, v2
	v_mov_b32_e32 v12, s62
	s_waitcnt vmcnt(0) lgkmcnt(0)
	s_waitcnt_vscnt null, 0x0
	ds_add_u64 v0, v[12:13]
	s_trap 2
.LBB2_175:                              ;   in Loop: Header=BB2_57 Depth=2
	s_or_b32 exec_lo, exec_lo, s61
	s_trap 2
	ds_read_b64 v[12:13], v0
	s_waitcnt vmcnt(0) lgkmcnt(0)
	buffer_gl0_inv
	v_add_co_u32 v28, vcc_lo, v28, v87
	v_add_co_ci_u32_e64 v29, null, 0, v29, vcc_lo
	s_mov_b32 s61, exec_lo
	v_cmpx_lt_u64_e64 v[12:13], v[28:29]
	s_cbranch_execz .LBB2_184
; %bb.176:                              ;   in Loop: Header=BB2_57 Depth=2
	s_mov_b32 s62, 0
	s_mov_b32 s73, 0
                                        ; implicit-def: $sgpr63
                                        ; implicit-def: $sgpr72
	s_inst_prefetch 0x1
	s_branch .LBB2_178
	.p2align	6
.LBB2_177:                              ;   in Loop: Header=BB2_178 Depth=3
	s_or_b32 exec_lo, exec_lo, s75
	s_and_b32 s74, exec_lo, s76
	s_or_b32 s62, s74, s62
	s_andn2_b32 s63, s63, exec_lo
	s_and_b32 s74, s72, exec_lo
	s_or_b32 s63, s63, s74
	s_andn2_b32 exec_lo, exec_lo, s62
	s_cbranch_execz .LBB2_182
.LBB2_178:                              ;   Parent Loop BB2_47 Depth=1
                                        ;     Parent Loop BB2_57 Depth=2
                                        ; =>    This Inner Loop Header: Depth=3
	s_add_i32 s73, s73, 1
	s_cmpk_lg_i32 s73, 0x2710
	s_cselect_b32 s74, -1, 0
	s_and_b32 vcc_lo, exec_lo, s74
	s_cbranch_vccz .LBB2_180
; %bb.179:                              ;   in Loop: Header=BB2_178 Depth=3
	s_mov_b32 s76, -1
	s_or_b32 s72, s72, exec_lo
	s_and_saveexec_b32 s75, s74
	s_cbranch_execz .LBB2_177
	s_branch .LBB2_181
	.p2align	6
.LBB2_180:                              ;   in Loop: Header=BB2_178 Depth=3
	s_trap 2
	ds_read_b64 v[12:13], v0
	s_andn2_b32 s74, s74, exec_lo
	s_mov_b32 s73, 0
	s_waitcnt lgkmcnt(0)
	s_waitcnt_vscnt null, 0x0
	flat_load_dword v9, v[12:13] glc dlc
	s_waitcnt vmcnt(0) lgkmcnt(0)
	buffer_gl1_inv
	buffer_gl0_inv
	v_cmp_eq_u32_e32 vcc_lo, 0, v9
	s_and_b32 s75, vcc_lo, exec_lo
	s_or_b32 s74, s74, s75
	s_mov_b32 s76, -1
	s_or_b32 s72, s72, exec_lo
	s_and_saveexec_b32 s75, s74
	s_cbranch_execz .LBB2_177
.LBB2_181:                              ;   in Loop: Header=BB2_178 Depth=3
	s_sleep 1
	s_trap 2
	ds_read_b64 v[12:13], v0
	s_waitcnt lgkmcnt(0)
	buffer_gl0_inv
	s_andn2_b32 s72, s72, exec_lo
	v_cmp_ge_u64_e32 vcc_lo, v[12:13], v[28:29]
	s_orn2_b32 s76, vcc_lo, exec_lo
	s_branch .LBB2_177
.LBB2_182:                              ;   in Loop: Header=BB2_57 Depth=2
	s_inst_prefetch 0x2
	s_or_b32 exec_lo, exec_lo, s62
	s_and_saveexec_b32 s62, s63
	s_xor_b32 s62, exec_lo, s62
	s_cbranch_execz .LBB2_184
; %bb.183:                              ;   in Loop: Header=BB2_57 Depth=2
	ds_write_b32 v0, v100
	s_trap 2
.LBB2_184:                              ;   in Loop: Header=BB2_57 Depth=2
	s_or_b32 exec_lo, exec_lo, s61
	;;#ASMSTART
	s_wakeup
	;;#ASMEND
.LBB2_185:                              ;   in Loop: Header=BB2_57 Depth=2
	s_or_b32 exec_lo, exec_lo, s23
.LBB2_186:                              ;   in Loop: Header=BB2_57 Depth=2
	s_andn2_saveexec_b32 s17, s17
	s_cbranch_execz .LBB2_188
; %bb.187:                              ;   in Loop: Header=BB2_57 Depth=2
	;;#ASMSTART
	s_waitcnt lgkmcnt(0) vmcnt(0)
	;;#ASMEND
	s_barrier
.LBB2_188:                              ;   in Loop: Header=BB2_57 Depth=2
	s_or_b32 exec_lo, exec_lo, s17
.LBB2_189:                              ;   in Loop: Header=BB2_57 Depth=2
	s_or_b32 exec_lo, exec_lo, s16
	s_mov_b32 s16, exec_lo
	v_cmpx_ne_u32_e32 0, v3
	s_cbranch_execz .LBB2_56
; %bb.190:                              ;   in Loop: Header=BB2_57 Depth=2
	s_and_saveexec_b32 s17, s10
	s_cbranch_execz .LBB2_55
; %bb.191:                              ;   in Loop: Header=BB2_57 Depth=2
	s_waitcnt vmcnt(0) lgkmcnt(0)
	s_waitcnt_vscnt null, 0x0
	flat_store_dword v[26:27], v100
	s_branch .LBB2_55
.LBB2_192:                              ;   in Loop: Header=BB2_47 Depth=1
	s_or_b32 exec_lo, exec_lo, s19
.LBB2_193:                              ;   in Loop: Header=BB2_47 Depth=1
	s_or_b32 exec_lo, exec_lo, s18
	s_mov_b32 s17, exec_lo
	v_cmpx_gt_i32_e32 2, v3
	s_cbranch_execz .LBB2_265
; %bb.194:                              ;   in Loop: Header=BB2_47 Depth=1
	v_cmp_eq_u32_e64 s19, 0, v3
	s_mov_b32 s18, 0
	s_branch .LBB2_197
.LBB2_195:                              ;   in Loop: Header=BB2_197 Depth=2
	s_or_b32 exec_lo, exec_lo, s19
	v_add_co_u32 v50, vcc_lo, v50, 2
	v_add_co_ci_u32_e64 v51, null, 0, v51, vcc_lo
	s_waitcnt vmcnt(0) lgkmcnt(0)
	s_waitcnt_vscnt null, 0x0
	flat_store_dwordx2 v[22:23], v[50:51]
.LBB2_196:                              ;   in Loop: Header=BB2_197 Depth=2
	s_or_b32 exec_lo, exec_lo, s16
	v_add_nc_u32_e32 v65, v8, v65
	s_mov_b32 s19, 0
	s_andn2_b32 exec_lo, exec_lo, s18
	s_cbranch_execz .LBB2_264
.LBB2_197:                              ;   Parent Loop BB2_47 Depth=1
                                        ; =>  This Loop Header: Depth=2
                                        ;       Child Loop BB2_203 Depth 3
                                        ;       Child Loop BB2_227 Depth 3
	;; [unrolled: 1-line block ×3, first 2 shown]
	v_sub_nc_u32_e32 v3, v64, v65
	v_and_b32_e32 v9, 8, v84
	s_mov_b32 s21, exec_lo
	v_min_i32_e32 v8, v8, v3
	v_cmpx_ne_u32_e32 0, v9
	s_cbranch_execz .LBB2_219
; %bb.198:                              ;   in Loop: Header=BB2_197 Depth=2
	s_waitcnt vmcnt(0) lgkmcnt(1)
	v_add_co_u32 v12, vcc_lo, v32, 8
	v_add_co_ci_u32_e64 v13, null, 0, v33, vcc_lo
	v_add_co_u32 v10, vcc_lo, v50, 2
	v_add_co_ci_u32_e64 v11, null, 0, v51, vcc_lo
	s_mov_b32 s22, exec_lo
	v_cmpx_lt_u64_e64 v[12:13], v[10:11]
	s_cbranch_execz .LBB2_210
; %bb.199:                              ;   in Loop: Header=BB2_197 Depth=2
	v_and_b32_e32 v3, 64, v84
	s_mov_b32 s23, 0
	s_mov_b32 s72, 0
                                        ; implicit-def: $sgpr61
                                        ; implicit-def: $sgpr62
                                        ; implicit-def: $sgpr63
	v_cmp_eq_u32_e32 vcc_lo, 0, v3
	s_branch .LBB2_203
.LBB2_200:                              ;   in Loop: Header=BB2_203 Depth=3
	s_waitcnt vmcnt(0) lgkmcnt(0)
	v_add_co_u32 v12, s16, v32, 8
	v_add_co_ci_u32_e64 v13, null, 0, v33, s16
	s_or_b32 s75, s75, exec_lo
	v_cmp_ge_u64_e64 s16, v[12:13], v[10:11]
	s_orn2_b32 s74, s16, exec_lo
.LBB2_201:                              ;   in Loop: Header=BB2_203 Depth=3
	s_or_b32 exec_lo, exec_lo, s77
	s_andn2_b32 s16, s63, exec_lo
	s_and_b32 s63, s75, exec_lo
	s_andn2_b32 s62, s62, exec_lo
	s_and_b32 s74, s74, exec_lo
	s_or_b32 s63, s16, s63
	s_or_b32 s62, s62, s74
.LBB2_202:                              ;   in Loop: Header=BB2_203 Depth=3
	s_or_b32 exec_lo, exec_lo, s73
	s_and_b32 s16, exec_lo, s62
	s_or_b32 s23, s16, s23
	s_andn2_b32 s16, s61, exec_lo
	s_and_b32 s61, s63, exec_lo
	s_or_b32 s61, s16, s61
	s_andn2_b32 exec_lo, exec_lo, s23
	s_cbranch_execz .LBB2_207
.LBB2_203:                              ;   Parent Loop BB2_47 Depth=1
                                        ;     Parent Loop BB2_197 Depth=2
                                        ; =>    This Inner Loop Header: Depth=3
	s_sleep 1
	s_waitcnt vmcnt(0) lgkmcnt(0)
	flat_load_dwordx2 v[32:33], v[22:23] glc dlc
	s_or_b32 s63, s63, exec_lo
	s_or_b32 s62, s62, exec_lo
                                        ; implicit-def: $vgpr3
	s_and_saveexec_b32 s73, vcc_lo
	s_cbranch_execz .LBB2_202
; %bb.204:                              ;   in Loop: Header=BB2_203 Depth=3
	s_cmpk_lt_i32 s72, 0x270f
	s_mov_b32 s74, -1
	s_cselect_b32 s76, -1, 0
	s_cmpk_gt_i32 s72, 0x270e
	s_cbranch_scc0 .LBB2_206
; %bb.205:                              ;   in Loop: Header=BB2_203 Depth=3
	s_trap 2
	ds_read_b64 v[12:13], v0
	s_andn2_b32 s72, s76, exec_lo
	s_mov_b32 s75, 0
	s_waitcnt vmcnt(0) lgkmcnt(0)
	s_waitcnt_vscnt null, 0x0
	flat_load_dword v3, v[12:13] glc dlc
	s_waitcnt vmcnt(0) lgkmcnt(0)
	buffer_gl1_inv
	buffer_gl0_inv
	v_cmp_eq_u32_e64 s16, 0, v3
	s_and_b32 s16, s16, exec_lo
	s_or_b32 s76, s72, s16
	s_mov_b32 s72, 0
	s_and_saveexec_b32 s77, s76
	s_cbranch_execz .LBB2_201
	s_branch .LBB2_200
.LBB2_206:                              ;   in Loop: Header=BB2_203 Depth=3
	s_add_i32 s72, s72, 1
	s_mov_b32 s75, -1
                                        ; implicit-def: $vgpr3
	s_and_saveexec_b32 s77, s76
	s_cbranch_execz .LBB2_201
	s_branch .LBB2_200
.LBB2_207:                              ;   in Loop: Header=BB2_197 Depth=2
	s_or_b32 exec_lo, exec_lo, s23
	s_xor_b32 s16, s61, -1
	s_and_saveexec_b32 s23, s16
	s_xor_b32 s16, exec_lo, s23
	s_cbranch_execz .LBB2_209
; %bb.208:                              ;   in Loop: Header=BB2_197 Depth=2
	v_or_b32_e32 v84, 64, v84
	s_waitcnt vmcnt(0) lgkmcnt(0)
	s_waitcnt_vscnt null, 0x0
	ds_write_b32 v0, v3
	s_trap 2
.LBB2_209:                              ;   in Loop: Header=BB2_197 Depth=2
	s_or_b32 exec_lo, exec_lo, s16
.LBB2_210:                              ;   in Loop: Header=BB2_197 Depth=2
	s_or_b32 exec_lo, exec_lo, s22
	v_and_b32_e32 v3, 0x100, v84
	s_mov_b32 s16, -1
	;;#ASMSTART
	s_wakeup
	;;#ASMEND
                                        ; implicit-def: $vgpr12_vgpr13
	v_cmp_ne_u32_e32 vcc_lo, 0, v3
	v_and_b32_e32 v3, 7, v50
	s_and_saveexec_b32 s22, vcc_lo
	s_cbranch_execz .LBB2_214
; %bb.211:                              ;   in Loop: Header=BB2_197 Depth=2
	v_mad_u64_u32 v[14:15], null, v3, 24, v[6:7]
	v_ashrrev_i32_e32 v9, 31, v8
	flat_load_dword v12, v[14:15]
	flat_store_dwordx2 v[14:15], v[8:9] offset:8
	s_waitcnt vmcnt(0) lgkmcnt(1)
	v_cmp_eq_u32_e64 s16, 1, v12
	v_cmp_ne_u32_e32 vcc_lo, 1, v12
                                        ; implicit-def: $vgpr12_vgpr13
	s_and_saveexec_b32 s23, s16
	s_cbranch_execz .LBB2_213
; %bb.212:                              ;   in Loop: Header=BB2_197 Depth=2
	flat_load_dword v12, v[14:15] offset:4 glc dlc
	s_waitcnt vmcnt(0) lgkmcnt(0)
	v_ashrrev_i32_e32 v13, 31, v12
.LBB2_213:                              ;   in Loop: Header=BB2_197 Depth=2
	s_or_b32 exec_lo, exec_lo, s23
	s_orn2_b32 s16, vcc_lo, exec_lo
.LBB2_214:                              ;   in Loop: Header=BB2_197 Depth=2
	s_or_b32 exec_lo, exec_lo, s22
	s_and_saveexec_b32 s22, s16
; %bb.215:                              ;   in Loop: Header=BB2_197 Depth=2
	v_mad_i64_i32 v[12:13], null, v3, v85, 0
; %bb.216:                              ;   in Loop: Header=BB2_197 Depth=2
	s_or_b32 exec_lo, exec_lo, s22
	v_add_co_u32 v12, vcc_lo, v24, v12
	v_and_b32_e32 v3, 0x2000, v84
	v_add_co_ci_u32_e64 v13, null, v25, v13, vcc_lo
	s_mov_b32 s16, exec_lo
	ds_write_b64 v0, v[12:13] offset:784
	v_cmpx_ne_u32_e32 0, v3
	s_cbranch_execz .LBB2_218
; %bb.217:                              ;   in Loop: Header=BB2_197 Depth=2
	ds_read_b64 v[12:13], v0 offset:872
	s_waitcnt lgkmcnt(0)
	v_add_co_u32 v12, vcc_lo, v12, 1
	v_add_co_ci_u32_e64 v13, null, 0, v13, vcc_lo
	ds_write_b64 v0, v[12:13] offset:872
.LBB2_218:                              ;   in Loop: Header=BB2_197 Depth=2
	s_or_b32 exec_lo, exec_lo, s16
	v_mov_b32_e32 v51, v11
	v_mov_b32_e32 v50, v10
.LBB2_219:                              ;   in Loop: Header=BB2_197 Depth=2
	s_or_b32 exec_lo, exec_lo, s21
	s_xor_b32 s16, s19, -1
	s_and_b32 s16, exec_lo, s16
	s_or_b32 s18, s16, s18
	s_and_saveexec_b32 s16, s6
	s_cbranch_execz .LBB2_238
; %bb.220:                              ;   in Loop: Header=BB2_197 Depth=2
	s_and_saveexec_b32 s19, s29
	s_xor_b32 s19, exec_lo, s19
	s_cbranch_execz .LBB2_235
; %bb.221:                              ;   in Loop: Header=BB2_197 Depth=2
	s_and_saveexec_b32 s21, s11
	s_cbranch_execz .LBB2_234
; %bb.222:                              ;   in Loop: Header=BB2_197 Depth=2
	s_mov_b32 s23, exec_lo
	s_mov_b32 s22, exec_lo
	v_mbcnt_lo_u32_b32 v3, s23, 0
	s_waitcnt vmcnt(0) lgkmcnt(0)
	s_waitcnt_vscnt null, 0x0
	buffer_gl1_inv
	buffer_gl0_inv
	v_cmpx_eq_u32_e32 0, v3
	s_cbranch_execz .LBB2_224
; %bb.223:                              ;   in Loop: Header=BB2_197 Depth=2
	s_bcnt1_i32_b32 s23, s23
	v_mov_b32_e32 v10, v2
	v_mov_b32_e32 v9, s23
	ds_add_u64 v0, v[9:10]
	s_trap 2
.LBB2_224:                              ;   in Loop: Header=BB2_197 Depth=2
	s_or_b32 exec_lo, exec_lo, s22
	s_trap 2
	ds_read_b64 v[9:10], v0
	s_waitcnt lgkmcnt(0)
	buffer_gl0_inv
	v_add_co_u32 v28, vcc_lo, v28, v87
	v_add_co_ci_u32_e64 v29, null, 0, v29, vcc_lo
	s_mov_b32 s22, exec_lo
	v_cmpx_lt_u64_e64 v[9:10], v[28:29]
	s_cbranch_execz .LBB2_233
; %bb.225:                              ;   in Loop: Header=BB2_197 Depth=2
	s_mov_b32 s23, 0
	s_mov_b32 s63, 0
                                        ; implicit-def: $sgpr61
                                        ; implicit-def: $sgpr62
	s_inst_prefetch 0x1
	s_branch .LBB2_227
	.p2align	6
.LBB2_226:                              ;   in Loop: Header=BB2_227 Depth=3
	s_or_b32 exec_lo, exec_lo, s73
	s_and_b32 s72, exec_lo, s74
	s_or_b32 s23, s72, s23
	s_andn2_b32 s61, s61, exec_lo
	s_and_b32 s72, s62, exec_lo
	s_or_b32 s61, s61, s72
	s_andn2_b32 exec_lo, exec_lo, s23
	s_cbranch_execz .LBB2_231
.LBB2_227:                              ;   Parent Loop BB2_47 Depth=1
                                        ;     Parent Loop BB2_197 Depth=2
                                        ; =>    This Inner Loop Header: Depth=3
	s_add_i32 s63, s63, 1
	s_cmpk_lg_i32 s63, 0x2710
	s_cselect_b32 s72, -1, 0
	s_and_b32 vcc_lo, exec_lo, s72
	s_cbranch_vccz .LBB2_229
; %bb.228:                              ;   in Loop: Header=BB2_227 Depth=3
	s_mov_b32 s74, -1
	s_or_b32 s62, s62, exec_lo
	s_and_saveexec_b32 s73, s72
	s_cbranch_execz .LBB2_226
	s_branch .LBB2_230
	.p2align	6
.LBB2_229:                              ;   in Loop: Header=BB2_227 Depth=3
	s_trap 2
	ds_read_b64 v[9:10], v0
	s_andn2_b32 s72, s72, exec_lo
	s_mov_b32 s63, 0
	s_waitcnt lgkmcnt(0)
	flat_load_dword v3, v[9:10] glc dlc
	s_waitcnt vmcnt(0) lgkmcnt(0)
	buffer_gl1_inv
	buffer_gl0_inv
	v_cmp_eq_u32_e32 vcc_lo, 0, v3
	s_and_b32 s73, vcc_lo, exec_lo
	s_or_b32 s72, s72, s73
	s_mov_b32 s74, -1
	s_or_b32 s62, s62, exec_lo
	s_and_saveexec_b32 s73, s72
	s_cbranch_execz .LBB2_226
.LBB2_230:                              ;   in Loop: Header=BB2_227 Depth=3
	s_sleep 1
	s_trap 2
	ds_read_b64 v[9:10], v0
	s_waitcnt lgkmcnt(0)
	buffer_gl0_inv
	s_andn2_b32 s62, s62, exec_lo
	v_cmp_ge_u64_e32 vcc_lo, v[9:10], v[28:29]
	s_orn2_b32 s74, vcc_lo, exec_lo
	s_branch .LBB2_226
.LBB2_231:                              ;   in Loop: Header=BB2_197 Depth=2
	s_inst_prefetch 0x2
	s_or_b32 exec_lo, exec_lo, s23
	s_and_saveexec_b32 s23, s61
	s_xor_b32 s23, exec_lo, s23
	s_cbranch_execz .LBB2_233
; %bb.232:                              ;   in Loop: Header=BB2_197 Depth=2
	ds_write_b32 v0, v100
	s_trap 2
.LBB2_233:                              ;   in Loop: Header=BB2_197 Depth=2
	s_or_b32 exec_lo, exec_lo, s22
	;;#ASMSTART
	s_wakeup
	;;#ASMEND
.LBB2_234:                              ;   in Loop: Header=BB2_197 Depth=2
	s_or_b32 exec_lo, exec_lo, s21
.LBB2_235:                              ;   in Loop: Header=BB2_197 Depth=2
	s_andn2_saveexec_b32 s19, s19
	s_cbranch_execz .LBB2_237
; %bb.236:                              ;   in Loop: Header=BB2_197 Depth=2
	s_waitcnt vmcnt(0) lgkmcnt(0)
	s_waitcnt_vscnt null, 0x0
	buffer_gl1_inv
	buffer_gl0_inv
	s_barrier
.LBB2_237:                              ;   in Loop: Header=BB2_197 Depth=2
	s_or_b32 exec_lo, exec_lo, s19
.LBB2_238:                              ;   in Loop: Header=BB2_197 Depth=2
	s_or_b32 exec_lo, exec_lo, s16
	v_and_b32_e32 v3, 16, v84
	s_and_saveexec_b32 s16, s15
	s_xor_b32 s19, exec_lo, s16
	s_cbranch_execz .LBB2_242
; %bb.239:                              ;   in Loop: Header=BB2_197 Depth=2
	s_trap 2
	ds_read_b32 v3, v0
	v_cmp_lt_i32_e32 vcc_lo, 0, v8
	s_waitcnt lgkmcnt(0)
	v_readfirstlane_b32 s16, v3
	v_and_b32_e32 v3, 16, v84
	s_cmp_eq_u32 s16, 0
	v_cmp_ne_u32_e64 s16, 0, v3
	s_cselect_b32 s21, -1, 0
	v_and_b32_e32 v3, 16, v84
	s_and_b32 s21, vcc_lo, s21
	s_and_b32 s21, s16, s21
	s_and_saveexec_b32 s16, s21
	s_cbranch_execz .LBB2_241
; %bb.240:                              ;   in Loop: Header=BB2_197 Depth=2
	v_mov_b32_e32 v3, 1
	s_waitcnt vmcnt(0)
	s_waitcnt_vscnt null, 0x0
	buffer_gl1_inv
	buffer_gl0_inv
.LBB2_241:                              ;   in Loop: Header=BB2_197 Depth=2
	s_or_b32 exec_lo, exec_lo, s16
.LBB2_242:                              ;   in Loop: Header=BB2_197 Depth=2
	s_andn2_saveexec_b32 s16, s19
	s_cbranch_execz .LBB2_261
; %bb.243:                              ;   in Loop: Header=BB2_197 Depth=2
	s_and_saveexec_b32 s19, s29
	s_xor_b32 s19, exec_lo, s19
	s_cbranch_execz .LBB2_258
; %bb.244:                              ;   in Loop: Header=BB2_197 Depth=2
	s_and_saveexec_b32 s21, s11
	s_cbranch_execz .LBB2_257
; %bb.245:                              ;   in Loop: Header=BB2_197 Depth=2
	s_mov_b32 s23, exec_lo
	s_mov_b32 s22, exec_lo
	v_mbcnt_lo_u32_b32 v9, s23, 0
	;;#ASMSTART
	s_waitcnt lgkmcnt(0) vmcnt(0)
	;;#ASMEND
	v_cmpx_eq_u32_e32 0, v9
	s_cbranch_execz .LBB2_247
; %bb.246:                              ;   in Loop: Header=BB2_197 Depth=2
	s_bcnt1_i32_b32 s23, s23
	v_mov_b32_e32 v10, v2
	v_mov_b32_e32 v9, s23
	s_waitcnt vmcnt(0) lgkmcnt(0)
	s_waitcnt_vscnt null, 0x0
	ds_add_u64 v0, v[9:10]
	s_trap 2
.LBB2_247:                              ;   in Loop: Header=BB2_197 Depth=2
	s_or_b32 exec_lo, exec_lo, s22
	s_trap 2
	ds_read_b64 v[9:10], v0
	s_waitcnt vmcnt(0) lgkmcnt(0)
	buffer_gl0_inv
	v_add_co_u32 v28, vcc_lo, v28, v87
	v_add_co_ci_u32_e64 v29, null, 0, v29, vcc_lo
	s_mov_b32 s22, exec_lo
	v_cmpx_lt_u64_e64 v[9:10], v[28:29]
	s_cbranch_execz .LBB2_256
; %bb.248:                              ;   in Loop: Header=BB2_197 Depth=2
	s_mov_b32 s23, 0
	s_mov_b32 s63, 0
                                        ; implicit-def: $sgpr61
                                        ; implicit-def: $sgpr62
	s_inst_prefetch 0x1
	s_branch .LBB2_250
	.p2align	6
.LBB2_249:                              ;   in Loop: Header=BB2_250 Depth=3
	s_or_b32 exec_lo, exec_lo, s73
	s_and_b32 s72, exec_lo, s74
	s_or_b32 s23, s72, s23
	s_andn2_b32 s61, s61, exec_lo
	s_and_b32 s72, s62, exec_lo
	s_or_b32 s61, s61, s72
	s_andn2_b32 exec_lo, exec_lo, s23
	s_cbranch_execz .LBB2_254
.LBB2_250:                              ;   Parent Loop BB2_47 Depth=1
                                        ;     Parent Loop BB2_197 Depth=2
                                        ; =>    This Inner Loop Header: Depth=3
	s_add_i32 s63, s63, 1
	s_cmpk_lg_i32 s63, 0x2710
	s_cselect_b32 s72, -1, 0
	s_and_b32 vcc_lo, exec_lo, s72
	s_cbranch_vccz .LBB2_252
; %bb.251:                              ;   in Loop: Header=BB2_250 Depth=3
	s_mov_b32 s74, -1
	s_or_b32 s62, s62, exec_lo
	s_and_saveexec_b32 s73, s72
	s_cbranch_execz .LBB2_249
	s_branch .LBB2_253
	.p2align	6
.LBB2_252:                              ;   in Loop: Header=BB2_250 Depth=3
	s_trap 2
	ds_read_b64 v[9:10], v0
	s_andn2_b32 s72, s72, exec_lo
	s_mov_b32 s63, 0
	s_waitcnt lgkmcnt(0)
	s_waitcnt_vscnt null, 0x0
	flat_load_dword v9, v[9:10] glc dlc
	s_waitcnt vmcnt(0) lgkmcnt(0)
	buffer_gl1_inv
	buffer_gl0_inv
	v_cmp_eq_u32_e32 vcc_lo, 0, v9
	s_and_b32 s73, vcc_lo, exec_lo
	s_or_b32 s72, s72, s73
	s_mov_b32 s74, -1
	s_or_b32 s62, s62, exec_lo
	s_and_saveexec_b32 s73, s72
	s_cbranch_execz .LBB2_249
.LBB2_253:                              ;   in Loop: Header=BB2_250 Depth=3
	s_sleep 1
	s_trap 2
	ds_read_b64 v[9:10], v0
	s_waitcnt lgkmcnt(0)
	buffer_gl0_inv
	s_andn2_b32 s62, s62, exec_lo
	v_cmp_ge_u64_e32 vcc_lo, v[9:10], v[28:29]
	s_orn2_b32 s74, vcc_lo, exec_lo
	s_branch .LBB2_249
.LBB2_254:                              ;   in Loop: Header=BB2_197 Depth=2
	s_inst_prefetch 0x2
	s_or_b32 exec_lo, exec_lo, s23
	s_and_saveexec_b32 s23, s61
	s_xor_b32 s23, exec_lo, s23
	s_cbranch_execz .LBB2_256
; %bb.255:                              ;   in Loop: Header=BB2_197 Depth=2
	ds_write_b32 v0, v100
	s_trap 2
.LBB2_256:                              ;   in Loop: Header=BB2_197 Depth=2
	s_or_b32 exec_lo, exec_lo, s22
	;;#ASMSTART
	s_wakeup
	;;#ASMEND
.LBB2_257:                              ;   in Loop: Header=BB2_197 Depth=2
	s_or_b32 exec_lo, exec_lo, s21
.LBB2_258:                              ;   in Loop: Header=BB2_197 Depth=2
	s_andn2_saveexec_b32 s19, s19
	s_cbranch_execz .LBB2_260
; %bb.259:                              ;   in Loop: Header=BB2_197 Depth=2
	;;#ASMSTART
	s_waitcnt lgkmcnt(0) vmcnt(0)
	;;#ASMEND
	s_barrier
.LBB2_260:                              ;   in Loop: Header=BB2_197 Depth=2
	s_or_b32 exec_lo, exec_lo, s19
.LBB2_261:                              ;   in Loop: Header=BB2_197 Depth=2
	s_or_b32 exec_lo, exec_lo, s16
	s_mov_b32 s16, exec_lo
	v_cmpx_ne_u32_e32 0, v3
	s_cbranch_execz .LBB2_196
; %bb.262:                              ;   in Loop: Header=BB2_197 Depth=2
	s_and_saveexec_b32 s19, s10
	s_cbranch_execz .LBB2_195
; %bb.263:                              ;   in Loop: Header=BB2_197 Depth=2
	s_waitcnt vmcnt(0) lgkmcnt(0)
	s_waitcnt_vscnt null, 0x0
	flat_store_dword v[26:27], v100
	s_branch .LBB2_195
.LBB2_264:                              ;   in Loop: Header=BB2_47 Depth=1
	s_or_b32 exec_lo, exec_lo, s18
.LBB2_265:                              ;   in Loop: Header=BB2_47 Depth=1
	s_or_b32 exec_lo, exec_lo, s17
	s_andn2_b32 vcc_lo, exec_lo, s46
	s_cbranch_vccnz .LBB2_2292
; %bb.266:                              ;   in Loop: Header=BB2_47 Depth=1
	s_mov_b32 s18, 2
	s_branch .LBB2_269
.LBB2_267:                              ;   in Loop: Header=BB2_269 Depth=2
	s_or_b32 exec_lo, exec_lo, s19
.LBB2_268:                              ;   in Loop: Header=BB2_269 Depth=2
	s_or_b32 exec_lo, exec_lo, s17
	s_add_i32 s18, s18, 1
	s_cmp_eq_u32 s18, s25
	s_cbranch_scc1 .LBB2_2292
.LBB2_269:                              ;   Parent Loop BB2_47 Depth=1
                                        ; =>  This Loop Header: Depth=2
                                        ;       Child Loop BB2_272 Depth 3
                                        ;         Child Loop BB2_280 Depth 4
                                        ;         Child Loop BB2_308 Depth 4
	;; [unrolled: 1-line block ×9, first 2 shown]
                                        ;       Child Loop BB2_2220 Depth 3
                                        ;         Child Loop BB2_2226 Depth 4
                                        ;         Child Loop BB2_2254 Depth 4
	;; [unrolled: 1-line block ×3, first 2 shown]
	s_sub_i32 s16, s42, s18
	v_mov_b32_e32 v58, 0
	s_cmp_ge_i32 s16, s25
	s_mov_b32 s21, 0
	s_cselect_b32 s17, s25, 0
	s_sub_i32 s16, s16, s17
	s_ashr_i32 s17, s16, 31
	v_mul_lo_u32 v3, v49, s16
	v_mad_u64_u32 v[64:65], null, v48, s16, 0
	v_mul_lo_u32 v8, v48, s17
	v_add3_u32 v65, v65, v8, v3
	v_sub_co_u32 v8, vcc_lo, v52, v64
	v_sub_co_ci_u32_e64 v9, null, v53, v65, vcc_lo
	v_cmp_lt_i64_e32 vcc_lo, v[48:49], v[8:9]
	v_cndmask_b32_e32 v8, v8, v48, vcc_lo
	v_max_i32_e32 v57, 0, v8
	v_cmp_lt_i32_e32 vcc_lo, 0, v8
	v_add_nc_u32_e32 v3, 31, v57
	s_and_b32 s16, s57, vcc_lo
	v_lshrrev_b32_e32 v3, 1, v3
	v_and_b32_e32 v9, 0x3ffffff0, v3
	v_mov_b32_e32 v3, 0
	v_max_i32_e32 v54, s45, v9
	s_and_saveexec_b32 s19, s16
	s_cbranch_execz .LBB2_2217
; %bb.270:                              ;   in Loop: Header=BB2_269 Depth=2
	v_mov_b32_e32 v58, 0
	s_mov_b32 s23, 1
	s_mov_b32 s22, -1
	s_branch .LBB2_272
.LBB2_271:                              ;   in Loop: Header=BB2_272 Depth=3
	s_or_b32 exec_lo, exec_lo, s16
	v_add_nc_u32_e32 v58, v54, v58
	s_xor_b32 s16, s22, -1
	v_mov_b32_e32 v3, s23
	s_mov_b32 s22, 0
	s_mov_b32 s23, 2
	v_cmp_ge_i32_e32 vcc_lo, v58, v57
	s_or_b32 s16, s16, vcc_lo
	s_and_b32 s16, exec_lo, s16
	s_or_b32 s21, s16, s21
	s_andn2_b32 exec_lo, exec_lo, s21
	s_cbranch_execz .LBB2_2216
.LBB2_272:                              ;   Parent Loop BB2_47 Depth=1
                                        ;     Parent Loop BB2_269 Depth=2
                                        ; =>    This Loop Header: Depth=3
                                        ;         Child Loop BB2_280 Depth 4
                                        ;         Child Loop BB2_308 Depth 4
                                        ;         Child Loop BB2_327 Depth 4
                                        ;         Child Loop BB2_352 Depth 4
                                        ;         Child Loop BB2_1061 Depth 4
                                        ;         Child Loop BB2_1771 Depth 4
                                        ;         Child Loop BB2_2128 Depth 4
                                        ;         Child Loop BB2_2178 Depth 4
                                        ;         Child Loop BB2_2201 Depth 4
	s_and_saveexec_b32 s16, s4
	s_cbranch_execz .LBB2_274
; %bb.273:                              ;   in Loop: Header=BB2_272 Depth=3
	s_trap 2
	ds_read_b64 v[8:9], v0
	s_waitcnt lgkmcnt(0)
	v_add_co_u32 v3, vcc_lo, v8, v47
	v_add_co_ci_u32_e64 v8, null, v9, v56, vcc_lo
	v_ashrrev_i32_e32 v9, 31, v58
	v_add_co_u32 v3, vcc_lo, v3, v64
	v_add_co_ci_u32_e64 v10, null, v8, v65, vcc_lo
	v_add_co_u32 v8, vcc_lo, v3, v58
	v_add_co_ci_u32_e64 v9, null, v10, v9, vcc_lo
	v_mov_b32_e32 v3, v2
	ds_write_b64 v0, v[8:9]
	ds_write_b64 v0, v[2:3]
.LBB2_274:                              ;   in Loop: Header=BB2_272 Depth=3
	s_or_b32 exec_lo, exec_lo, s16
	v_sub_nc_u32_e32 v3, v57, v58
	v_and_b32_e32 v8, 12, v84
	s_mov_b32 s17, exec_lo
	v_min_i32_e32 v54, v54, v3
	v_cmpx_ne_u32_e32 0, v8
	s_cbranch_execz .LBB2_300
; %bb.275:                              ;   in Loop: Header=BB2_272 Depth=3
	v_and_b32_e32 v3, 8, v84
	s_mov_b32 s61, exec_lo
	s_waitcnt vmcnt(0) lgkmcnt(1)
	v_add_co_u32 v10, vcc_lo, v32, v3
	v_add_co_ci_u32_e64 v11, null, 0, v33, vcc_lo
	v_add_co_u32 v8, vcc_lo, v50, 2
	v_add_co_ci_u32_e64 v9, null, 0, v51, vcc_lo
	v_cmpx_lt_u64_e64 v[10:11], v[8:9]
	s_cbranch_execz .LBB2_287
; %bb.276:                              ;   in Loop: Header=BB2_272 Depth=3
	v_and_b32_e32 v10, 64, v84
	s_mov_b32 s62, 0
	s_mov_b32 s74, 0
                                        ; implicit-def: $sgpr63
                                        ; implicit-def: $sgpr72
                                        ; implicit-def: $sgpr73
	v_cmp_eq_u32_e32 vcc_lo, 0, v10
	s_branch .LBB2_280
.LBB2_277:                              ;   in Loop: Header=BB2_280 Depth=4
	s_waitcnt vmcnt(0) lgkmcnt(0)
	v_add_co_u32 v11, s16, v32, v3
	v_add_co_ci_u32_e64 v12, null, 0, v33, s16
	s_or_b32 s77, s77, exec_lo
	v_cmp_ge_u64_e64 s16, v[11:12], v[8:9]
	s_orn2_b32 s76, s16, exec_lo
.LBB2_278:                              ;   in Loop: Header=BB2_280 Depth=4
	s_or_b32 exec_lo, exec_lo, s79
	s_andn2_b32 s16, s73, exec_lo
	s_and_b32 s73, s77, exec_lo
	s_andn2_b32 s72, s72, exec_lo
	s_and_b32 s76, s76, exec_lo
	s_or_b32 s73, s16, s73
	s_or_b32 s72, s72, s76
.LBB2_279:                              ;   in Loop: Header=BB2_280 Depth=4
	s_or_b32 exec_lo, exec_lo, s75
	s_and_b32 s16, exec_lo, s72
	s_or_b32 s62, s16, s62
	s_andn2_b32 s16, s63, exec_lo
	s_and_b32 s63, s73, exec_lo
	s_or_b32 s63, s16, s63
	s_andn2_b32 exec_lo, exec_lo, s62
	s_cbranch_execz .LBB2_284
.LBB2_280:                              ;   Parent Loop BB2_47 Depth=1
                                        ;     Parent Loop BB2_269 Depth=2
                                        ;       Parent Loop BB2_272 Depth=3
                                        ; =>      This Inner Loop Header: Depth=4
	s_sleep 1
	s_waitcnt vmcnt(0) lgkmcnt(0)
	flat_load_dwordx2 v[32:33], v[22:23] glc dlc
	s_or_b32 s73, s73, exec_lo
	s_or_b32 s72, s72, exec_lo
                                        ; implicit-def: $vgpr10
	s_and_saveexec_b32 s75, vcc_lo
	s_cbranch_execz .LBB2_279
; %bb.281:                              ;   in Loop: Header=BB2_280 Depth=4
	s_cmpk_lt_i32 s74, 0x270f
	s_mov_b32 s76, -1
	s_cselect_b32 s78, -1, 0
	s_cmpk_gt_i32 s74, 0x270e
	s_cbranch_scc0 .LBB2_283
; %bb.282:                              ;   in Loop: Header=BB2_280 Depth=4
	s_trap 2
	ds_read_b64 v[10:11], v0
	s_andn2_b32 s74, s78, exec_lo
	s_mov_b32 s77, 0
	s_waitcnt vmcnt(0) lgkmcnt(0)
	s_waitcnt_vscnt null, 0x0
	flat_load_dword v10, v[10:11] glc dlc
	s_waitcnt vmcnt(0) lgkmcnt(0)
	buffer_gl1_inv
	buffer_gl0_inv
	v_cmp_eq_u32_e64 s16, 0, v10
	s_and_b32 s16, s16, exec_lo
	s_or_b32 s78, s74, s16
	s_mov_b32 s74, 0
	s_and_saveexec_b32 s79, s78
	s_cbranch_execz .LBB2_278
	s_branch .LBB2_277
.LBB2_283:                              ;   in Loop: Header=BB2_280 Depth=4
	s_add_i32 s74, s74, 1
	s_mov_b32 s77, -1
                                        ; implicit-def: $vgpr10
	s_and_saveexec_b32 s79, s78
	s_cbranch_execz .LBB2_278
	s_branch .LBB2_277
.LBB2_284:                              ;   in Loop: Header=BB2_272 Depth=3
	s_or_b32 exec_lo, exec_lo, s62
	s_xor_b32 s16, s63, -1
	s_and_saveexec_b32 s62, s16
	s_xor_b32 s16, exec_lo, s62
	s_cbranch_execz .LBB2_286
; %bb.285:                              ;   in Loop: Header=BB2_272 Depth=3
	v_or_b32_e32 v84, 64, v84
	s_waitcnt vmcnt(0) lgkmcnt(0)
	s_waitcnt_vscnt null, 0x0
	ds_write_b32 v0, v10
	s_trap 2
.LBB2_286:                              ;   in Loop: Header=BB2_272 Depth=3
	s_or_b32 exec_lo, exec_lo, s16
.LBB2_287:                              ;   in Loop: Header=BB2_272 Depth=3
	s_or_b32 exec_lo, exec_lo, s61
	v_and_b32_e32 v10, 0x108, v84
	;;#ASMSTART
	s_wakeup
	;;#ASMEND
	v_cmp_ne_u32_e32 vcc_lo, 0x108, v10
                                        ; implicit-def: $vgpr10_vgpr11
	s_and_saveexec_b32 s16, vcc_lo
	s_xor_b32 s16, exec_lo, s16
; %bb.288:                              ;   in Loop: Header=BB2_272 Depth=3
	v_and_b32_e32 v10, 7, v50
	v_mov_b32_e32 v11, v2
                                        ; implicit-def: $vgpr50_vgpr51
; %bb.289:                              ;   in Loop: Header=BB2_272 Depth=3
	s_andn2_saveexec_b32 s16, s16
	s_cbranch_execz .LBB2_291
; %bb.290:                              ;   in Loop: Header=BB2_272 Depth=3
	v_and_b32_e32 v10, 7, v50
	v_ashrrev_i32_e32 v55, 31, v54
	v_mov_b32_e32 v11, v2
	v_mad_u64_u32 v[12:13], null, v10, 24, v[6:7]
	flat_store_dwordx2 v[12:13], v[54:55] offset:8
.LBB2_291:                              ;   in Loop: Header=BB2_272 Depth=3
	s_or_b32 exec_lo, exec_lo, s16
	v_and_b32_e32 v12, 0x100, v84
	s_mov_b32 s16, -1
	v_cmp_ne_u32_e32 vcc_lo, 0, v12
                                        ; implicit-def: $vgpr12_vgpr13
	s_and_saveexec_b32 s61, vcc_lo
	s_cbranch_execz .LBB2_295
; %bb.292:                              ;   in Loop: Header=BB2_272 Depth=3
	v_mad_u64_u32 v[14:15], null, v10, 24, v[6:7]
	v_mov_b32_e32 v12, v15
	v_mad_u64_u32 v[12:13], null, v11, 24, v[12:13]
	v_mov_b32_e32 v15, v12
	flat_load_dword v12, v[14:15]
	s_waitcnt vmcnt(0) lgkmcnt(0)
	v_cmp_eq_u32_e64 s16, 1, v12
	v_cmp_ne_u32_e32 vcc_lo, 1, v12
                                        ; implicit-def: $vgpr12_vgpr13
	s_and_saveexec_b32 s62, s16
	s_cbranch_execz .LBB2_294
; %bb.293:                              ;   in Loop: Header=BB2_272 Depth=3
	flat_load_dword v12, v[14:15] offset:4 glc dlc
	s_waitcnt vmcnt(0) lgkmcnt(0)
	v_ashrrev_i32_e32 v13, 31, v12
.LBB2_294:                              ;   in Loop: Header=BB2_272 Depth=3
	s_or_b32 exec_lo, exec_lo, s62
	s_orn2_b32 s16, vcc_lo, exec_lo
.LBB2_295:                              ;   in Loop: Header=BB2_272 Depth=3
	s_or_b32 exec_lo, exec_lo, s61
	s_and_saveexec_b32 s61, s16
; %bb.296:                              ;   in Loop: Header=BB2_272 Depth=3
	v_mul_lo_u32 v11, v11, v85
	v_mul_lo_u32 v14, v10, v86
	v_mad_u64_u32 v[12:13], null, v10, v85, 0
	v_add3_u32 v13, v13, v14, v11
; %bb.297:                              ;   in Loop: Header=BB2_272 Depth=3
	s_or_b32 exec_lo, exec_lo, s61
	v_cmp_eq_u32_e32 vcc_lo, 0, v3
	v_and_b32_e32 v14, 0x2000, v84
	s_mov_b32 s16, exec_lo
	v_cndmask_b32_e32 v3, 0xc8, v101, vcc_lo
	v_add_co_u32 v10, vcc_lo, v24, v12
	v_add_co_ci_u32_e64 v11, null, v25, v13, vcc_lo
	v_add_nc_u32_e32 v3, v0, v3
	ds_write_b64 v3, v[10:11] offset:584
	v_cmpx_ne_u32_e32 0, v14
	s_cbranch_execz .LBB2_299
; %bb.298:                              ;   in Loop: Header=BB2_272 Depth=3
	ds_read_b64 v[10:11], v0 offset:872
	s_waitcnt lgkmcnt(0)
	v_add_co_u32 v10, vcc_lo, v10, 1
	v_add_co_ci_u32_e64 v11, null, 0, v11, vcc_lo
	ds_write_b64 v0, v[10:11] offset:872
.LBB2_299:                              ;   in Loop: Header=BB2_272 Depth=3
	s_or_b32 exec_lo, exec_lo, s16
	v_mov_b32_e32 v51, v9
	v_mov_b32_e32 v50, v8
.LBB2_300:                              ;   in Loop: Header=BB2_272 Depth=3
	s_or_b32 exec_lo, exec_lo, s17
	s_and_saveexec_b32 s16, s6
	s_cbranch_execz .LBB2_319
; %bb.301:                              ;   in Loop: Header=BB2_272 Depth=3
	s_and_saveexec_b32 s17, s29
	s_xor_b32 s17, exec_lo, s17
	s_cbranch_execz .LBB2_316
; %bb.302:                              ;   in Loop: Header=BB2_272 Depth=3
	s_and_saveexec_b32 s61, s11
	s_cbranch_execz .LBB2_315
; %bb.303:                              ;   in Loop: Header=BB2_272 Depth=3
	s_mov_b32 s63, exec_lo
	s_mov_b32 s62, exec_lo
	v_mbcnt_lo_u32_b32 v3, s63, 0
	s_waitcnt vmcnt(0) lgkmcnt(0)
	s_waitcnt_vscnt null, 0x0
	buffer_gl1_inv
	buffer_gl0_inv
	v_cmpx_eq_u32_e32 0, v3
	s_cbranch_execz .LBB2_305
; %bb.304:                              ;   in Loop: Header=BB2_272 Depth=3
	s_bcnt1_i32_b32 s63, s63
	v_mov_b32_e32 v9, v2
	v_mov_b32_e32 v8, s63
	ds_add_u64 v0, v[8:9]
	s_trap 2
.LBB2_305:                              ;   in Loop: Header=BB2_272 Depth=3
	s_or_b32 exec_lo, exec_lo, s62
	s_trap 2
	ds_read_b64 v[8:9], v0
	s_waitcnt lgkmcnt(0)
	buffer_gl0_inv
	v_add_co_u32 v28, vcc_lo, v28, v87
	v_add_co_ci_u32_e64 v29, null, 0, v29, vcc_lo
	s_mov_b32 s62, exec_lo
	v_cmpx_lt_u64_e64 v[8:9], v[28:29]
	s_cbranch_execz .LBB2_314
; %bb.306:                              ;   in Loop: Header=BB2_272 Depth=3
	s_mov_b32 s63, 0
	s_mov_b32 s74, 0
                                        ; implicit-def: $sgpr72
                                        ; implicit-def: $sgpr73
	s_inst_prefetch 0x1
	s_branch .LBB2_308
	.p2align	6
.LBB2_307:                              ;   in Loop: Header=BB2_308 Depth=4
	s_or_b32 exec_lo, exec_lo, s76
	s_and_b32 s75, exec_lo, s77
	s_or_b32 s63, s75, s63
	s_andn2_b32 s72, s72, exec_lo
	s_and_b32 s75, s73, exec_lo
	s_or_b32 s72, s72, s75
	s_andn2_b32 exec_lo, exec_lo, s63
	s_cbranch_execz .LBB2_312
.LBB2_308:                              ;   Parent Loop BB2_47 Depth=1
                                        ;     Parent Loop BB2_269 Depth=2
                                        ;       Parent Loop BB2_272 Depth=3
                                        ; =>      This Inner Loop Header: Depth=4
	s_add_i32 s74, s74, 1
	s_cmpk_lg_i32 s74, 0x2710
	s_cselect_b32 s75, -1, 0
	s_and_b32 vcc_lo, exec_lo, s75
	s_cbranch_vccz .LBB2_310
; %bb.309:                              ;   in Loop: Header=BB2_308 Depth=4
	s_mov_b32 s77, -1
	s_or_b32 s73, s73, exec_lo
	s_and_saveexec_b32 s76, s75
	s_cbranch_execz .LBB2_307
	s_branch .LBB2_311
	.p2align	6
.LBB2_310:                              ;   in Loop: Header=BB2_308 Depth=4
	s_trap 2
	ds_read_b64 v[8:9], v0
	s_andn2_b32 s75, s75, exec_lo
	s_mov_b32 s74, 0
	s_waitcnt lgkmcnt(0)
	flat_load_dword v3, v[8:9] glc dlc
	s_waitcnt vmcnt(0) lgkmcnt(0)
	buffer_gl1_inv
	buffer_gl0_inv
	v_cmp_eq_u32_e32 vcc_lo, 0, v3
	s_and_b32 s76, vcc_lo, exec_lo
	s_or_b32 s75, s75, s76
	s_mov_b32 s77, -1
	s_or_b32 s73, s73, exec_lo
	s_and_saveexec_b32 s76, s75
	s_cbranch_execz .LBB2_307
.LBB2_311:                              ;   in Loop: Header=BB2_308 Depth=4
	s_sleep 1
	s_trap 2
	ds_read_b64 v[8:9], v0
	s_waitcnt lgkmcnt(0)
	buffer_gl0_inv
	s_andn2_b32 s73, s73, exec_lo
	v_cmp_ge_u64_e32 vcc_lo, v[8:9], v[28:29]
	s_orn2_b32 s77, vcc_lo, exec_lo
	s_branch .LBB2_307
.LBB2_312:                              ;   in Loop: Header=BB2_272 Depth=3
	s_inst_prefetch 0x2
	s_or_b32 exec_lo, exec_lo, s63
	s_and_saveexec_b32 s63, s72
	s_xor_b32 s63, exec_lo, s63
	s_cbranch_execz .LBB2_314
; %bb.313:                              ;   in Loop: Header=BB2_272 Depth=3
	ds_write_b32 v0, v100
	s_trap 2
.LBB2_314:                              ;   in Loop: Header=BB2_272 Depth=3
	s_or_b32 exec_lo, exec_lo, s62
	;;#ASMSTART
	s_wakeup
	;;#ASMEND
.LBB2_315:                              ;   in Loop: Header=BB2_272 Depth=3
	s_or_b32 exec_lo, exec_lo, s61
.LBB2_316:                              ;   in Loop: Header=BB2_272 Depth=3
	s_andn2_saveexec_b32 s17, s17
	s_cbranch_execz .LBB2_318
; %bb.317:                              ;   in Loop: Header=BB2_272 Depth=3
	s_waitcnt vmcnt(0) lgkmcnt(0)
	s_waitcnt_vscnt null, 0x0
	buffer_gl1_inv
	buffer_gl0_inv
	s_barrier
.LBB2_318:                              ;   in Loop: Header=BB2_272 Depth=3
	s_or_b32 exec_lo, exec_lo, s17
.LBB2_319:                              ;   in Loop: Header=BB2_272 Depth=3
	s_or_b32 exec_lo, exec_lo, s16
	s_trap 2
	ds_read_b32 v3, v0
	v_and_b32_e32 v8, 0x4000, v84
	s_xor_b32 s16, s5, -1
	v_cmp_ne_u32_e32 vcc_lo, 0, v8
	s_and_b32 s17, s16, vcc_lo
	s_and_saveexec_b32 s16, s17
	s_cbranch_execz .LBB2_338
; %bb.320:                              ;   in Loop: Header=BB2_272 Depth=3
	s_and_saveexec_b32 s17, s29
	s_xor_b32 s17, exec_lo, s17
	s_cbranch_execz .LBB2_335
; %bb.321:                              ;   in Loop: Header=BB2_272 Depth=3
	s_and_saveexec_b32 s61, s11
	s_cbranch_execz .LBB2_334
; %bb.322:                              ;   in Loop: Header=BB2_272 Depth=3
	s_mov_b32 s63, exec_lo
	s_mov_b32 s62, exec_lo
	v_mbcnt_lo_u32_b32 v8, s63, 0
	s_waitcnt vmcnt(0) lgkmcnt(0)
	s_waitcnt_vscnt null, 0x0
	buffer_gl1_inv
	buffer_gl0_inv
	v_cmpx_eq_u32_e32 0, v8
	s_cbranch_execz .LBB2_324
; %bb.323:                              ;   in Loop: Header=BB2_272 Depth=3
	s_bcnt1_i32_b32 s63, s63
	v_mov_b32_e32 v9, v2
	v_mov_b32_e32 v8, s63
	ds_add_u64 v0, v[8:9]
	s_trap 2
.LBB2_324:                              ;   in Loop: Header=BB2_272 Depth=3
	s_or_b32 exec_lo, exec_lo, s62
	s_trap 2
	ds_read_b64 v[8:9], v0
	s_waitcnt lgkmcnt(0)
	buffer_gl0_inv
	v_add_co_u32 v28, vcc_lo, v28, v87
	v_add_co_ci_u32_e64 v29, null, 0, v29, vcc_lo
	s_mov_b32 s62, exec_lo
	v_cmpx_lt_u64_e64 v[8:9], v[28:29]
	s_cbranch_execz .LBB2_333
; %bb.325:                              ;   in Loop: Header=BB2_272 Depth=3
	s_mov_b32 s63, 0
	s_mov_b32 s74, 0
                                        ; implicit-def: $sgpr72
                                        ; implicit-def: $sgpr73
	s_inst_prefetch 0x1
	s_branch .LBB2_327
	.p2align	6
.LBB2_326:                              ;   in Loop: Header=BB2_327 Depth=4
	s_or_b32 exec_lo, exec_lo, s76
	s_and_b32 s75, exec_lo, s77
	s_or_b32 s63, s75, s63
	s_andn2_b32 s72, s72, exec_lo
	s_and_b32 s75, s73, exec_lo
	s_or_b32 s72, s72, s75
	s_andn2_b32 exec_lo, exec_lo, s63
	s_cbranch_execz .LBB2_331
.LBB2_327:                              ;   Parent Loop BB2_47 Depth=1
                                        ;     Parent Loop BB2_269 Depth=2
                                        ;       Parent Loop BB2_272 Depth=3
                                        ; =>      This Inner Loop Header: Depth=4
	s_add_i32 s74, s74, 1
	s_cmpk_lg_i32 s74, 0x2710
	s_cselect_b32 s75, -1, 0
	s_and_b32 vcc_lo, exec_lo, s75
	s_cbranch_vccz .LBB2_329
; %bb.328:                              ;   in Loop: Header=BB2_327 Depth=4
	s_mov_b32 s77, -1
	s_or_b32 s73, s73, exec_lo
	s_and_saveexec_b32 s76, s75
	s_cbranch_execz .LBB2_326
	s_branch .LBB2_330
	.p2align	6
.LBB2_329:                              ;   in Loop: Header=BB2_327 Depth=4
	s_trap 2
	ds_read_b64 v[8:9], v0
	s_andn2_b32 s75, s75, exec_lo
	s_mov_b32 s74, 0
	s_waitcnt lgkmcnt(0)
	flat_load_dword v8, v[8:9] glc dlc
	s_waitcnt vmcnt(0) lgkmcnt(0)
	buffer_gl1_inv
	buffer_gl0_inv
	v_cmp_eq_u32_e32 vcc_lo, 0, v8
	s_and_b32 s76, vcc_lo, exec_lo
	s_or_b32 s75, s75, s76
	s_mov_b32 s77, -1
	s_or_b32 s73, s73, exec_lo
	s_and_saveexec_b32 s76, s75
	s_cbranch_execz .LBB2_326
.LBB2_330:                              ;   in Loop: Header=BB2_327 Depth=4
	s_sleep 1
	s_trap 2
	ds_read_b64 v[8:9], v0
	s_waitcnt lgkmcnt(0)
	buffer_gl0_inv
	s_andn2_b32 s73, s73, exec_lo
	v_cmp_ge_u64_e32 vcc_lo, v[8:9], v[28:29]
	s_orn2_b32 s77, vcc_lo, exec_lo
	s_branch .LBB2_326
.LBB2_331:                              ;   in Loop: Header=BB2_272 Depth=3
	s_inst_prefetch 0x2
	s_or_b32 exec_lo, exec_lo, s63
	s_and_saveexec_b32 s63, s72
	s_xor_b32 s63, exec_lo, s63
	s_cbranch_execz .LBB2_333
; %bb.332:                              ;   in Loop: Header=BB2_272 Depth=3
	ds_write_b32 v0, v100
	s_trap 2
.LBB2_333:                              ;   in Loop: Header=BB2_272 Depth=3
	s_or_b32 exec_lo, exec_lo, s62
	;;#ASMSTART
	s_wakeup
	;;#ASMEND
.LBB2_334:                              ;   in Loop: Header=BB2_272 Depth=3
	s_or_b32 exec_lo, exec_lo, s61
.LBB2_335:                              ;   in Loop: Header=BB2_272 Depth=3
	s_andn2_saveexec_b32 s17, s17
	s_cbranch_execz .LBB2_337
; %bb.336:                              ;   in Loop: Header=BB2_272 Depth=3
	s_waitcnt vmcnt(0) lgkmcnt(0)
	s_waitcnt_vscnt null, 0x0
	buffer_gl1_inv
	buffer_gl0_inv
	s_barrier
.LBB2_337:                              ;   in Loop: Header=BB2_272 Depth=3
	s_or_b32 exec_lo, exec_lo, s17
.LBB2_338:                              ;   in Loop: Header=BB2_272 Depth=3
	s_or_b32 exec_lo, exec_lo, s16
	s_trap 2
	ds_read_b64 v[66:67], v0
	s_waitcnt lgkmcnt(0)
	v_cmp_eq_u64_e32 vcc_lo, 0, v[66:67]
	s_cbranch_vccnz .LBB2_346
; %bb.339:                              ;   in Loop: Header=BB2_272 Depth=3
	s_trap 2
	ds_read_b64 v[68:69], v0
	s_waitcnt lgkmcnt(0)
	v_cmp_eq_u64_e32 vcc_lo, 0, v[68:69]
	s_cbranch_vccnz .LBB2_346
; %bb.340:                              ;   in Loop: Header=BB2_272 Depth=3
	s_trap 2
	ds_read_b64 v[8:9], v0
	s_mov_b32 s16, -1
	s_waitcnt lgkmcnt(0)
	v_readfirstlane_b32 s61, v8
	s_and_saveexec_b32 s17, s14
	s_cbranch_execz .LBB2_342
; %bb.341:                              ;   in Loop: Header=BB2_272 Depth=3
	ds_read_b32 v8, v0 offset:720
	s_waitcnt lgkmcnt(0)
	v_and_b32_e32 v8, 15, v8
	v_cmp_eq_u32_e32 vcc_lo, 0, v8
	s_orn2_b32 s16, vcc_lo, exec_lo
.LBB2_342:                              ;   in Loop: Header=BB2_272 Depth=3
	s_or_b32 exec_lo, exec_lo, s17
	s_and_saveexec_b32 s17, s13
	s_cbranch_execz .LBB2_344
; %bb.343:                              ;   in Loop: Header=BB2_272 Depth=3
	ds_read_b32 v8, v0 offset:784
	s_waitcnt lgkmcnt(0)
	v_and_b32_e32 v8, 15, v8
	v_cmp_eq_u32_e32 vcc_lo, 0, v8
	s_and_b32 s62, s16, vcc_lo
	s_andn2_b32 s16, s16, exec_lo
	s_and_b32 s62, s62, exec_lo
	s_or_b32 s16, s16, s62
.LBB2_344:                              ;   in Loop: Header=BB2_272 Depth=3
	s_or_b32 exec_lo, exec_lo, s17
	v_cmp_eq_u32_e32 vcc_lo, 0, v3
	s_xor_b32 s16, s16, -1
	v_mov_b32_e32 v14, 0
	v_cndmask_b32_e64 v8, 0, 1, s16
	v_mov_b32_e32 v70, v0
	v_cndmask_b32_e32 v3, 0, v54, vcc_lo
	s_mov_b32 s63, -1
	v_cmp_ne_u32_e32 vcc_lo, 0, v8
	v_mov_b32_e32 v15, v3
	s_cbranch_vccz .LBB2_347
; %bb.345:                              ;   in Loop: Header=BB2_272 Depth=3
	s_and_saveexec_b32 s17, s63
	s_cbranch_execnz .LBB2_1766
	s_branch .LBB2_2170
.LBB2_346:                              ;   in Loop: Header=BB2_272 Depth=3
	s_mov_b32 s16, 0
	s_and_saveexec_b32 s17, s6
	s_cbranch_execnz .LBB2_2171
	s_branch .LBB2_2189
.LBB2_347:                              ;   in Loop: Header=BB2_272 Depth=3
	v_ashrrev_i32_e32 v8, 31, v3
	v_sub_nc_u32_e32 v59, v3, v99
	s_mov_b32 s62, exec_lo
	v_lshrrev_b32_e32 v8, 23, v8
	v_add_nc_u32_e32 v8, v3, v8
	v_and_b32_e32 v55, 0xfffffe00, v8
	v_ashrrev_i32_e32 v8, 9, v8
	v_sub_nc_u32_e32 v60, v3, v55
	v_sub_nc_u32_e32 v8, v8, v97
	v_cmp_lt_i32_e64 s16, 15, v60
	v_add_co_ci_u32_e64 v61, null, 0, v8, s16
	v_cmpx_lt_i32_e32 15, v59
	s_cbranch_execz .LBB2_1055
; %bb.348:                              ;   in Loop: Header=BB2_272 Depth=3
	s_trap 2
	ds_read_b64 v[8:9], v0
	v_add_co_u32 v70, vcc_lo, v66, v99
	v_add_co_ci_u32_e64 v71, null, 0, v67, vcc_lo
	s_bitcmp1_b32 s61, 0
	s_mov_b32 s63, 0
	s_cselect_b32 s72, -1, 0
	s_waitcnt lgkmcnt(0)
	v_add_co_u32 v80, vcc_lo, v8, v99
	v_add_co_ci_u32_e64 v81, null, 0, v9, vcc_lo
	v_add_co_u32 v82, vcc_lo, v68, v99
	v_add_co_ci_u32_e64 v83, null, 0, v69, vcc_lo
	s_branch .LBB2_352
.LBB2_349:                              ;   in Loop: Header=BB2_352 Depth=4
	s_or_b32 exec_lo, exec_lo, s17
	v_lshrrev_b32_e32 v10, 20, v10
	v_min_i32_e32 v11, 15, v9
	v_cmp_gt_i32_e32 vcc_lo, 16, v9
	v_and_b32_sdwa v8, v8, v103 dst_sel:DWORD dst_unused:UNUSED_PAD src0_sel:BYTE_3 src1_sel:DWORD
	v_lshlrev_b32_e32 v11, 3, v11
	v_cndmask_b32_e32 v10, 7, v10, vcc_lo
	v_and_b32_e32 v11, 0xf8, v11
	v_and_b32_e32 v15, 7, v10
	v_or_b32_e32 v9, v9, v10
	v_or3_b32 v8, v8, v11, v15
	v_cmp_ne_u32_e32 vcc_lo, 0, v9
	v_lshlrev_b32_e32 v8, 8, v8
	v_cndmask_b32_e32 v9, 0, v8, vcc_lo
.LBB2_350:                              ;   in Loop: Header=BB2_352 Depth=4
	s_or_b32 exec_lo, exec_lo, s74
.LBB2_351:                              ;   in Loop: Header=BB2_352 Depth=4
	s_or_b32 exec_lo, exec_lo, s73
	v_or_b32_sdwa v8, v13, v75 dst_sel:WORD_1 dst_unused:UNUSED_PAD src0_sel:DWORD src1_sel:DWORD
	v_or_b32_sdwa v10, v12, v72 dst_sel:WORD_1 dst_unused:UNUSED_PAD src0_sel:DWORD src1_sel:DWORD
	;; [unrolled: 1-line block ×4, first 2 shown]
	v_sub_nc_u32_e32 v59, v59, v117
	v_or3_b32 v9, v74, v73, v8
	v_or3_b32 v8, v63, v62, v10
	;; [unrolled: 1-line block ×4, first 2 shown]
	v_add_co_u32 v70, vcc_lo, v70, v117
	v_add_co_ci_u32_e64 v71, null, 0, v71, vcc_lo
	v_add_co_u32 v80, vcc_lo, v80, v117
	global_store_dwordx4 v[82:83], v[8:11], off glc slc
	v_add_co_ci_u32_e64 v81, null, 0, v81, vcc_lo
	v_cmp_gt_i32_e32 vcc_lo, 16, v59
	v_add_co_u32 v82, s17, v82, v117
	v_add_co_ci_u32_e64 v83, null, 0, v83, s17
	v_sub_nc_u32_e32 v61, v61, v87
	s_or_b32 s63, vcc_lo, s63
	s_andn2_b32 exec_lo, exec_lo, s63
	s_cbranch_execz .LBB2_1054
.LBB2_352:                              ;   Parent Loop BB2_47 Depth=1
                                        ;     Parent Loop BB2_269 Depth=2
                                        ;       Parent Loop BB2_272 Depth=3
                                        ; =>      This Inner Loop Header: Depth=4
	global_load_dwordx4 v[8:11], v[80:81], off slc
	global_load_dwordx4 v[12:15], v[70:71], off slc
	s_mov_b32 s17, -1
	s_waitcnt vmcnt(1)
	v_and_b32_e32 v62, 7, v8
	v_bfe_u32 v73, v8, 3, 4
	v_lshlrev_b32_e32 v74, 24, v8
	v_ffbh_u32_e32 v63, v62
	v_cmp_eq_u32_e32 vcc_lo, 0, v73
	v_min_u32_e32 v63, 32, v63
	v_subrev_nc_u32_e32 v72, 28, v63
	v_sub_nc_u32_e32 v63, 29, v63
	v_lshlrev_b32_e32 v72, v72, v8
	v_cndmask_b32_e32 v63, v73, v63, vcc_lo
	v_and_b32_e32 v72, 7, v72
	v_lshl_add_u32 v63, v63, 23, 0x3b800000
	v_cndmask_b32_e32 v62, v62, v72, vcc_lo
	v_and_b32_e32 v72, 0x80000000, v74
	s_and_b32 vcc_lo, exec_lo, s72
	v_lshlrev_b32_e32 v62, 20, v62
	v_or3_b32 v62, v72, v63, v62
                                        ; implicit-def: $vgpr63
	s_cbranch_vccz .LBB2_366
; %bb.353:                              ;   in Loop: Header=BB2_352 Depth=4
	s_waitcnt vmcnt(0)
	v_cmp_gt_i16_sdwa s73, v12, v102 src0_sel:BYTE_0 src1_sel:DWORD
	s_mov_b32 s17, 0
	s_and_saveexec_b32 s74, s73
	s_xor_b32 s73, exec_lo, s74
	s_cbranch_execz .LBB2_926
; %bb.354:                              ;   in Loop: Header=BB2_352 Depth=4
	v_cmp_eq_u16_sdwa s75, v12, v103 src0_sel:BYTE_0 src1_sel:DWORD
	s_mov_b32 s17, -1
	s_and_saveexec_b32 s74, s75
; %bb.355:                              ;   in Loop: Header=BB2_352 Depth=4
	s_xor_b32 s17, exec_lo, -1
; %bb.356:                              ;   in Loop: Header=BB2_352 Depth=4
	s_or_b32 exec_lo, exec_lo, s74
	s_and_b32 s17, s17, exec_lo
	s_or_saveexec_b32 s73, s73
	v_mov_b32_e32 v63, 0x7f800001
	s_xor_b32 exec_lo, exec_lo, s73
	s_cbranch_execnz .LBB2_927
.LBB2_357:                              ;   in Loop: Header=BB2_352 Depth=4
	s_or_b32 exec_lo, exec_lo, s73
	s_and_saveexec_b32 s73, s17
	s_cbranch_execz .LBB2_359
.LBB2_358:                              ;   in Loop: Header=BB2_352 Depth=4
	v_and_b32_e32 v63, 7, v12
	v_bfe_u32 v74, v12, 3, 4
	v_lshlrev_b32_e32 v75, 24, v12
	v_ffbh_u32_e32 v72, v63
	v_cmp_eq_u32_e32 vcc_lo, 0, v74
	v_min_u32_e32 v72, 32, v72
	v_subrev_nc_u32_e32 v73, 28, v72
	v_sub_nc_u32_e32 v72, 29, v72
	v_lshlrev_b32_e32 v73, v73, v12
	v_cndmask_b32_e32 v72, v74, v72, vcc_lo
	v_and_b32_e32 v73, 7, v73
	v_lshl_add_u32 v72, v72, 23, 0x3b800000
	v_cndmask_b32_e32 v63, v63, v73, vcc_lo
	v_and_b32_e32 v73, 0x80000000, v75
	v_lshlrev_b32_e32 v63, 20, v63
	v_or3_b32 v63, v73, v72, v63
.LBB2_359:                              ;   in Loop: Header=BB2_352 Depth=4
	s_or_b32 exec_lo, exec_lo, s73
	v_cmp_gt_i16_sdwa s73, v8, v102 src0_sel:BYTE_0 src1_sel:DWORD
	s_mov_b32 s17, 0
	s_and_saveexec_b32 s74, s73
	s_xor_b32 s73, exec_lo, s74
	s_cbranch_execz .LBB2_928
; %bb.360:                              ;   in Loop: Header=BB2_352 Depth=4
	v_cmp_eq_u16_sdwa s75, v8, v103 src0_sel:BYTE_0 src1_sel:DWORD
	s_mov_b32 s17, -1
	s_and_saveexec_b32 s74, s75
; %bb.361:                              ;   in Loop: Header=BB2_352 Depth=4
	s_xor_b32 s17, exec_lo, -1
; %bb.362:                              ;   in Loop: Header=BB2_352 Depth=4
	s_or_b32 exec_lo, exec_lo, s74
	s_and_b32 s17, s17, exec_lo
	s_or_saveexec_b32 s73, s73
	v_mov_b32_e32 v72, 0x7f800001
	s_xor_b32 exec_lo, exec_lo, s73
	s_cbranch_execnz .LBB2_929
.LBB2_363:                              ;   in Loop: Header=BB2_352 Depth=4
	s_or_b32 exec_lo, exec_lo, s73
	s_and_saveexec_b32 s73, s17
.LBB2_364:                              ;   in Loop: Header=BB2_352 Depth=4
	v_mov_b32_e32 v72, v62
.LBB2_365:                              ;   in Loop: Header=BB2_352 Depth=4
	s_or_b32 exec_lo, exec_lo, s73
	v_max_f32_e32 v72, v72, v72
	v_max_f32_e32 v63, v63, v63
	s_mov_b32 s17, 0
	v_max_f32_e32 v63, v63, v72
.LBB2_366:                              ;   in Loop: Header=BB2_352 Depth=4
	s_and_b32 vcc_lo, exec_lo, s17
	s_cbranch_vccz .LBB2_380
; %bb.367:                              ;   in Loop: Header=BB2_352 Depth=4
	s_waitcnt vmcnt(0)
	v_cmp_gt_i16_sdwa s73, v12, v102 src0_sel:BYTE_0 src1_sel:DWORD
	s_mov_b32 s17, 0
	s_and_saveexec_b32 s74, s73
	s_xor_b32 s73, exec_lo, s74
	s_cbranch_execz .LBB2_930
; %bb.368:                              ;   in Loop: Header=BB2_352 Depth=4
	v_cmp_eq_u16_sdwa s75, v12, v103 src0_sel:BYTE_0 src1_sel:DWORD
	s_mov_b32 s17, -1
	s_and_saveexec_b32 s74, s75
; %bb.369:                              ;   in Loop: Header=BB2_352 Depth=4
	s_xor_b32 s17, exec_lo, -1
; %bb.370:                              ;   in Loop: Header=BB2_352 Depth=4
	s_or_b32 exec_lo, exec_lo, s74
	s_and_b32 s17, s17, exec_lo
	s_or_saveexec_b32 s73, s73
	v_mov_b32_e32 v63, 0x7f800001
	s_xor_b32 exec_lo, exec_lo, s73
	s_cbranch_execnz .LBB2_931
.LBB2_371:                              ;   in Loop: Header=BB2_352 Depth=4
	s_or_b32 exec_lo, exec_lo, s73
	s_and_saveexec_b32 s73, s17
	s_cbranch_execz .LBB2_373
.LBB2_372:                              ;   in Loop: Header=BB2_352 Depth=4
	v_and_b32_e32 v63, 7, v12
	v_bfe_u32 v74, v12, 3, 4
	v_lshlrev_b32_e32 v75, 24, v12
	v_ffbh_u32_e32 v72, v63
	v_cmp_eq_u32_e32 vcc_lo, 0, v74
	v_min_u32_e32 v72, 32, v72
	v_subrev_nc_u32_e32 v73, 28, v72
	v_sub_nc_u32_e32 v72, 29, v72
	v_lshlrev_b32_e32 v73, v73, v12
	v_cndmask_b32_e32 v72, v74, v72, vcc_lo
	v_and_b32_e32 v73, 7, v73
	v_lshl_add_u32 v72, v72, 23, 0x3b800000
	v_cndmask_b32_e32 v63, v63, v73, vcc_lo
	v_and_b32_e32 v73, 0x80000000, v75
	v_lshlrev_b32_e32 v63, 20, v63
	v_or3_b32 v63, v73, v72, v63
.LBB2_373:                              ;   in Loop: Header=BB2_352 Depth=4
	s_or_b32 exec_lo, exec_lo, s73
	v_cmp_gt_i16_sdwa s73, v8, v102 src0_sel:BYTE_0 src1_sel:DWORD
	s_mov_b32 s17, 0
	s_and_saveexec_b32 s74, s73
	s_xor_b32 s73, exec_lo, s74
	s_cbranch_execz .LBB2_932
; %bb.374:                              ;   in Loop: Header=BB2_352 Depth=4
	v_cmp_eq_u16_sdwa s75, v8, v103 src0_sel:BYTE_0 src1_sel:DWORD
	s_mov_b32 s17, -1
	s_and_saveexec_b32 s74, s75
; %bb.375:                              ;   in Loop: Header=BB2_352 Depth=4
	s_xor_b32 s17, exec_lo, -1
; %bb.376:                              ;   in Loop: Header=BB2_352 Depth=4
	s_or_b32 exec_lo, exec_lo, s74
	s_and_b32 s17, s17, exec_lo
	s_or_saveexec_b32 s73, s73
	v_mov_b32_e32 v72, 0x7f800001
	s_xor_b32 exec_lo, exec_lo, s73
	s_cbranch_execnz .LBB2_933
.LBB2_377:                              ;   in Loop: Header=BB2_352 Depth=4
	s_or_b32 exec_lo, exec_lo, s73
	s_and_saveexec_b32 s73, s17
.LBB2_378:                              ;   in Loop: Header=BB2_352 Depth=4
	v_mov_b32_e32 v72, v62
.LBB2_379:                              ;   in Loop: Header=BB2_352 Depth=4
	s_or_b32 exec_lo, exec_lo, s73
	v_max_f32_e32 v62, v72, v72
	v_max_f32_e32 v63, v63, v63
	v_min_f32_e32 v63, v63, v62
.LBB2_380:                              ;   in Loop: Header=BB2_352 Depth=4
	v_and_b32_e32 v62, 0x7f800000, v63
	v_cmp_ne_u32_e32 vcc_lo, 0x7f800000, v62
	v_mov_b32_e32 v62, 0x80
	s_and_saveexec_b32 s73, vcc_lo
	s_cbranch_execz .LBB2_388
; %bb.381:                              ;   in Loop: Header=BB2_352 Depth=4
	v_mov_b32_e32 v62, 0
	s_mov_b32 s74, exec_lo
	v_cmpx_ne_u32_e32 0, v63
	s_cbranch_execz .LBB2_387
; %bb.382:                              ;   in Loop: Header=BB2_352 Depth=4
	v_bfe_u32 v62, v63, 23, 8
	v_and_b32_e32 v72, 0x7fffff, v63
	v_sub_nc_u32_e32 v73, 0x78, v62
	v_cmp_gt_u32_e32 vcc_lo, 0x79, v62
	v_or_b32_e32 v74, 0x800000, v72
	v_cndmask_b32_e32 v73, 0, v73, vcc_lo
	v_cmp_eq_u32_e32 vcc_lo, 0, v62
	v_add_nc_u32_e32 v62, 0xffffff89, v62
	v_cndmask_b32_e64 v73, v73, 0x77, vcc_lo
	v_cndmask_b32_e32 v72, v74, v72, vcc_lo
	v_cndmask_b32_e64 v62, v62, 0xffffff8a, vcc_lo
	v_lshl_add_u32 v74, 0x100000, v73, -1
	v_lshrrev_b32_e32 v75, v73, v72
	v_lshlrev_b32_e64 v77, v73, 0x80000
	v_add_nc_u32_e32 v73, v73, v62
	v_and_b32_e32 v72, v74, v72
	v_bfe_u32 v76, v75, 20, 1
	v_cmp_eq_u32_e64 s17, v72, v77
	v_add_nc_u32_e32 v74, -1, v76
	v_cndmask_b32_e64 v72, 0, v74, s17
	v_lshrrev_b32_e32 v74, 23, v75
	s_mov_b32 s17, exec_lo
	v_add_nc_u32_e32 v72, v72, v75
	v_xor_b32_e32 v74, 1, v74
	v_and_b32_e32 v62, 0xfffff, v72
	v_add_nc_u32_e32 v72, v62, v75
                                        ; implicit-def: $vgpr62
	v_cmpx_ne_u32_e64 v73, v74
	s_xor_b32 s17, exec_lo, s17
; %bb.383:                              ;   in Loop: Header=BB2_352 Depth=4
	v_cmp_lt_u32_e32 vcc_lo, 0xffffff, v72
	v_sub_nc_u32_e32 v62, v73, v74
	v_cndmask_b32_e64 v73, 0, 1, vcc_lo
	v_add_co_ci_u32_e64 v62, null, 0, v62, vcc_lo
	v_lshrrev_b32_e32 v72, v73, v72
; %bb.384:                              ;   in Loop: Header=BB2_352 Depth=4
	s_andn2_saveexec_b32 s17, s17
; %bb.385:                              ;   in Loop: Header=BB2_352 Depth=4
	v_bfe_u32 v62, v72, 23, 1
; %bb.386:                              ;   in Loop: Header=BB2_352 Depth=4
	s_or_b32 exec_lo, exec_lo, s17
	v_lshrrev_b32_e32 v72, 20, v72
	v_min_i32_e32 v73, 15, v62
	v_cmp_gt_i32_e32 vcc_lo, 16, v62
	v_and_b32_sdwa v63, v63, v103 dst_sel:DWORD dst_unused:UNUSED_PAD src0_sel:BYTE_3 src1_sel:DWORD
	v_lshlrev_b32_e32 v73, 3, v73
	v_cndmask_b32_e32 v72, 7, v72, vcc_lo
	v_and_b32_e32 v73, 0xf8, v73
	v_and_b32_e32 v74, 7, v72
	v_or_b32_e32 v62, v62, v72
	v_or3_b32 v63, v73, v63, v74
	v_cmp_ne_u32_e32 vcc_lo, 0, v62
	v_cndmask_b32_e32 v62, 0, v63, vcc_lo
.LBB2_387:                              ;   in Loop: Header=BB2_352 Depth=4
	s_or_b32 exec_lo, exec_lo, s74
.LBB2_388:                              ;   in Loop: Header=BB2_352 Depth=4
	s_or_b32 exec_lo, exec_lo, s73
	v_and_b32_sdwa v63, v112, v8 dst_sel:DWORD dst_unused:UNUSED_PAD src0_sel:DWORD src1_sel:BYTE_1
	s_mov_b32 s17, -1
	v_and_b32_e32 v72, 7, v63
	v_bfe_u32 v75, v63, 3, 4
	v_ffbh_u32_e32 v73, v72
	v_cmp_eq_u32_e32 vcc_lo, 0, v75
	v_min_u32_e32 v73, 32, v73
	v_subrev_nc_u32_e32 v74, 28, v73
	v_sub_nc_u32_e32 v73, 29, v73
	v_lshlrev_b32_e32 v63, v74, v63
	v_lshlrev_b32_sdwa v74, v113, v8 dst_sel:DWORD dst_unused:UNUSED_PAD src0_sel:DWORD src1_sel:BYTE_1
	v_cndmask_b32_e32 v73, v75, v73, vcc_lo
	v_and_b32_e32 v63, 7, v63
	v_lshl_add_u32 v73, v73, 23, 0x3b800000
	v_cndmask_b32_e32 v63, v72, v63, vcc_lo
	v_and_b32_e32 v72, 0x80000000, v74
	s_and_b32 vcc_lo, exec_lo, s72
	v_lshlrev_b32_e32 v63, 20, v63
	v_or3_b32 v63, v72, v73, v63
                                        ; implicit-def: $vgpr72
	s_cbranch_vccz .LBB2_402
; %bb.389:                              ;   in Loop: Header=BB2_352 Depth=4
	s_waitcnt vmcnt(0)
	v_cmp_gt_i16_sdwa s73, v12, v102 src0_sel:BYTE_1 src1_sel:DWORD
	s_mov_b32 s17, 0
	s_and_saveexec_b32 s74, s73
	s_xor_b32 s73, exec_lo, s74
	s_cbranch_execz .LBB2_934
; %bb.390:                              ;   in Loop: Header=BB2_352 Depth=4
	v_cmp_eq_u16_sdwa s75, v12, v103 src0_sel:BYTE_1 src1_sel:DWORD
	s_mov_b32 s17, -1
	s_and_saveexec_b32 s74, s75
; %bb.391:                              ;   in Loop: Header=BB2_352 Depth=4
	s_xor_b32 s17, exec_lo, -1
; %bb.392:                              ;   in Loop: Header=BB2_352 Depth=4
	s_or_b32 exec_lo, exec_lo, s74
	s_and_b32 s17, s17, exec_lo
	s_or_saveexec_b32 s73, s73
	v_mov_b32_e32 v72, 0x7f800001
	s_xor_b32 exec_lo, exec_lo, s73
	s_cbranch_execnz .LBB2_935
.LBB2_393:                              ;   in Loop: Header=BB2_352 Depth=4
	s_or_b32 exec_lo, exec_lo, s73
	s_and_saveexec_b32 s73, s17
	s_cbranch_execz .LBB2_395
.LBB2_394:                              ;   in Loop: Header=BB2_352 Depth=4
	v_and_b32_sdwa v72, v112, v12 dst_sel:DWORD dst_unused:UNUSED_PAD src0_sel:DWORD src1_sel:BYTE_1
	v_and_b32_e32 v73, 7, v72
	v_bfe_u32 v76, v72, 3, 4
	v_ffbh_u32_e32 v74, v73
	v_cmp_eq_u32_e32 vcc_lo, 0, v76
	v_min_u32_e32 v74, 32, v74
	v_subrev_nc_u32_e32 v75, 28, v74
	v_sub_nc_u32_e32 v74, 29, v74
	v_lshlrev_b32_e32 v72, v75, v72
	v_lshlrev_b32_e32 v75, 16, v12
	v_cndmask_b32_e32 v74, v76, v74, vcc_lo
	v_and_b32_e32 v72, 7, v72
	v_lshl_add_u32 v74, v74, 23, 0x3b800000
	v_cndmask_b32_e32 v72, v73, v72, vcc_lo
	v_and_b32_e32 v73, 0x80000000, v75
	v_lshlrev_b32_e32 v72, 20, v72
	v_or3_b32 v72, v73, v74, v72
.LBB2_395:                              ;   in Loop: Header=BB2_352 Depth=4
	s_or_b32 exec_lo, exec_lo, s73
	v_cmp_gt_i16_sdwa s73, v8, v102 src0_sel:BYTE_1 src1_sel:DWORD
	s_mov_b32 s17, 0
	s_and_saveexec_b32 s74, s73
	s_xor_b32 s73, exec_lo, s74
	s_cbranch_execz .LBB2_936
; %bb.396:                              ;   in Loop: Header=BB2_352 Depth=4
	v_cmp_eq_u16_sdwa s75, v8, v103 src0_sel:BYTE_1 src1_sel:DWORD
	s_mov_b32 s17, -1
	s_and_saveexec_b32 s74, s75
; %bb.397:                              ;   in Loop: Header=BB2_352 Depth=4
	s_xor_b32 s17, exec_lo, -1
; %bb.398:                              ;   in Loop: Header=BB2_352 Depth=4
	s_or_b32 exec_lo, exec_lo, s74
	s_and_b32 s17, s17, exec_lo
	s_or_saveexec_b32 s73, s73
	v_mov_b32_e32 v73, 0x7f800001
	s_xor_b32 exec_lo, exec_lo, s73
	s_cbranch_execnz .LBB2_937
.LBB2_399:                              ;   in Loop: Header=BB2_352 Depth=4
	s_or_b32 exec_lo, exec_lo, s73
	s_and_saveexec_b32 s73, s17
.LBB2_400:                              ;   in Loop: Header=BB2_352 Depth=4
	v_mov_b32_e32 v73, v63
.LBB2_401:                              ;   in Loop: Header=BB2_352 Depth=4
	s_or_b32 exec_lo, exec_lo, s73
	v_max_f32_e32 v73, v73, v73
	v_max_f32_e32 v72, v72, v72
	s_mov_b32 s17, 0
	v_max_f32_e32 v72, v72, v73
.LBB2_402:                              ;   in Loop: Header=BB2_352 Depth=4
	s_and_b32 vcc_lo, exec_lo, s17
	s_cbranch_vccz .LBB2_416
; %bb.403:                              ;   in Loop: Header=BB2_352 Depth=4
	s_waitcnt vmcnt(0)
	v_cmp_gt_i16_sdwa s73, v12, v102 src0_sel:BYTE_1 src1_sel:DWORD
	s_mov_b32 s17, 0
	s_and_saveexec_b32 s74, s73
	s_xor_b32 s73, exec_lo, s74
	s_cbranch_execz .LBB2_938
; %bb.404:                              ;   in Loop: Header=BB2_352 Depth=4
	v_cmp_eq_u16_sdwa s75, v12, v103 src0_sel:BYTE_1 src1_sel:DWORD
	s_mov_b32 s17, -1
	s_and_saveexec_b32 s74, s75
; %bb.405:                              ;   in Loop: Header=BB2_352 Depth=4
	s_xor_b32 s17, exec_lo, -1
; %bb.406:                              ;   in Loop: Header=BB2_352 Depth=4
	s_or_b32 exec_lo, exec_lo, s74
	s_and_b32 s17, s17, exec_lo
	s_or_saveexec_b32 s73, s73
	v_mov_b32_e32 v72, 0x7f800001
	s_xor_b32 exec_lo, exec_lo, s73
	s_cbranch_execnz .LBB2_939
.LBB2_407:                              ;   in Loop: Header=BB2_352 Depth=4
	s_or_b32 exec_lo, exec_lo, s73
	s_and_saveexec_b32 s73, s17
	s_cbranch_execz .LBB2_409
.LBB2_408:                              ;   in Loop: Header=BB2_352 Depth=4
	v_and_b32_sdwa v72, v112, v12 dst_sel:DWORD dst_unused:UNUSED_PAD src0_sel:DWORD src1_sel:BYTE_1
	v_and_b32_e32 v73, 7, v72
	v_bfe_u32 v76, v72, 3, 4
	v_ffbh_u32_e32 v74, v73
	v_cmp_eq_u32_e32 vcc_lo, 0, v76
	v_min_u32_e32 v74, 32, v74
	v_subrev_nc_u32_e32 v75, 28, v74
	v_sub_nc_u32_e32 v74, 29, v74
	v_lshlrev_b32_e32 v72, v75, v72
	v_lshlrev_b32_e32 v75, 16, v12
	v_cndmask_b32_e32 v74, v76, v74, vcc_lo
	v_and_b32_e32 v72, 7, v72
	v_lshl_add_u32 v74, v74, 23, 0x3b800000
	v_cndmask_b32_e32 v72, v73, v72, vcc_lo
	v_and_b32_e32 v73, 0x80000000, v75
	v_lshlrev_b32_e32 v72, 20, v72
	v_or3_b32 v72, v73, v74, v72
.LBB2_409:                              ;   in Loop: Header=BB2_352 Depth=4
	s_or_b32 exec_lo, exec_lo, s73
	v_cmp_gt_i16_sdwa s73, v8, v102 src0_sel:BYTE_1 src1_sel:DWORD
	s_mov_b32 s17, 0
	s_and_saveexec_b32 s74, s73
	s_xor_b32 s73, exec_lo, s74
	s_cbranch_execz .LBB2_940
; %bb.410:                              ;   in Loop: Header=BB2_352 Depth=4
	v_cmp_eq_u16_sdwa s75, v8, v103 src0_sel:BYTE_1 src1_sel:DWORD
	s_mov_b32 s17, -1
	s_and_saveexec_b32 s74, s75
; %bb.411:                              ;   in Loop: Header=BB2_352 Depth=4
	s_xor_b32 s17, exec_lo, -1
; %bb.412:                              ;   in Loop: Header=BB2_352 Depth=4
	s_or_b32 exec_lo, exec_lo, s74
	s_and_b32 s17, s17, exec_lo
	s_or_saveexec_b32 s73, s73
	v_mov_b32_e32 v73, 0x7f800001
	s_xor_b32 exec_lo, exec_lo, s73
	s_cbranch_execnz .LBB2_941
.LBB2_413:                              ;   in Loop: Header=BB2_352 Depth=4
	s_or_b32 exec_lo, exec_lo, s73
	s_and_saveexec_b32 s73, s17
.LBB2_414:                              ;   in Loop: Header=BB2_352 Depth=4
	v_mov_b32_e32 v73, v63
.LBB2_415:                              ;   in Loop: Header=BB2_352 Depth=4
	s_or_b32 exec_lo, exec_lo, s73
	v_max_f32_e32 v63, v73, v73
	v_max_f32_e32 v72, v72, v72
	v_min_f32_e32 v72, v72, v63
.LBB2_416:                              ;   in Loop: Header=BB2_352 Depth=4
	v_and_b32_e32 v63, 0x7f800000, v72
	v_cmp_ne_u32_e32 vcc_lo, 0x7f800000, v63
	v_mov_b32_e32 v63, 0x8000
	s_and_saveexec_b32 s73, vcc_lo
	s_cbranch_execz .LBB2_424
; %bb.417:                              ;   in Loop: Header=BB2_352 Depth=4
	v_mov_b32_e32 v63, 0
	s_mov_b32 s74, exec_lo
	v_cmpx_ne_u32_e32 0, v72
	s_cbranch_execz .LBB2_423
; %bb.418:                              ;   in Loop: Header=BB2_352 Depth=4
	v_bfe_u32 v63, v72, 23, 8
	v_and_b32_e32 v73, 0x7fffff, v72
	v_sub_nc_u32_e32 v74, 0x78, v63
	v_cmp_gt_u32_e32 vcc_lo, 0x79, v63
	v_or_b32_e32 v75, 0x800000, v73
	v_cndmask_b32_e32 v74, 0, v74, vcc_lo
	v_cmp_eq_u32_e32 vcc_lo, 0, v63
	v_add_nc_u32_e32 v63, 0xffffff89, v63
	v_cndmask_b32_e64 v74, v74, 0x77, vcc_lo
	v_cndmask_b32_e32 v73, v75, v73, vcc_lo
	v_cndmask_b32_e64 v63, v63, 0xffffff8a, vcc_lo
	v_lshl_add_u32 v75, 0x100000, v74, -1
	v_lshrrev_b32_e32 v76, v74, v73
	v_lshlrev_b32_e64 v78, v74, 0x80000
	v_add_nc_u32_e32 v74, v74, v63
	v_and_b32_e32 v73, v75, v73
	v_bfe_u32 v77, v76, 20, 1
	v_cmp_eq_u32_e64 s17, v73, v78
	v_add_nc_u32_e32 v75, -1, v77
	v_cndmask_b32_e64 v73, 0, v75, s17
	v_lshrrev_b32_e32 v75, 23, v76
	s_mov_b32 s17, exec_lo
	v_add_nc_u32_e32 v73, v73, v76
	v_xor_b32_e32 v75, 1, v75
	v_and_b32_e32 v63, 0xfffff, v73
	v_add_nc_u32_e32 v73, v63, v76
                                        ; implicit-def: $vgpr63
	v_cmpx_ne_u32_e64 v74, v75
	s_xor_b32 s17, exec_lo, s17
; %bb.419:                              ;   in Loop: Header=BB2_352 Depth=4
	v_cmp_lt_u32_e32 vcc_lo, 0xffffff, v73
	v_sub_nc_u32_e32 v63, v74, v75
	v_cndmask_b32_e64 v74, 0, 1, vcc_lo
	v_add_co_ci_u32_e64 v63, null, 0, v63, vcc_lo
	v_lshrrev_b32_e32 v73, v74, v73
; %bb.420:                              ;   in Loop: Header=BB2_352 Depth=4
	s_andn2_saveexec_b32 s17, s17
; %bb.421:                              ;   in Loop: Header=BB2_352 Depth=4
	v_bfe_u32 v63, v73, 23, 1
; %bb.422:                              ;   in Loop: Header=BB2_352 Depth=4
	s_or_b32 exec_lo, exec_lo, s17
	v_lshrrev_b32_e32 v73, 20, v73
	v_min_i32_e32 v74, 15, v63
	v_cmp_gt_i32_e32 vcc_lo, 16, v63
	v_and_b32_sdwa v72, v72, v103 dst_sel:DWORD dst_unused:UNUSED_PAD src0_sel:BYTE_3 src1_sel:DWORD
	v_lshlrev_b32_e32 v74, 3, v74
	v_cndmask_b32_e32 v73, 7, v73, vcc_lo
	v_and_b32_e32 v74, 0xf8, v74
	v_and_b32_e32 v75, 7, v73
	v_or_b32_e32 v63, v63, v73
	v_or3_b32 v72, v72, v74, v75
	v_cmp_ne_u32_e32 vcc_lo, 0, v63
	v_lshlrev_b32_e32 v72, 8, v72
	v_cndmask_b32_e32 v63, 0, v72, vcc_lo
.LBB2_423:                              ;   in Loop: Header=BB2_352 Depth=4
	s_or_b32 exec_lo, exec_lo, s74
.LBB2_424:                              ;   in Loop: Header=BB2_352 Depth=4
	s_or_b32 exec_lo, exec_lo, s73
	v_bfe_u32 v72, v8, 16, 3
	v_bfe_u32 v75, v8, 19, 4
	v_lshlrev_b32_e32 v76, 8, v8
	s_mov_b32 s17, -1
	v_ffbh_u32_e32 v73, v72
	v_cmp_eq_u32_e32 vcc_lo, 0, v75
	v_min_u32_e32 v73, 32, v73
	v_subrev_nc_u32_e32 v74, 28, v73
	v_sub_nc_u32_e32 v73, 29, v73
	v_lshlrev_b32_sdwa v74, v74, v8 dst_sel:DWORD dst_unused:UNUSED_PAD src0_sel:DWORD src1_sel:WORD_1
	v_cndmask_b32_e32 v73, v75, v73, vcc_lo
	v_and_b32_e32 v74, 7, v74
	v_lshl_add_u32 v73, v73, 23, 0x3b800000
	v_cndmask_b32_e32 v72, v72, v74, vcc_lo
	v_and_b32_e32 v74, 0x80000000, v76
	s_and_b32 vcc_lo, exec_lo, s72
	v_lshlrev_b32_e32 v72, 20, v72
	v_or3_b32 v72, v74, v73, v72
                                        ; implicit-def: $vgpr73
	s_cbranch_vccz .LBB2_438
; %bb.425:                              ;   in Loop: Header=BB2_352 Depth=4
	s_waitcnt vmcnt(0)
	v_and_b32_sdwa v74, v12, v114 dst_sel:DWORD dst_unused:UNUSED_PAD src0_sel:WORD_1 src1_sel:DWORD
	s_mov_b32 s17, 0
	s_mov_b32 s73, exec_lo
	v_cmpx_lt_i16_e32 0x7f, v74
	s_xor_b32 s73, exec_lo, s73
	s_cbranch_execz .LBB2_942
; %bb.426:                              ;   in Loop: Header=BB2_352 Depth=4
	s_mov_b32 s17, -1
	s_mov_b32 s74, exec_lo
	v_cmpx_eq_u16_e32 0x80, v74
; %bb.427:                              ;   in Loop: Header=BB2_352 Depth=4
	s_xor_b32 s17, exec_lo, -1
; %bb.428:                              ;   in Loop: Header=BB2_352 Depth=4
	s_or_b32 exec_lo, exec_lo, s74
	s_and_b32 s17, s17, exec_lo
                                        ; implicit-def: $vgpr74
	s_or_saveexec_b32 s73, s73
	v_mov_b32_e32 v73, 0x7f800001
	s_xor_b32 exec_lo, exec_lo, s73
	s_cbranch_execnz .LBB2_943
.LBB2_429:                              ;   in Loop: Header=BB2_352 Depth=4
	s_or_b32 exec_lo, exec_lo, s73
	s_and_saveexec_b32 s73, s17
	s_cbranch_execz .LBB2_431
.LBB2_430:                              ;   in Loop: Header=BB2_352 Depth=4
	v_bfe_u32 v73, v12, 16, 3
	v_bfe_u32 v76, v12, 19, 4
	v_lshlrev_b32_sdwa v77, v113, v12 dst_sel:DWORD dst_unused:UNUSED_PAD src0_sel:DWORD src1_sel:WORD_1
	v_ffbh_u32_e32 v74, v73
	v_cmp_eq_u32_e32 vcc_lo, 0, v76
	v_min_u32_e32 v74, 32, v74
	v_subrev_nc_u32_e32 v75, 28, v74
	v_sub_nc_u32_e32 v74, 29, v74
	v_lshlrev_b32_sdwa v75, v75, v12 dst_sel:DWORD dst_unused:UNUSED_PAD src0_sel:DWORD src1_sel:WORD_1
	v_cndmask_b32_e32 v74, v76, v74, vcc_lo
	v_and_b32_e32 v75, 7, v75
	v_lshl_add_u32 v74, v74, 23, 0x3b800000
	v_cndmask_b32_e32 v73, v73, v75, vcc_lo
	v_and_b32_e32 v75, 0x80000000, v77
	v_lshlrev_b32_e32 v73, 20, v73
	v_or3_b32 v73, v75, v74, v73
.LBB2_431:                              ;   in Loop: Header=BB2_352 Depth=4
	s_or_b32 exec_lo, exec_lo, s73
	v_and_b32_sdwa v75, v8, v114 dst_sel:DWORD dst_unused:UNUSED_PAD src0_sel:WORD_1 src1_sel:DWORD
	s_mov_b32 s17, 0
	s_mov_b32 s73, exec_lo
	v_cmpx_lt_i16_e32 0x7f, v75
	s_xor_b32 s73, exec_lo, s73
	s_cbranch_execz .LBB2_944
; %bb.432:                              ;   in Loop: Header=BB2_352 Depth=4
	s_mov_b32 s17, -1
	s_mov_b32 s74, exec_lo
	v_cmpx_eq_u16_e32 0x80, v75
; %bb.433:                              ;   in Loop: Header=BB2_352 Depth=4
	s_xor_b32 s17, exec_lo, -1
; %bb.434:                              ;   in Loop: Header=BB2_352 Depth=4
	s_or_b32 exec_lo, exec_lo, s74
	s_and_b32 s17, s17, exec_lo
                                        ; implicit-def: $vgpr75
	s_or_saveexec_b32 s73, s73
	v_mov_b32_e32 v74, 0x7f800001
	s_xor_b32 exec_lo, exec_lo, s73
	s_cbranch_execnz .LBB2_945
.LBB2_435:                              ;   in Loop: Header=BB2_352 Depth=4
	s_or_b32 exec_lo, exec_lo, s73
	s_and_saveexec_b32 s73, s17
.LBB2_436:                              ;   in Loop: Header=BB2_352 Depth=4
	v_mov_b32_e32 v74, v72
.LBB2_437:                              ;   in Loop: Header=BB2_352 Depth=4
	s_or_b32 exec_lo, exec_lo, s73
	v_max_f32_e32 v74, v74, v74
	v_max_f32_e32 v73, v73, v73
	s_mov_b32 s17, 0
	v_max_f32_e32 v73, v73, v74
.LBB2_438:                              ;   in Loop: Header=BB2_352 Depth=4
	s_and_b32 vcc_lo, exec_lo, s17
	s_cbranch_vccz .LBB2_452
; %bb.439:                              ;   in Loop: Header=BB2_352 Depth=4
	s_waitcnt vmcnt(0)
	v_and_b32_sdwa v74, v12, v114 dst_sel:DWORD dst_unused:UNUSED_PAD src0_sel:WORD_1 src1_sel:DWORD
	s_mov_b32 s17, 0
	s_mov_b32 s73, exec_lo
	v_cmpx_lt_i16_e32 0x7f, v74
	s_xor_b32 s73, exec_lo, s73
	s_cbranch_execz .LBB2_946
; %bb.440:                              ;   in Loop: Header=BB2_352 Depth=4
	s_mov_b32 s17, -1
	s_mov_b32 s74, exec_lo
	v_cmpx_eq_u16_e32 0x80, v74
; %bb.441:                              ;   in Loop: Header=BB2_352 Depth=4
	s_xor_b32 s17, exec_lo, -1
; %bb.442:                              ;   in Loop: Header=BB2_352 Depth=4
	s_or_b32 exec_lo, exec_lo, s74
	s_and_b32 s17, s17, exec_lo
                                        ; implicit-def: $vgpr74
	s_or_saveexec_b32 s73, s73
	v_mov_b32_e32 v73, 0x7f800001
	s_xor_b32 exec_lo, exec_lo, s73
	s_cbranch_execnz .LBB2_947
.LBB2_443:                              ;   in Loop: Header=BB2_352 Depth=4
	s_or_b32 exec_lo, exec_lo, s73
	s_and_saveexec_b32 s73, s17
	s_cbranch_execz .LBB2_445
.LBB2_444:                              ;   in Loop: Header=BB2_352 Depth=4
	v_bfe_u32 v73, v12, 16, 3
	v_bfe_u32 v76, v12, 19, 4
	v_lshlrev_b32_sdwa v77, v113, v12 dst_sel:DWORD dst_unused:UNUSED_PAD src0_sel:DWORD src1_sel:WORD_1
	v_ffbh_u32_e32 v74, v73
	v_cmp_eq_u32_e32 vcc_lo, 0, v76
	v_min_u32_e32 v74, 32, v74
	v_subrev_nc_u32_e32 v75, 28, v74
	v_sub_nc_u32_e32 v74, 29, v74
	v_lshlrev_b32_sdwa v75, v75, v12 dst_sel:DWORD dst_unused:UNUSED_PAD src0_sel:DWORD src1_sel:WORD_1
	v_cndmask_b32_e32 v74, v76, v74, vcc_lo
	v_and_b32_e32 v75, 7, v75
	v_lshl_add_u32 v74, v74, 23, 0x3b800000
	v_cndmask_b32_e32 v73, v73, v75, vcc_lo
	v_and_b32_e32 v75, 0x80000000, v77
	v_lshlrev_b32_e32 v73, 20, v73
	v_or3_b32 v73, v75, v74, v73
.LBB2_445:                              ;   in Loop: Header=BB2_352 Depth=4
	s_or_b32 exec_lo, exec_lo, s73
	v_and_b32_sdwa v75, v8, v114 dst_sel:DWORD dst_unused:UNUSED_PAD src0_sel:WORD_1 src1_sel:DWORD
	s_mov_b32 s17, 0
	s_mov_b32 s73, exec_lo
	v_cmpx_lt_i16_e32 0x7f, v75
	s_xor_b32 s73, exec_lo, s73
	s_cbranch_execz .LBB2_948
; %bb.446:                              ;   in Loop: Header=BB2_352 Depth=4
	s_mov_b32 s17, -1
	s_mov_b32 s74, exec_lo
	v_cmpx_eq_u16_e32 0x80, v75
; %bb.447:                              ;   in Loop: Header=BB2_352 Depth=4
	s_xor_b32 s17, exec_lo, -1
; %bb.448:                              ;   in Loop: Header=BB2_352 Depth=4
	s_or_b32 exec_lo, exec_lo, s74
	s_and_b32 s17, s17, exec_lo
                                        ; implicit-def: $vgpr75
	s_or_saveexec_b32 s73, s73
	v_mov_b32_e32 v74, 0x7f800001
	s_xor_b32 exec_lo, exec_lo, s73
	s_cbranch_execnz .LBB2_949
.LBB2_449:                              ;   in Loop: Header=BB2_352 Depth=4
	s_or_b32 exec_lo, exec_lo, s73
	s_and_saveexec_b32 s73, s17
.LBB2_450:                              ;   in Loop: Header=BB2_352 Depth=4
	v_mov_b32_e32 v74, v72
.LBB2_451:                              ;   in Loop: Header=BB2_352 Depth=4
	s_or_b32 exec_lo, exec_lo, s73
	v_max_f32_e32 v72, v74, v74
	v_max_f32_e32 v73, v73, v73
	v_min_f32_e32 v73, v73, v72
.LBB2_452:                              ;   in Loop: Header=BB2_352 Depth=4
	v_and_b32_e32 v72, 0x7f800000, v73
	v_cmp_ne_u32_e32 vcc_lo, 0x7f800000, v72
	v_mov_b32_e32 v72, 0x80
	s_and_saveexec_b32 s73, vcc_lo
	s_cbranch_execz .LBB2_460
; %bb.453:                              ;   in Loop: Header=BB2_352 Depth=4
	v_mov_b32_e32 v72, 0
	s_mov_b32 s74, exec_lo
	v_cmpx_ne_u32_e32 0, v73
	s_cbranch_execz .LBB2_459
; %bb.454:                              ;   in Loop: Header=BB2_352 Depth=4
	v_bfe_u32 v72, v73, 23, 8
	v_and_b32_e32 v74, 0x7fffff, v73
	v_sub_nc_u32_e32 v75, 0x78, v72
	v_cmp_gt_u32_e32 vcc_lo, 0x79, v72
	v_or_b32_e32 v76, 0x800000, v74
	v_cndmask_b32_e32 v75, 0, v75, vcc_lo
	v_cmp_eq_u32_e32 vcc_lo, 0, v72
	v_add_nc_u32_e32 v72, 0xffffff89, v72
	v_cndmask_b32_e64 v75, v75, 0x77, vcc_lo
	v_cndmask_b32_e32 v74, v76, v74, vcc_lo
	v_cndmask_b32_e64 v72, v72, 0xffffff8a, vcc_lo
	v_lshl_add_u32 v76, 0x100000, v75, -1
	v_lshrrev_b32_e32 v77, v75, v74
	v_lshlrev_b32_e64 v79, v75, 0x80000
	v_add_nc_u32_e32 v75, v75, v72
	v_and_b32_e32 v74, v76, v74
	v_bfe_u32 v78, v77, 20, 1
	v_cmp_eq_u32_e64 s17, v74, v79
	v_add_nc_u32_e32 v76, -1, v78
	v_cndmask_b32_e64 v74, 0, v76, s17
	v_lshrrev_b32_e32 v76, 23, v77
	s_mov_b32 s17, exec_lo
	v_add_nc_u32_e32 v74, v74, v77
	v_xor_b32_e32 v76, 1, v76
	v_and_b32_e32 v72, 0xfffff, v74
	v_add_nc_u32_e32 v74, v72, v77
                                        ; implicit-def: $vgpr72
	v_cmpx_ne_u32_e64 v75, v76
	s_xor_b32 s17, exec_lo, s17
; %bb.455:                              ;   in Loop: Header=BB2_352 Depth=4
	v_cmp_lt_u32_e32 vcc_lo, 0xffffff, v74
	v_sub_nc_u32_e32 v72, v75, v76
	v_cndmask_b32_e64 v75, 0, 1, vcc_lo
	v_add_co_ci_u32_e64 v72, null, 0, v72, vcc_lo
	v_lshrrev_b32_e32 v74, v75, v74
; %bb.456:                              ;   in Loop: Header=BB2_352 Depth=4
	s_andn2_saveexec_b32 s17, s17
; %bb.457:                              ;   in Loop: Header=BB2_352 Depth=4
	v_bfe_u32 v72, v74, 23, 1
; %bb.458:                              ;   in Loop: Header=BB2_352 Depth=4
	s_or_b32 exec_lo, exec_lo, s17
	v_lshrrev_b32_e32 v74, 20, v74
	v_min_i32_e32 v75, 15, v72
	v_cmp_gt_i32_e32 vcc_lo, 16, v72
	v_and_b32_sdwa v73, v73, v103 dst_sel:DWORD dst_unused:UNUSED_PAD src0_sel:BYTE_3 src1_sel:DWORD
	v_lshlrev_b32_e32 v75, 3, v75
	v_cndmask_b32_e32 v74, 7, v74, vcc_lo
	v_and_b32_e32 v75, 0xf8, v75
	v_and_b32_e32 v76, 7, v74
	v_or_b32_e32 v72, v72, v74
	v_or3_b32 v73, v75, v73, v76
	v_cmp_ne_u32_e32 vcc_lo, 0, v72
	v_cndmask_b32_e32 v72, 0, v73, vcc_lo
.LBB2_459:                              ;   in Loop: Header=BB2_352 Depth=4
	s_or_b32 exec_lo, exec_lo, s74
.LBB2_460:                              ;   in Loop: Header=BB2_352 Depth=4
	s_or_b32 exec_lo, exec_lo, s73
	v_bfe_u32 v73, v8, 24, 3
	v_bfe_u32 v76, v8, 27, 4
	s_mov_b32 s17, -1
	v_ffbh_u32_e32 v74, v73
	v_cmp_eq_u32_e32 vcc_lo, 0, v76
	v_min_u32_e32 v74, 32, v74
	v_subrev_nc_u32_e32 v75, 28, v74
	v_sub_nc_u32_e32 v74, 29, v74
	v_lshlrev_b32_sdwa v75, v75, v8 dst_sel:DWORD dst_unused:UNUSED_PAD src0_sel:DWORD src1_sel:BYTE_3
	v_cndmask_b32_e32 v74, v76, v74, vcc_lo
	v_and_b32_e32 v75, 7, v75
	v_lshl_add_u32 v74, v74, 23, 0x3b800000
	v_cndmask_b32_e32 v73, v73, v75, vcc_lo
	v_and_b32_e32 v75, 0x80000000, v8
	s_and_b32 vcc_lo, exec_lo, s72
	v_lshlrev_b32_e32 v73, 20, v73
	v_or3_b32 v73, v75, v74, v73
                                        ; implicit-def: $vgpr74
	s_cbranch_vccz .LBB2_474
; %bb.461:                              ;   in Loop: Header=BB2_352 Depth=4
	s_waitcnt vmcnt(0)
	v_cmp_gt_i16_sdwa s73, v12, v102 src0_sel:BYTE_3 src1_sel:DWORD
	s_mov_b32 s17, 0
	s_and_saveexec_b32 s74, s73
	s_xor_b32 s73, exec_lo, s74
	s_cbranch_execz .LBB2_950
; %bb.462:                              ;   in Loop: Header=BB2_352 Depth=4
	v_cmp_eq_u16_sdwa s75, v12, v103 src0_sel:BYTE_3 src1_sel:DWORD
	s_mov_b32 s17, -1
	s_and_saveexec_b32 s74, s75
; %bb.463:                              ;   in Loop: Header=BB2_352 Depth=4
	s_xor_b32 s17, exec_lo, -1
; %bb.464:                              ;   in Loop: Header=BB2_352 Depth=4
	s_or_b32 exec_lo, exec_lo, s74
	s_and_b32 s17, s17, exec_lo
	s_or_saveexec_b32 s73, s73
	v_mov_b32_e32 v74, 0x7f800001
	s_xor_b32 exec_lo, exec_lo, s73
	s_cbranch_execnz .LBB2_951
.LBB2_465:                              ;   in Loop: Header=BB2_352 Depth=4
	s_or_b32 exec_lo, exec_lo, s73
	s_and_saveexec_b32 s73, s17
	s_cbranch_execz .LBB2_467
.LBB2_466:                              ;   in Loop: Header=BB2_352 Depth=4
	v_bfe_u32 v74, v12, 24, 3
	v_bfe_u32 v77, v12, 27, 4
	v_ffbh_u32_e32 v75, v74
	v_cmp_eq_u32_e32 vcc_lo, 0, v77
	v_min_u32_e32 v75, 32, v75
	v_subrev_nc_u32_e32 v76, 28, v75
	v_sub_nc_u32_e32 v75, 29, v75
	v_lshlrev_b32_sdwa v76, v76, v12 dst_sel:DWORD dst_unused:UNUSED_PAD src0_sel:DWORD src1_sel:BYTE_3
	v_cndmask_b32_e32 v75, v77, v75, vcc_lo
	v_and_b32_e32 v76, 7, v76
	v_lshl_add_u32 v75, v75, 23, 0x3b800000
	v_cndmask_b32_e32 v74, v74, v76, vcc_lo
	v_and_b32_e32 v76, 0x80000000, v12
	v_lshlrev_b32_e32 v74, 20, v74
	v_or3_b32 v74, v76, v75, v74
.LBB2_467:                              ;   in Loop: Header=BB2_352 Depth=4
	s_or_b32 exec_lo, exec_lo, s73
	v_cmp_gt_i16_sdwa s73, v8, v102 src0_sel:BYTE_3 src1_sel:DWORD
	s_mov_b32 s17, 0
	s_and_saveexec_b32 s74, s73
	s_xor_b32 s73, exec_lo, s74
	s_cbranch_execz .LBB2_952
; %bb.468:                              ;   in Loop: Header=BB2_352 Depth=4
	v_cmp_eq_u16_sdwa s75, v8, v103 src0_sel:BYTE_3 src1_sel:DWORD
	s_mov_b32 s17, -1
	s_and_saveexec_b32 s74, s75
; %bb.469:                              ;   in Loop: Header=BB2_352 Depth=4
	s_xor_b32 s17, exec_lo, -1
; %bb.470:                              ;   in Loop: Header=BB2_352 Depth=4
	s_or_b32 exec_lo, exec_lo, s74
	s_and_b32 s17, s17, exec_lo
	s_or_saveexec_b32 s73, s73
	v_mov_b32_e32 v75, 0x7f800001
	s_xor_b32 exec_lo, exec_lo, s73
	s_cbranch_execnz .LBB2_953
.LBB2_471:                              ;   in Loop: Header=BB2_352 Depth=4
	s_or_b32 exec_lo, exec_lo, s73
	s_and_saveexec_b32 s73, s17
.LBB2_472:                              ;   in Loop: Header=BB2_352 Depth=4
	v_mov_b32_e32 v75, v73
.LBB2_473:                              ;   in Loop: Header=BB2_352 Depth=4
	s_or_b32 exec_lo, exec_lo, s73
	v_max_f32_e32 v75, v75, v75
	v_max_f32_e32 v74, v74, v74
	s_mov_b32 s17, 0
	v_max_f32_e32 v74, v74, v75
.LBB2_474:                              ;   in Loop: Header=BB2_352 Depth=4
	s_and_b32 vcc_lo, exec_lo, s17
	s_cbranch_vccz .LBB2_488
; %bb.475:                              ;   in Loop: Header=BB2_352 Depth=4
	s_waitcnt vmcnt(0)
	v_cmp_gt_i16_sdwa s73, v12, v102 src0_sel:BYTE_3 src1_sel:DWORD
	s_mov_b32 s17, 0
	s_and_saveexec_b32 s74, s73
	s_xor_b32 s73, exec_lo, s74
	s_cbranch_execz .LBB2_954
; %bb.476:                              ;   in Loop: Header=BB2_352 Depth=4
	v_cmp_eq_u16_sdwa s75, v12, v103 src0_sel:BYTE_3 src1_sel:DWORD
	s_mov_b32 s17, -1
	s_and_saveexec_b32 s74, s75
; %bb.477:                              ;   in Loop: Header=BB2_352 Depth=4
	s_xor_b32 s17, exec_lo, -1
; %bb.478:                              ;   in Loop: Header=BB2_352 Depth=4
	s_or_b32 exec_lo, exec_lo, s74
	s_and_b32 s17, s17, exec_lo
	s_or_saveexec_b32 s73, s73
	v_mov_b32_e32 v74, 0x7f800001
	s_xor_b32 exec_lo, exec_lo, s73
	s_cbranch_execnz .LBB2_955
.LBB2_479:                              ;   in Loop: Header=BB2_352 Depth=4
	s_or_b32 exec_lo, exec_lo, s73
	s_and_saveexec_b32 s73, s17
	s_cbranch_execz .LBB2_481
.LBB2_480:                              ;   in Loop: Header=BB2_352 Depth=4
	v_bfe_u32 v74, v12, 24, 3
	v_bfe_u32 v77, v12, 27, 4
	v_ffbh_u32_e32 v75, v74
	v_cmp_eq_u32_e32 vcc_lo, 0, v77
	v_min_u32_e32 v75, 32, v75
	v_subrev_nc_u32_e32 v76, 28, v75
	v_sub_nc_u32_e32 v75, 29, v75
	v_lshlrev_b32_sdwa v76, v76, v12 dst_sel:DWORD dst_unused:UNUSED_PAD src0_sel:DWORD src1_sel:BYTE_3
	v_cndmask_b32_e32 v75, v77, v75, vcc_lo
	v_and_b32_e32 v12, 0x80000000, v12
	v_and_b32_e32 v76, 7, v76
	v_lshl_add_u32 v75, v75, 23, 0x3b800000
	v_cndmask_b32_e32 v74, v74, v76, vcc_lo
	v_lshlrev_b32_e32 v74, 20, v74
	v_or3_b32 v74, v12, v75, v74
.LBB2_481:                              ;   in Loop: Header=BB2_352 Depth=4
	s_or_b32 exec_lo, exec_lo, s73
	v_cmp_gt_i16_sdwa s73, v8, v102 src0_sel:BYTE_3 src1_sel:DWORD
	s_mov_b32 s17, 0
	s_and_saveexec_b32 s74, s73
	s_xor_b32 s73, exec_lo, s74
	s_cbranch_execz .LBB2_956
; %bb.482:                              ;   in Loop: Header=BB2_352 Depth=4
	v_cmp_eq_u16_sdwa s75, v8, v103 src0_sel:BYTE_3 src1_sel:DWORD
	s_mov_b32 s17, -1
	s_and_saveexec_b32 s74, s75
; %bb.483:                              ;   in Loop: Header=BB2_352 Depth=4
	s_xor_b32 s17, exec_lo, -1
; %bb.484:                              ;   in Loop: Header=BB2_352 Depth=4
	s_or_b32 exec_lo, exec_lo, s74
	s_and_b32 s17, s17, exec_lo
	s_or_saveexec_b32 s73, s73
	v_mov_b32_e32 v12, 0x7f800001
	s_xor_b32 exec_lo, exec_lo, s73
	s_cbranch_execnz .LBB2_957
.LBB2_485:                              ;   in Loop: Header=BB2_352 Depth=4
	s_or_b32 exec_lo, exec_lo, s73
	s_and_saveexec_b32 s73, s17
.LBB2_486:                              ;   in Loop: Header=BB2_352 Depth=4
	v_mov_b32_e32 v12, v73
.LBB2_487:                              ;   in Loop: Header=BB2_352 Depth=4
	s_or_b32 exec_lo, exec_lo, s73
	v_max_f32_e32 v8, v12, v12
	v_max_f32_e32 v12, v74, v74
	v_min_f32_e32 v74, v12, v8
.LBB2_488:                              ;   in Loop: Header=BB2_352 Depth=4
	v_and_b32_e32 v8, 0x7f800000, v74
	s_waitcnt vmcnt(0)
	v_mov_b32_e32 v12, 0x8000
	s_mov_b32 s73, exec_lo
	v_cmpx_ne_u32_e32 0x7f800000, v8
	s_cbranch_execz .LBB2_496
; %bb.489:                              ;   in Loop: Header=BB2_352 Depth=4
	v_mov_b32_e32 v12, 0
	s_mov_b32 s74, exec_lo
	v_cmpx_ne_u32_e32 0, v74
	s_cbranch_execz .LBB2_495
; %bb.490:                              ;   in Loop: Header=BB2_352 Depth=4
	v_bfe_u32 v8, v74, 23, 8
	v_and_b32_e32 v12, 0x7fffff, v74
	v_sub_nc_u32_e32 v73, 0x78, v8
	v_cmp_gt_u32_e32 vcc_lo, 0x79, v8
	v_or_b32_e32 v75, 0x800000, v12
	v_cndmask_b32_e32 v73, 0, v73, vcc_lo
	v_cmp_eq_u32_e32 vcc_lo, 0, v8
	v_add_nc_u32_e32 v8, 0xffffff89, v8
	v_cndmask_b32_e64 v73, v73, 0x77, vcc_lo
	v_cndmask_b32_e32 v12, v75, v12, vcc_lo
	v_cndmask_b32_e64 v8, v8, 0xffffff8a, vcc_lo
	v_lshl_add_u32 v75, 0x100000, v73, -1
	v_lshrrev_b32_e32 v76, v73, v12
	v_lshlrev_b32_e64 v78, v73, 0x80000
	v_add_nc_u32_e32 v73, v73, v8
	v_and_b32_e32 v12, v75, v12
	v_bfe_u32 v77, v76, 20, 1
	v_cmp_eq_u32_e64 s17, v12, v78
	v_add_nc_u32_e32 v75, -1, v77
	v_cndmask_b32_e64 v12, 0, v75, s17
	v_lshrrev_b32_e32 v75, 23, v76
	s_mov_b32 s17, exec_lo
	v_add_nc_u32_e32 v12, v12, v76
	v_xor_b32_e32 v75, 1, v75
	v_and_b32_e32 v8, 0xfffff, v12
	v_add_nc_u32_e32 v12, v8, v76
                                        ; implicit-def: $vgpr8
	v_cmpx_ne_u32_e64 v73, v75
	s_xor_b32 s17, exec_lo, s17
; %bb.491:                              ;   in Loop: Header=BB2_352 Depth=4
	v_cmp_lt_u32_e32 vcc_lo, 0xffffff, v12
	v_sub_nc_u32_e32 v8, v73, v75
	v_cndmask_b32_e64 v73, 0, 1, vcc_lo
	v_add_co_ci_u32_e64 v8, null, 0, v8, vcc_lo
	v_lshrrev_b32_e32 v12, v73, v12
; %bb.492:                              ;   in Loop: Header=BB2_352 Depth=4
	s_andn2_saveexec_b32 s17, s17
; %bb.493:                              ;   in Loop: Header=BB2_352 Depth=4
	v_bfe_u32 v8, v12, 23, 1
; %bb.494:                              ;   in Loop: Header=BB2_352 Depth=4
	s_or_b32 exec_lo, exec_lo, s17
	v_lshrrev_b32_e32 v12, 20, v12
	v_min_i32_e32 v73, 15, v8
	v_cmp_gt_i32_e32 vcc_lo, 16, v8
	v_and_b32_sdwa v74, v74, v103 dst_sel:DWORD dst_unused:UNUSED_PAD src0_sel:BYTE_3 src1_sel:DWORD
	v_lshlrev_b32_e32 v73, 3, v73
	v_cndmask_b32_e32 v12, 7, v12, vcc_lo
	v_and_b32_e32 v73, 0xf8, v73
	v_and_b32_e32 v75, 7, v12
	v_or_b32_e32 v8, v8, v12
	v_or3_b32 v73, v74, v73, v75
	v_cmp_ne_u32_e32 vcc_lo, 0, v8
	v_lshlrev_b32_e32 v12, 8, v73
	v_cndmask_b32_e32 v12, 0, v12, vcc_lo
.LBB2_495:                              ;   in Loop: Header=BB2_352 Depth=4
	s_or_b32 exec_lo, exec_lo, s74
.LBB2_496:                              ;   in Loop: Header=BB2_352 Depth=4
	s_or_b32 exec_lo, exec_lo, s73
	v_and_b32_e32 v8, 7, v9
	v_bfe_u32 v75, v9, 3, 4
	v_lshlrev_b32_e32 v76, 24, v9
	s_mov_b32 s17, -1
	v_ffbh_u32_e32 v73, v8
	v_cmp_eq_u32_e32 vcc_lo, 0, v75
	v_min_u32_e32 v73, 32, v73
	v_subrev_nc_u32_e32 v74, 28, v73
	v_sub_nc_u32_e32 v73, 29, v73
	v_lshlrev_b32_e32 v74, v74, v9
	v_cndmask_b32_e32 v73, v75, v73, vcc_lo
	v_and_b32_e32 v74, 7, v74
	v_lshl_add_u32 v73, v73, 23, 0x3b800000
	v_cndmask_b32_e32 v8, v8, v74, vcc_lo
	v_and_b32_e32 v74, 0x80000000, v76
	s_and_b32 vcc_lo, exec_lo, s72
	v_lshlrev_b32_e32 v8, 20, v8
	v_or3_b32 v8, v74, v73, v8
                                        ; implicit-def: $vgpr74
	s_cbranch_vccz .LBB2_510
; %bb.497:                              ;   in Loop: Header=BB2_352 Depth=4
	v_cmp_gt_i16_sdwa s73, v13, v102 src0_sel:BYTE_0 src1_sel:DWORD
	s_mov_b32 s17, 0
	s_and_saveexec_b32 s74, s73
	s_xor_b32 s73, exec_lo, s74
	s_cbranch_execz .LBB2_958
; %bb.498:                              ;   in Loop: Header=BB2_352 Depth=4
	v_cmp_eq_u16_sdwa s75, v13, v103 src0_sel:BYTE_0 src1_sel:DWORD
	s_mov_b32 s17, -1
	s_and_saveexec_b32 s74, s75
; %bb.499:                              ;   in Loop: Header=BB2_352 Depth=4
	s_xor_b32 s17, exec_lo, -1
; %bb.500:                              ;   in Loop: Header=BB2_352 Depth=4
	s_or_b32 exec_lo, exec_lo, s74
	s_and_b32 s17, s17, exec_lo
	s_or_saveexec_b32 s73, s73
	v_mov_b32_e32 v73, 0x7f800001
	s_xor_b32 exec_lo, exec_lo, s73
	s_cbranch_execnz .LBB2_959
.LBB2_501:                              ;   in Loop: Header=BB2_352 Depth=4
	s_or_b32 exec_lo, exec_lo, s73
	s_and_saveexec_b32 s73, s17
	s_cbranch_execz .LBB2_503
.LBB2_502:                              ;   in Loop: Header=BB2_352 Depth=4
	v_and_b32_e32 v73, 7, v13
	v_bfe_u32 v76, v13, 3, 4
	v_lshlrev_b32_e32 v77, 24, v13
	v_ffbh_u32_e32 v74, v73
	v_cmp_eq_u32_e32 vcc_lo, 0, v76
	v_min_u32_e32 v74, 32, v74
	v_subrev_nc_u32_e32 v75, 28, v74
	v_sub_nc_u32_e32 v74, 29, v74
	v_lshlrev_b32_e32 v75, v75, v13
	v_cndmask_b32_e32 v74, v76, v74, vcc_lo
	v_and_b32_e32 v75, 7, v75
	v_lshl_add_u32 v74, v74, 23, 0x3b800000
	v_cndmask_b32_e32 v73, v73, v75, vcc_lo
	v_and_b32_e32 v75, 0x80000000, v77
	v_lshlrev_b32_e32 v73, 20, v73
	v_or3_b32 v73, v75, v74, v73
.LBB2_503:                              ;   in Loop: Header=BB2_352 Depth=4
	s_or_b32 exec_lo, exec_lo, s73
	v_cmp_gt_i16_sdwa s73, v9, v102 src0_sel:BYTE_0 src1_sel:DWORD
	s_mov_b32 s17, 0
	s_and_saveexec_b32 s74, s73
	s_xor_b32 s73, exec_lo, s74
	s_cbranch_execz .LBB2_960
; %bb.504:                              ;   in Loop: Header=BB2_352 Depth=4
	v_cmp_eq_u16_sdwa s75, v9, v103 src0_sel:BYTE_0 src1_sel:DWORD
	s_mov_b32 s17, -1
	s_and_saveexec_b32 s74, s75
; %bb.505:                              ;   in Loop: Header=BB2_352 Depth=4
	s_xor_b32 s17, exec_lo, -1
; %bb.506:                              ;   in Loop: Header=BB2_352 Depth=4
	s_or_b32 exec_lo, exec_lo, s74
	s_and_b32 s17, s17, exec_lo
	s_or_saveexec_b32 s73, s73
	v_mov_b32_e32 v74, 0x7f800001
	s_xor_b32 exec_lo, exec_lo, s73
	s_cbranch_execnz .LBB2_961
.LBB2_507:                              ;   in Loop: Header=BB2_352 Depth=4
	s_or_b32 exec_lo, exec_lo, s73
	s_and_saveexec_b32 s73, s17
.LBB2_508:                              ;   in Loop: Header=BB2_352 Depth=4
	v_mov_b32_e32 v74, v8
.LBB2_509:                              ;   in Loop: Header=BB2_352 Depth=4
	s_or_b32 exec_lo, exec_lo, s73
	v_max_f32_e32 v74, v74, v74
	v_max_f32_e32 v73, v73, v73
	s_mov_b32 s17, 0
	v_max_f32_e32 v74, v73, v74
.LBB2_510:                              ;   in Loop: Header=BB2_352 Depth=4
	s_and_b32 vcc_lo, exec_lo, s17
	s_cbranch_vccz .LBB2_524
; %bb.511:                              ;   in Loop: Header=BB2_352 Depth=4
	v_cmp_gt_i16_sdwa s73, v13, v102 src0_sel:BYTE_0 src1_sel:DWORD
	s_mov_b32 s17, 0
	s_and_saveexec_b32 s74, s73
	s_xor_b32 s73, exec_lo, s74
	s_cbranch_execz .LBB2_962
; %bb.512:                              ;   in Loop: Header=BB2_352 Depth=4
	v_cmp_eq_u16_sdwa s75, v13, v103 src0_sel:BYTE_0 src1_sel:DWORD
	s_mov_b32 s17, -1
	s_and_saveexec_b32 s74, s75
; %bb.513:                              ;   in Loop: Header=BB2_352 Depth=4
	s_xor_b32 s17, exec_lo, -1
; %bb.514:                              ;   in Loop: Header=BB2_352 Depth=4
	s_or_b32 exec_lo, exec_lo, s74
	s_and_b32 s17, s17, exec_lo
	s_or_saveexec_b32 s73, s73
	v_mov_b32_e32 v73, 0x7f800001
	s_xor_b32 exec_lo, exec_lo, s73
	s_cbranch_execnz .LBB2_963
.LBB2_515:                              ;   in Loop: Header=BB2_352 Depth=4
	s_or_b32 exec_lo, exec_lo, s73
	s_and_saveexec_b32 s73, s17
	s_cbranch_execz .LBB2_517
.LBB2_516:                              ;   in Loop: Header=BB2_352 Depth=4
	v_and_b32_e32 v73, 7, v13
	v_bfe_u32 v76, v13, 3, 4
	v_lshlrev_b32_e32 v77, 24, v13
	v_ffbh_u32_e32 v74, v73
	v_cmp_eq_u32_e32 vcc_lo, 0, v76
	v_min_u32_e32 v74, 32, v74
	v_subrev_nc_u32_e32 v75, 28, v74
	v_sub_nc_u32_e32 v74, 29, v74
	v_lshlrev_b32_e32 v75, v75, v13
	v_cndmask_b32_e32 v74, v76, v74, vcc_lo
	v_and_b32_e32 v75, 7, v75
	v_lshl_add_u32 v74, v74, 23, 0x3b800000
	v_cndmask_b32_e32 v73, v73, v75, vcc_lo
	v_and_b32_e32 v75, 0x80000000, v77
	v_lshlrev_b32_e32 v73, 20, v73
	v_or3_b32 v73, v75, v74, v73
.LBB2_517:                              ;   in Loop: Header=BB2_352 Depth=4
	s_or_b32 exec_lo, exec_lo, s73
	v_cmp_gt_i16_sdwa s73, v9, v102 src0_sel:BYTE_0 src1_sel:DWORD
	s_mov_b32 s17, 0
	s_and_saveexec_b32 s74, s73
	s_xor_b32 s73, exec_lo, s74
	s_cbranch_execz .LBB2_964
; %bb.518:                              ;   in Loop: Header=BB2_352 Depth=4
	v_cmp_eq_u16_sdwa s75, v9, v103 src0_sel:BYTE_0 src1_sel:DWORD
	s_mov_b32 s17, -1
	s_and_saveexec_b32 s74, s75
; %bb.519:                              ;   in Loop: Header=BB2_352 Depth=4
	s_xor_b32 s17, exec_lo, -1
; %bb.520:                              ;   in Loop: Header=BB2_352 Depth=4
	s_or_b32 exec_lo, exec_lo, s74
	s_and_b32 s17, s17, exec_lo
	s_or_saveexec_b32 s73, s73
	v_mov_b32_e32 v74, 0x7f800001
	s_xor_b32 exec_lo, exec_lo, s73
	s_cbranch_execnz .LBB2_965
.LBB2_521:                              ;   in Loop: Header=BB2_352 Depth=4
	s_or_b32 exec_lo, exec_lo, s73
	s_and_saveexec_b32 s73, s17
.LBB2_522:                              ;   in Loop: Header=BB2_352 Depth=4
	v_mov_b32_e32 v74, v8
.LBB2_523:                              ;   in Loop: Header=BB2_352 Depth=4
	s_or_b32 exec_lo, exec_lo, s73
	v_max_f32_e32 v8, v74, v74
	v_max_f32_e32 v73, v73, v73
	v_min_f32_e32 v74, v73, v8
.LBB2_524:                              ;   in Loop: Header=BB2_352 Depth=4
	v_and_b32_e32 v8, 0x7f800000, v74
	v_mov_b32_e32 v73, 0x80
	s_mov_b32 s73, exec_lo
	v_cmpx_ne_u32_e32 0x7f800000, v8
	s_cbranch_execz .LBB2_532
; %bb.525:                              ;   in Loop: Header=BB2_352 Depth=4
	v_mov_b32_e32 v73, 0
	s_mov_b32 s74, exec_lo
	v_cmpx_ne_u32_e32 0, v74
	s_cbranch_execz .LBB2_531
; %bb.526:                              ;   in Loop: Header=BB2_352 Depth=4
	v_bfe_u32 v8, v74, 23, 8
	v_and_b32_e32 v73, 0x7fffff, v74
	v_sub_nc_u32_e32 v75, 0x78, v8
	v_cmp_gt_u32_e32 vcc_lo, 0x79, v8
	v_or_b32_e32 v76, 0x800000, v73
	v_cndmask_b32_e32 v75, 0, v75, vcc_lo
	v_cmp_eq_u32_e32 vcc_lo, 0, v8
	v_add_nc_u32_e32 v8, 0xffffff89, v8
	v_cndmask_b32_e64 v75, v75, 0x77, vcc_lo
	v_cndmask_b32_e32 v73, v76, v73, vcc_lo
	v_cndmask_b32_e64 v8, v8, 0xffffff8a, vcc_lo
	v_lshl_add_u32 v76, 0x100000, v75, -1
	v_lshrrev_b32_e32 v77, v75, v73
	v_lshlrev_b32_e64 v79, v75, 0x80000
	v_add_nc_u32_e32 v75, v75, v8
	v_and_b32_e32 v73, v76, v73
	v_bfe_u32 v78, v77, 20, 1
	v_cmp_eq_u32_e64 s17, v73, v79
	v_add_nc_u32_e32 v76, -1, v78
	v_cndmask_b32_e64 v73, 0, v76, s17
	v_lshrrev_b32_e32 v76, 23, v77
	s_mov_b32 s17, exec_lo
	v_add_nc_u32_e32 v73, v73, v77
	v_xor_b32_e32 v76, 1, v76
	v_and_b32_e32 v8, 0xfffff, v73
	v_add_nc_u32_e32 v73, v8, v77
                                        ; implicit-def: $vgpr8
	v_cmpx_ne_u32_e64 v75, v76
	s_xor_b32 s17, exec_lo, s17
; %bb.527:                              ;   in Loop: Header=BB2_352 Depth=4
	v_cmp_lt_u32_e32 vcc_lo, 0xffffff, v73
	v_sub_nc_u32_e32 v8, v75, v76
	v_cndmask_b32_e64 v75, 0, 1, vcc_lo
	v_add_co_ci_u32_e64 v8, null, 0, v8, vcc_lo
	v_lshrrev_b32_e32 v73, v75, v73
; %bb.528:                              ;   in Loop: Header=BB2_352 Depth=4
	s_andn2_saveexec_b32 s17, s17
; %bb.529:                              ;   in Loop: Header=BB2_352 Depth=4
	v_bfe_u32 v8, v73, 23, 1
; %bb.530:                              ;   in Loop: Header=BB2_352 Depth=4
	s_or_b32 exec_lo, exec_lo, s17
	v_lshrrev_b32_e32 v73, 20, v73
	v_min_i32_e32 v75, 15, v8
	v_cmp_gt_i32_e32 vcc_lo, 16, v8
	v_and_b32_sdwa v74, v74, v103 dst_sel:DWORD dst_unused:UNUSED_PAD src0_sel:BYTE_3 src1_sel:DWORD
	v_lshlrev_b32_e32 v75, 3, v75
	v_cndmask_b32_e32 v73, 7, v73, vcc_lo
	v_and_b32_e32 v75, 0xf8, v75
	v_and_b32_e32 v76, 7, v73
	v_or_b32_e32 v8, v8, v73
	v_or3_b32 v73, v75, v74, v76
	v_cmp_ne_u32_e32 vcc_lo, 0, v8
	v_cndmask_b32_e32 v73, 0, v73, vcc_lo
.LBB2_531:                              ;   in Loop: Header=BB2_352 Depth=4
	s_or_b32 exec_lo, exec_lo, s74
.LBB2_532:                              ;   in Loop: Header=BB2_352 Depth=4
	s_or_b32 exec_lo, exec_lo, s73
	v_and_b32_sdwa v8, v112, v9 dst_sel:DWORD dst_unused:UNUSED_PAD src0_sel:DWORD src1_sel:BYTE_1
	s_mov_b32 s17, -1
	v_and_b32_e32 v74, 7, v8
	v_bfe_u32 v77, v8, 3, 4
	v_ffbh_u32_e32 v75, v74
	v_cmp_eq_u32_e32 vcc_lo, 0, v77
	v_min_u32_e32 v75, 32, v75
	v_subrev_nc_u32_e32 v76, 28, v75
	v_sub_nc_u32_e32 v75, 29, v75
	v_lshlrev_b32_e32 v8, v76, v8
	v_lshlrev_b32_sdwa v76, v113, v9 dst_sel:DWORD dst_unused:UNUSED_PAD src0_sel:DWORD src1_sel:BYTE_1
	v_cndmask_b32_e32 v75, v77, v75, vcc_lo
	v_and_b32_e32 v8, 7, v8
	v_lshl_add_u32 v75, v75, 23, 0x3b800000
	v_cndmask_b32_e32 v8, v74, v8, vcc_lo
	v_and_b32_e32 v74, 0x80000000, v76
	s_and_b32 vcc_lo, exec_lo, s72
	v_lshlrev_b32_e32 v8, 20, v8
	v_or3_b32 v8, v74, v75, v8
                                        ; implicit-def: $vgpr75
	s_cbranch_vccz .LBB2_546
; %bb.533:                              ;   in Loop: Header=BB2_352 Depth=4
	v_cmp_gt_i16_sdwa s73, v13, v102 src0_sel:BYTE_1 src1_sel:DWORD
	s_mov_b32 s17, 0
	s_and_saveexec_b32 s74, s73
	s_xor_b32 s73, exec_lo, s74
	s_cbranch_execz .LBB2_966
; %bb.534:                              ;   in Loop: Header=BB2_352 Depth=4
	v_cmp_eq_u16_sdwa s75, v13, v103 src0_sel:BYTE_1 src1_sel:DWORD
	s_mov_b32 s17, -1
	s_and_saveexec_b32 s74, s75
; %bb.535:                              ;   in Loop: Header=BB2_352 Depth=4
	s_xor_b32 s17, exec_lo, -1
; %bb.536:                              ;   in Loop: Header=BB2_352 Depth=4
	s_or_b32 exec_lo, exec_lo, s74
	s_and_b32 s17, s17, exec_lo
	s_or_saveexec_b32 s73, s73
	v_mov_b32_e32 v74, 0x7f800001
	s_xor_b32 exec_lo, exec_lo, s73
	s_cbranch_execnz .LBB2_967
.LBB2_537:                              ;   in Loop: Header=BB2_352 Depth=4
	s_or_b32 exec_lo, exec_lo, s73
	s_and_saveexec_b32 s73, s17
	s_cbranch_execz .LBB2_539
.LBB2_538:                              ;   in Loop: Header=BB2_352 Depth=4
	v_and_b32_sdwa v74, v112, v13 dst_sel:DWORD dst_unused:UNUSED_PAD src0_sel:DWORD src1_sel:BYTE_1
	v_and_b32_e32 v75, 7, v74
	v_bfe_u32 v78, v74, 3, 4
	v_ffbh_u32_e32 v76, v75
	v_cmp_eq_u32_e32 vcc_lo, 0, v78
	v_min_u32_e32 v76, 32, v76
	v_subrev_nc_u32_e32 v77, 28, v76
	v_sub_nc_u32_e32 v76, 29, v76
	v_lshlrev_b32_e32 v74, v77, v74
	v_lshlrev_b32_e32 v77, 16, v13
	v_cndmask_b32_e32 v76, v78, v76, vcc_lo
	v_and_b32_e32 v74, 7, v74
	v_lshl_add_u32 v76, v76, 23, 0x3b800000
	v_cndmask_b32_e32 v74, v75, v74, vcc_lo
	v_and_b32_e32 v75, 0x80000000, v77
	v_lshlrev_b32_e32 v74, 20, v74
	v_or3_b32 v74, v75, v76, v74
.LBB2_539:                              ;   in Loop: Header=BB2_352 Depth=4
	s_or_b32 exec_lo, exec_lo, s73
	v_cmp_gt_i16_sdwa s73, v9, v102 src0_sel:BYTE_1 src1_sel:DWORD
	s_mov_b32 s17, 0
	s_and_saveexec_b32 s74, s73
	s_xor_b32 s73, exec_lo, s74
	s_cbranch_execz .LBB2_968
; %bb.540:                              ;   in Loop: Header=BB2_352 Depth=4
	v_cmp_eq_u16_sdwa s75, v9, v103 src0_sel:BYTE_1 src1_sel:DWORD
	s_mov_b32 s17, -1
	s_and_saveexec_b32 s74, s75
; %bb.541:                              ;   in Loop: Header=BB2_352 Depth=4
	s_xor_b32 s17, exec_lo, -1
; %bb.542:                              ;   in Loop: Header=BB2_352 Depth=4
	s_or_b32 exec_lo, exec_lo, s74
	s_and_b32 s17, s17, exec_lo
	s_or_saveexec_b32 s73, s73
	v_mov_b32_e32 v75, 0x7f800001
	s_xor_b32 exec_lo, exec_lo, s73
	s_cbranch_execnz .LBB2_969
.LBB2_543:                              ;   in Loop: Header=BB2_352 Depth=4
	s_or_b32 exec_lo, exec_lo, s73
	s_and_saveexec_b32 s73, s17
.LBB2_544:                              ;   in Loop: Header=BB2_352 Depth=4
	v_mov_b32_e32 v75, v8
.LBB2_545:                              ;   in Loop: Header=BB2_352 Depth=4
	s_or_b32 exec_lo, exec_lo, s73
	v_max_f32_e32 v75, v75, v75
	v_max_f32_e32 v74, v74, v74
	s_mov_b32 s17, 0
	v_max_f32_e32 v75, v74, v75
.LBB2_546:                              ;   in Loop: Header=BB2_352 Depth=4
	s_and_b32 vcc_lo, exec_lo, s17
	s_cbranch_vccz .LBB2_560
; %bb.547:                              ;   in Loop: Header=BB2_352 Depth=4
	v_cmp_gt_i16_sdwa s73, v13, v102 src0_sel:BYTE_1 src1_sel:DWORD
	s_mov_b32 s17, 0
	s_and_saveexec_b32 s74, s73
	s_xor_b32 s73, exec_lo, s74
	s_cbranch_execz .LBB2_970
; %bb.548:                              ;   in Loop: Header=BB2_352 Depth=4
	v_cmp_eq_u16_sdwa s75, v13, v103 src0_sel:BYTE_1 src1_sel:DWORD
	s_mov_b32 s17, -1
	s_and_saveexec_b32 s74, s75
; %bb.549:                              ;   in Loop: Header=BB2_352 Depth=4
	s_xor_b32 s17, exec_lo, -1
; %bb.550:                              ;   in Loop: Header=BB2_352 Depth=4
	s_or_b32 exec_lo, exec_lo, s74
	s_and_b32 s17, s17, exec_lo
	s_or_saveexec_b32 s73, s73
	v_mov_b32_e32 v74, 0x7f800001
	s_xor_b32 exec_lo, exec_lo, s73
	s_cbranch_execnz .LBB2_971
.LBB2_551:                              ;   in Loop: Header=BB2_352 Depth=4
	s_or_b32 exec_lo, exec_lo, s73
	s_and_saveexec_b32 s73, s17
	s_cbranch_execz .LBB2_553
.LBB2_552:                              ;   in Loop: Header=BB2_352 Depth=4
	v_and_b32_sdwa v74, v112, v13 dst_sel:DWORD dst_unused:UNUSED_PAD src0_sel:DWORD src1_sel:BYTE_1
	v_and_b32_e32 v75, 7, v74
	v_bfe_u32 v78, v74, 3, 4
	v_ffbh_u32_e32 v76, v75
	v_cmp_eq_u32_e32 vcc_lo, 0, v78
	v_min_u32_e32 v76, 32, v76
	v_subrev_nc_u32_e32 v77, 28, v76
	v_sub_nc_u32_e32 v76, 29, v76
	v_lshlrev_b32_e32 v74, v77, v74
	v_lshlrev_b32_e32 v77, 16, v13
	v_cndmask_b32_e32 v76, v78, v76, vcc_lo
	v_and_b32_e32 v74, 7, v74
	v_lshl_add_u32 v76, v76, 23, 0x3b800000
	v_cndmask_b32_e32 v74, v75, v74, vcc_lo
	v_and_b32_e32 v75, 0x80000000, v77
	v_lshlrev_b32_e32 v74, 20, v74
	v_or3_b32 v74, v75, v76, v74
.LBB2_553:                              ;   in Loop: Header=BB2_352 Depth=4
	s_or_b32 exec_lo, exec_lo, s73
	v_cmp_gt_i16_sdwa s73, v9, v102 src0_sel:BYTE_1 src1_sel:DWORD
	s_mov_b32 s17, 0
	s_and_saveexec_b32 s74, s73
	s_xor_b32 s73, exec_lo, s74
	s_cbranch_execz .LBB2_972
; %bb.554:                              ;   in Loop: Header=BB2_352 Depth=4
	v_cmp_eq_u16_sdwa s75, v9, v103 src0_sel:BYTE_1 src1_sel:DWORD
	s_mov_b32 s17, -1
	s_and_saveexec_b32 s74, s75
; %bb.555:                              ;   in Loop: Header=BB2_352 Depth=4
	s_xor_b32 s17, exec_lo, -1
; %bb.556:                              ;   in Loop: Header=BB2_352 Depth=4
	s_or_b32 exec_lo, exec_lo, s74
	s_and_b32 s17, s17, exec_lo
	s_or_saveexec_b32 s73, s73
	v_mov_b32_e32 v75, 0x7f800001
	s_xor_b32 exec_lo, exec_lo, s73
	s_cbranch_execnz .LBB2_973
.LBB2_557:                              ;   in Loop: Header=BB2_352 Depth=4
	s_or_b32 exec_lo, exec_lo, s73
	s_and_saveexec_b32 s73, s17
.LBB2_558:                              ;   in Loop: Header=BB2_352 Depth=4
	v_mov_b32_e32 v75, v8
.LBB2_559:                              ;   in Loop: Header=BB2_352 Depth=4
	s_or_b32 exec_lo, exec_lo, s73
	v_max_f32_e32 v8, v75, v75
	v_max_f32_e32 v74, v74, v74
	v_min_f32_e32 v75, v74, v8
.LBB2_560:                              ;   in Loop: Header=BB2_352 Depth=4
	v_and_b32_e32 v8, 0x7f800000, v75
	v_mov_b32_e32 v74, 0x8000
	s_mov_b32 s73, exec_lo
	v_cmpx_ne_u32_e32 0x7f800000, v8
	s_cbranch_execz .LBB2_568
; %bb.561:                              ;   in Loop: Header=BB2_352 Depth=4
	v_mov_b32_e32 v74, 0
	s_mov_b32 s74, exec_lo
	v_cmpx_ne_u32_e32 0, v75
	s_cbranch_execz .LBB2_567
; %bb.562:                              ;   in Loop: Header=BB2_352 Depth=4
	v_bfe_u32 v8, v75, 23, 8
	v_and_b32_e32 v74, 0x7fffff, v75
	v_sub_nc_u32_e32 v76, 0x78, v8
	v_cmp_gt_u32_e32 vcc_lo, 0x79, v8
	v_or_b32_e32 v77, 0x800000, v74
	v_cndmask_b32_e32 v76, 0, v76, vcc_lo
	v_cmp_eq_u32_e32 vcc_lo, 0, v8
	v_add_nc_u32_e32 v8, 0xffffff89, v8
	v_cndmask_b32_e64 v76, v76, 0x77, vcc_lo
	v_cndmask_b32_e32 v74, v77, v74, vcc_lo
	v_cndmask_b32_e64 v8, v8, 0xffffff8a, vcc_lo
	v_lshl_add_u32 v77, 0x100000, v76, -1
	v_lshrrev_b32_e32 v78, v76, v74
	v_lshlrev_b32_e64 v88, v76, 0x80000
	v_add_nc_u32_e32 v76, v76, v8
	v_and_b32_e32 v74, v77, v74
	v_bfe_u32 v79, v78, 20, 1
	v_cmp_eq_u32_e64 s17, v74, v88
	v_add_nc_u32_e32 v77, -1, v79
	v_cndmask_b32_e64 v74, 0, v77, s17
	v_lshrrev_b32_e32 v77, 23, v78
	s_mov_b32 s17, exec_lo
	v_add_nc_u32_e32 v74, v74, v78
	v_xor_b32_e32 v77, 1, v77
	v_and_b32_e32 v8, 0xfffff, v74
	v_add_nc_u32_e32 v74, v8, v78
                                        ; implicit-def: $vgpr8
	v_cmpx_ne_u32_e64 v76, v77
	s_xor_b32 s17, exec_lo, s17
; %bb.563:                              ;   in Loop: Header=BB2_352 Depth=4
	v_cmp_lt_u32_e32 vcc_lo, 0xffffff, v74
	v_sub_nc_u32_e32 v8, v76, v77
	v_cndmask_b32_e64 v76, 0, 1, vcc_lo
	v_add_co_ci_u32_e64 v8, null, 0, v8, vcc_lo
	v_lshrrev_b32_e32 v74, v76, v74
; %bb.564:                              ;   in Loop: Header=BB2_352 Depth=4
	s_andn2_saveexec_b32 s17, s17
; %bb.565:                              ;   in Loop: Header=BB2_352 Depth=4
	v_bfe_u32 v8, v74, 23, 1
; %bb.566:                              ;   in Loop: Header=BB2_352 Depth=4
	s_or_b32 exec_lo, exec_lo, s17
	v_lshrrev_b32_e32 v74, 20, v74
	v_min_i32_e32 v76, 15, v8
	v_cmp_gt_i32_e32 vcc_lo, 16, v8
	v_and_b32_sdwa v75, v75, v103 dst_sel:DWORD dst_unused:UNUSED_PAD src0_sel:BYTE_3 src1_sel:DWORD
	v_lshlrev_b32_e32 v76, 3, v76
	v_cndmask_b32_e32 v74, 7, v74, vcc_lo
	v_and_b32_e32 v76, 0xf8, v76
	v_and_b32_e32 v77, 7, v74
	v_or_b32_e32 v8, v8, v74
	v_or3_b32 v75, v75, v76, v77
	v_cmp_ne_u32_e32 vcc_lo, 0, v8
	v_lshlrev_b32_e32 v74, 8, v75
	v_cndmask_b32_e32 v74, 0, v74, vcc_lo
.LBB2_567:                              ;   in Loop: Header=BB2_352 Depth=4
	s_or_b32 exec_lo, exec_lo, s74
.LBB2_568:                              ;   in Loop: Header=BB2_352 Depth=4
	s_or_b32 exec_lo, exec_lo, s73
	v_bfe_u32 v8, v9, 16, 3
	v_bfe_u32 v77, v9, 19, 4
	v_lshlrev_b32_e32 v78, 8, v9
	s_mov_b32 s17, -1
	v_ffbh_u32_e32 v75, v8
	v_cmp_eq_u32_e32 vcc_lo, 0, v77
	v_min_u32_e32 v75, 32, v75
	v_subrev_nc_u32_e32 v76, 28, v75
	v_sub_nc_u32_e32 v75, 29, v75
	v_lshlrev_b32_sdwa v76, v76, v9 dst_sel:DWORD dst_unused:UNUSED_PAD src0_sel:DWORD src1_sel:WORD_1
	v_cndmask_b32_e32 v75, v77, v75, vcc_lo
	v_and_b32_e32 v76, 7, v76
	v_lshl_add_u32 v75, v75, 23, 0x3b800000
	v_cndmask_b32_e32 v8, v8, v76, vcc_lo
	v_and_b32_e32 v76, 0x80000000, v78
	s_and_b32 vcc_lo, exec_lo, s72
	v_lshlrev_b32_e32 v8, 20, v8
	v_or3_b32 v8, v76, v75, v8
                                        ; implicit-def: $vgpr76
	s_cbranch_vccz .LBB2_582
; %bb.569:                              ;   in Loop: Header=BB2_352 Depth=4
	v_and_b32_sdwa v76, v13, v114 dst_sel:DWORD dst_unused:UNUSED_PAD src0_sel:WORD_1 src1_sel:DWORD
	s_mov_b32 s17, 0
	s_mov_b32 s73, exec_lo
	v_cmpx_lt_i16_e32 0x7f, v76
	s_xor_b32 s73, exec_lo, s73
	s_cbranch_execz .LBB2_974
; %bb.570:                              ;   in Loop: Header=BB2_352 Depth=4
	s_mov_b32 s17, -1
	s_mov_b32 s74, exec_lo
	v_cmpx_eq_u16_e32 0x80, v76
; %bb.571:                              ;   in Loop: Header=BB2_352 Depth=4
	s_xor_b32 s17, exec_lo, -1
; %bb.572:                              ;   in Loop: Header=BB2_352 Depth=4
	s_or_b32 exec_lo, exec_lo, s74
	s_and_b32 s17, s17, exec_lo
                                        ; implicit-def: $vgpr76
	s_or_saveexec_b32 s73, s73
	v_mov_b32_e32 v75, 0x7f800001
	s_xor_b32 exec_lo, exec_lo, s73
	s_cbranch_execnz .LBB2_975
.LBB2_573:                              ;   in Loop: Header=BB2_352 Depth=4
	s_or_b32 exec_lo, exec_lo, s73
	s_and_saveexec_b32 s73, s17
	s_cbranch_execz .LBB2_575
.LBB2_574:                              ;   in Loop: Header=BB2_352 Depth=4
	v_bfe_u32 v75, v13, 16, 3
	v_bfe_u32 v78, v13, 19, 4
	v_lshlrev_b32_sdwa v79, v113, v13 dst_sel:DWORD dst_unused:UNUSED_PAD src0_sel:DWORD src1_sel:WORD_1
	v_ffbh_u32_e32 v76, v75
	v_cmp_eq_u32_e32 vcc_lo, 0, v78
	v_min_u32_e32 v76, 32, v76
	v_subrev_nc_u32_e32 v77, 28, v76
	v_sub_nc_u32_e32 v76, 29, v76
	v_lshlrev_b32_sdwa v77, v77, v13 dst_sel:DWORD dst_unused:UNUSED_PAD src0_sel:DWORD src1_sel:WORD_1
	v_cndmask_b32_e32 v76, v78, v76, vcc_lo
	v_and_b32_e32 v77, 7, v77
	v_lshl_add_u32 v76, v76, 23, 0x3b800000
	v_cndmask_b32_e32 v75, v75, v77, vcc_lo
	v_and_b32_e32 v77, 0x80000000, v79
	v_lshlrev_b32_e32 v75, 20, v75
	v_or3_b32 v75, v77, v76, v75
.LBB2_575:                              ;   in Loop: Header=BB2_352 Depth=4
	s_or_b32 exec_lo, exec_lo, s73
	v_and_b32_sdwa v77, v9, v114 dst_sel:DWORD dst_unused:UNUSED_PAD src0_sel:WORD_1 src1_sel:DWORD
	s_mov_b32 s17, 0
	s_mov_b32 s73, exec_lo
	v_cmpx_lt_i16_e32 0x7f, v77
	s_xor_b32 s73, exec_lo, s73
	s_cbranch_execz .LBB2_976
; %bb.576:                              ;   in Loop: Header=BB2_352 Depth=4
	s_mov_b32 s17, -1
	s_mov_b32 s74, exec_lo
	v_cmpx_eq_u16_e32 0x80, v77
; %bb.577:                              ;   in Loop: Header=BB2_352 Depth=4
	s_xor_b32 s17, exec_lo, -1
; %bb.578:                              ;   in Loop: Header=BB2_352 Depth=4
	s_or_b32 exec_lo, exec_lo, s74
	s_and_b32 s17, s17, exec_lo
                                        ; implicit-def: $vgpr77
	s_or_saveexec_b32 s73, s73
	v_mov_b32_e32 v76, 0x7f800001
	s_xor_b32 exec_lo, exec_lo, s73
	s_cbranch_execnz .LBB2_977
.LBB2_579:                              ;   in Loop: Header=BB2_352 Depth=4
	s_or_b32 exec_lo, exec_lo, s73
	s_and_saveexec_b32 s73, s17
.LBB2_580:                              ;   in Loop: Header=BB2_352 Depth=4
	v_mov_b32_e32 v76, v8
.LBB2_581:                              ;   in Loop: Header=BB2_352 Depth=4
	s_or_b32 exec_lo, exec_lo, s73
	v_max_f32_e32 v76, v76, v76
	v_max_f32_e32 v75, v75, v75
	s_mov_b32 s17, 0
	v_max_f32_e32 v76, v75, v76
.LBB2_582:                              ;   in Loop: Header=BB2_352 Depth=4
	s_and_b32 vcc_lo, exec_lo, s17
	s_cbranch_vccz .LBB2_596
; %bb.583:                              ;   in Loop: Header=BB2_352 Depth=4
	v_and_b32_sdwa v76, v13, v114 dst_sel:DWORD dst_unused:UNUSED_PAD src0_sel:WORD_1 src1_sel:DWORD
	s_mov_b32 s17, 0
	s_mov_b32 s73, exec_lo
	v_cmpx_lt_i16_e32 0x7f, v76
	s_xor_b32 s73, exec_lo, s73
	s_cbranch_execz .LBB2_978
; %bb.584:                              ;   in Loop: Header=BB2_352 Depth=4
	s_mov_b32 s17, -1
	s_mov_b32 s74, exec_lo
	v_cmpx_eq_u16_e32 0x80, v76
; %bb.585:                              ;   in Loop: Header=BB2_352 Depth=4
	s_xor_b32 s17, exec_lo, -1
; %bb.586:                              ;   in Loop: Header=BB2_352 Depth=4
	s_or_b32 exec_lo, exec_lo, s74
	s_and_b32 s17, s17, exec_lo
                                        ; implicit-def: $vgpr76
	s_or_saveexec_b32 s73, s73
	v_mov_b32_e32 v75, 0x7f800001
	s_xor_b32 exec_lo, exec_lo, s73
	s_cbranch_execnz .LBB2_979
.LBB2_587:                              ;   in Loop: Header=BB2_352 Depth=4
	s_or_b32 exec_lo, exec_lo, s73
	s_and_saveexec_b32 s73, s17
	s_cbranch_execz .LBB2_589
.LBB2_588:                              ;   in Loop: Header=BB2_352 Depth=4
	v_bfe_u32 v75, v13, 16, 3
	v_bfe_u32 v78, v13, 19, 4
	v_lshlrev_b32_sdwa v79, v113, v13 dst_sel:DWORD dst_unused:UNUSED_PAD src0_sel:DWORD src1_sel:WORD_1
	v_ffbh_u32_e32 v76, v75
	v_cmp_eq_u32_e32 vcc_lo, 0, v78
	v_min_u32_e32 v76, 32, v76
	v_subrev_nc_u32_e32 v77, 28, v76
	v_sub_nc_u32_e32 v76, 29, v76
	v_lshlrev_b32_sdwa v77, v77, v13 dst_sel:DWORD dst_unused:UNUSED_PAD src0_sel:DWORD src1_sel:WORD_1
	v_cndmask_b32_e32 v76, v78, v76, vcc_lo
	v_and_b32_e32 v77, 7, v77
	v_lshl_add_u32 v76, v76, 23, 0x3b800000
	v_cndmask_b32_e32 v75, v75, v77, vcc_lo
	v_and_b32_e32 v77, 0x80000000, v79
	v_lshlrev_b32_e32 v75, 20, v75
	v_or3_b32 v75, v77, v76, v75
.LBB2_589:                              ;   in Loop: Header=BB2_352 Depth=4
	s_or_b32 exec_lo, exec_lo, s73
	v_and_b32_sdwa v77, v9, v114 dst_sel:DWORD dst_unused:UNUSED_PAD src0_sel:WORD_1 src1_sel:DWORD
	s_mov_b32 s17, 0
	s_mov_b32 s73, exec_lo
	v_cmpx_lt_i16_e32 0x7f, v77
	s_xor_b32 s73, exec_lo, s73
	s_cbranch_execz .LBB2_980
; %bb.590:                              ;   in Loop: Header=BB2_352 Depth=4
	s_mov_b32 s17, -1
	s_mov_b32 s74, exec_lo
	v_cmpx_eq_u16_e32 0x80, v77
; %bb.591:                              ;   in Loop: Header=BB2_352 Depth=4
	s_xor_b32 s17, exec_lo, -1
; %bb.592:                              ;   in Loop: Header=BB2_352 Depth=4
	s_or_b32 exec_lo, exec_lo, s74
	s_and_b32 s17, s17, exec_lo
                                        ; implicit-def: $vgpr77
	s_or_saveexec_b32 s73, s73
	v_mov_b32_e32 v76, 0x7f800001
	s_xor_b32 exec_lo, exec_lo, s73
	s_cbranch_execnz .LBB2_981
.LBB2_593:                              ;   in Loop: Header=BB2_352 Depth=4
	s_or_b32 exec_lo, exec_lo, s73
	s_and_saveexec_b32 s73, s17
.LBB2_594:                              ;   in Loop: Header=BB2_352 Depth=4
	v_mov_b32_e32 v76, v8
.LBB2_595:                              ;   in Loop: Header=BB2_352 Depth=4
	s_or_b32 exec_lo, exec_lo, s73
	v_max_f32_e32 v8, v76, v76
	v_max_f32_e32 v75, v75, v75
	v_min_f32_e32 v76, v75, v8
.LBB2_596:                              ;   in Loop: Header=BB2_352 Depth=4
	v_and_b32_e32 v8, 0x7f800000, v76
	v_mov_b32_e32 v75, 0x80
	s_mov_b32 s73, exec_lo
	v_cmpx_ne_u32_e32 0x7f800000, v8
	s_cbranch_execz .LBB2_604
; %bb.597:                              ;   in Loop: Header=BB2_352 Depth=4
	v_mov_b32_e32 v75, 0
	s_mov_b32 s74, exec_lo
	v_cmpx_ne_u32_e32 0, v76
	s_cbranch_execz .LBB2_603
; %bb.598:                              ;   in Loop: Header=BB2_352 Depth=4
	v_bfe_u32 v8, v76, 23, 8
	v_and_b32_e32 v75, 0x7fffff, v76
	v_sub_nc_u32_e32 v77, 0x78, v8
	v_cmp_gt_u32_e32 vcc_lo, 0x79, v8
	v_or_b32_e32 v78, 0x800000, v75
	v_cndmask_b32_e32 v77, 0, v77, vcc_lo
	v_cmp_eq_u32_e32 vcc_lo, 0, v8
	v_add_nc_u32_e32 v8, 0xffffff89, v8
	v_cndmask_b32_e64 v77, v77, 0x77, vcc_lo
	v_cndmask_b32_e32 v75, v78, v75, vcc_lo
	v_cndmask_b32_e64 v8, v8, 0xffffff8a, vcc_lo
	v_lshl_add_u32 v78, 0x100000, v77, -1
	v_lshrrev_b32_e32 v79, v77, v75
	v_lshlrev_b32_e64 v89, v77, 0x80000
	v_add_nc_u32_e32 v77, v77, v8
	v_and_b32_e32 v75, v78, v75
	v_bfe_u32 v88, v79, 20, 1
	v_cmp_eq_u32_e64 s17, v75, v89
	v_add_nc_u32_e32 v78, -1, v88
	v_cndmask_b32_e64 v75, 0, v78, s17
	v_lshrrev_b32_e32 v78, 23, v79
	s_mov_b32 s17, exec_lo
	v_add_nc_u32_e32 v75, v75, v79
	v_xor_b32_e32 v78, 1, v78
	v_and_b32_e32 v8, 0xfffff, v75
	v_add_nc_u32_e32 v75, v8, v79
                                        ; implicit-def: $vgpr8
	v_cmpx_ne_u32_e64 v77, v78
	s_xor_b32 s17, exec_lo, s17
; %bb.599:                              ;   in Loop: Header=BB2_352 Depth=4
	v_cmp_lt_u32_e32 vcc_lo, 0xffffff, v75
	v_sub_nc_u32_e32 v8, v77, v78
	v_cndmask_b32_e64 v77, 0, 1, vcc_lo
	v_add_co_ci_u32_e64 v8, null, 0, v8, vcc_lo
	v_lshrrev_b32_e32 v75, v77, v75
; %bb.600:                              ;   in Loop: Header=BB2_352 Depth=4
	s_andn2_saveexec_b32 s17, s17
; %bb.601:                              ;   in Loop: Header=BB2_352 Depth=4
	v_bfe_u32 v8, v75, 23, 1
; %bb.602:                              ;   in Loop: Header=BB2_352 Depth=4
	s_or_b32 exec_lo, exec_lo, s17
	v_lshrrev_b32_e32 v75, 20, v75
	v_min_i32_e32 v77, 15, v8
	v_cmp_gt_i32_e32 vcc_lo, 16, v8
	v_and_b32_sdwa v76, v76, v103 dst_sel:DWORD dst_unused:UNUSED_PAD src0_sel:BYTE_3 src1_sel:DWORD
	v_lshlrev_b32_e32 v77, 3, v77
	v_cndmask_b32_e32 v75, 7, v75, vcc_lo
	v_and_b32_e32 v77, 0xf8, v77
	v_and_b32_e32 v78, 7, v75
	v_or_b32_e32 v8, v8, v75
	v_or3_b32 v75, v77, v76, v78
	v_cmp_ne_u32_e32 vcc_lo, 0, v8
	v_cndmask_b32_e32 v75, 0, v75, vcc_lo
.LBB2_603:                              ;   in Loop: Header=BB2_352 Depth=4
	s_or_b32 exec_lo, exec_lo, s74
.LBB2_604:                              ;   in Loop: Header=BB2_352 Depth=4
	s_or_b32 exec_lo, exec_lo, s73
	v_bfe_u32 v8, v9, 24, 3
	v_bfe_u32 v78, v9, 27, 4
	s_mov_b32 s17, -1
	v_ffbh_u32_e32 v76, v8
	v_cmp_eq_u32_e32 vcc_lo, 0, v78
	v_min_u32_e32 v76, 32, v76
	v_subrev_nc_u32_e32 v77, 28, v76
	v_sub_nc_u32_e32 v76, 29, v76
	v_lshlrev_b32_sdwa v77, v77, v9 dst_sel:DWORD dst_unused:UNUSED_PAD src0_sel:DWORD src1_sel:BYTE_3
	v_cndmask_b32_e32 v76, v78, v76, vcc_lo
	v_and_b32_e32 v77, 7, v77
	v_lshl_add_u32 v76, v76, 23, 0x3b800000
	v_cndmask_b32_e32 v8, v8, v77, vcc_lo
	v_and_b32_e32 v77, 0x80000000, v9
	s_and_b32 vcc_lo, exec_lo, s72
	v_lshlrev_b32_e32 v8, 20, v8
	v_or3_b32 v8, v77, v76, v8
                                        ; implicit-def: $vgpr76
	s_cbranch_vccz .LBB2_618
; %bb.605:                              ;   in Loop: Header=BB2_352 Depth=4
	v_cmp_gt_i16_sdwa s73, v13, v102 src0_sel:BYTE_3 src1_sel:DWORD
	s_mov_b32 s17, 0
	s_and_saveexec_b32 s74, s73
	s_xor_b32 s73, exec_lo, s74
	s_cbranch_execz .LBB2_982
; %bb.606:                              ;   in Loop: Header=BB2_352 Depth=4
	v_cmp_eq_u16_sdwa s75, v13, v103 src0_sel:BYTE_3 src1_sel:DWORD
	s_mov_b32 s17, -1
	s_and_saveexec_b32 s74, s75
; %bb.607:                              ;   in Loop: Header=BB2_352 Depth=4
	s_xor_b32 s17, exec_lo, -1
; %bb.608:                              ;   in Loop: Header=BB2_352 Depth=4
	s_or_b32 exec_lo, exec_lo, s74
	s_and_b32 s17, s17, exec_lo
	s_or_saveexec_b32 s73, s73
	v_mov_b32_e32 v76, 0x7f800001
	s_xor_b32 exec_lo, exec_lo, s73
	s_cbranch_execnz .LBB2_983
.LBB2_609:                              ;   in Loop: Header=BB2_352 Depth=4
	s_or_b32 exec_lo, exec_lo, s73
	s_and_saveexec_b32 s73, s17
	s_cbranch_execz .LBB2_611
.LBB2_610:                              ;   in Loop: Header=BB2_352 Depth=4
	v_bfe_u32 v76, v13, 24, 3
	v_bfe_u32 v79, v13, 27, 4
	v_ffbh_u32_e32 v77, v76
	v_cmp_eq_u32_e32 vcc_lo, 0, v79
	v_min_u32_e32 v77, 32, v77
	v_subrev_nc_u32_e32 v78, 28, v77
	v_sub_nc_u32_e32 v77, 29, v77
	v_lshlrev_b32_sdwa v78, v78, v13 dst_sel:DWORD dst_unused:UNUSED_PAD src0_sel:DWORD src1_sel:BYTE_3
	v_cndmask_b32_e32 v77, v79, v77, vcc_lo
	v_and_b32_e32 v78, 7, v78
	v_lshl_add_u32 v77, v77, 23, 0x3b800000
	v_cndmask_b32_e32 v76, v76, v78, vcc_lo
	v_and_b32_e32 v78, 0x80000000, v13
	v_lshlrev_b32_e32 v76, 20, v76
	v_or3_b32 v76, v78, v77, v76
.LBB2_611:                              ;   in Loop: Header=BB2_352 Depth=4
	s_or_b32 exec_lo, exec_lo, s73
	v_cmp_gt_i16_sdwa s73, v9, v102 src0_sel:BYTE_3 src1_sel:DWORD
	s_mov_b32 s17, 0
	s_and_saveexec_b32 s74, s73
	s_xor_b32 s73, exec_lo, s74
	s_cbranch_execz .LBB2_984
; %bb.612:                              ;   in Loop: Header=BB2_352 Depth=4
	v_cmp_eq_u16_sdwa s75, v9, v103 src0_sel:BYTE_3 src1_sel:DWORD
	s_mov_b32 s17, -1
	s_and_saveexec_b32 s74, s75
; %bb.613:                              ;   in Loop: Header=BB2_352 Depth=4
	s_xor_b32 s17, exec_lo, -1
; %bb.614:                              ;   in Loop: Header=BB2_352 Depth=4
	s_or_b32 exec_lo, exec_lo, s74
	s_and_b32 s17, s17, exec_lo
	s_or_saveexec_b32 s73, s73
	v_mov_b32_e32 v77, 0x7f800001
	s_xor_b32 exec_lo, exec_lo, s73
	s_cbranch_execnz .LBB2_985
.LBB2_615:                              ;   in Loop: Header=BB2_352 Depth=4
	s_or_b32 exec_lo, exec_lo, s73
	s_and_saveexec_b32 s73, s17
.LBB2_616:                              ;   in Loop: Header=BB2_352 Depth=4
	v_mov_b32_e32 v77, v8
.LBB2_617:                              ;   in Loop: Header=BB2_352 Depth=4
	s_or_b32 exec_lo, exec_lo, s73
	v_max_f32_e32 v77, v77, v77
	v_max_f32_e32 v76, v76, v76
	s_mov_b32 s17, 0
	v_max_f32_e32 v76, v76, v77
.LBB2_618:                              ;   in Loop: Header=BB2_352 Depth=4
	s_and_b32 vcc_lo, exec_lo, s17
	s_cbranch_vccz .LBB2_632
; %bb.619:                              ;   in Loop: Header=BB2_352 Depth=4
	v_cmp_gt_i16_sdwa s73, v13, v102 src0_sel:BYTE_3 src1_sel:DWORD
	s_mov_b32 s17, 0
	s_and_saveexec_b32 s74, s73
	s_xor_b32 s73, exec_lo, s74
	s_cbranch_execz .LBB2_986
; %bb.620:                              ;   in Loop: Header=BB2_352 Depth=4
	v_cmp_eq_u16_sdwa s75, v13, v103 src0_sel:BYTE_3 src1_sel:DWORD
	s_mov_b32 s17, -1
	s_and_saveexec_b32 s74, s75
; %bb.621:                              ;   in Loop: Header=BB2_352 Depth=4
	s_xor_b32 s17, exec_lo, -1
; %bb.622:                              ;   in Loop: Header=BB2_352 Depth=4
	s_or_b32 exec_lo, exec_lo, s74
	s_and_b32 s17, s17, exec_lo
	s_or_saveexec_b32 s73, s73
	v_mov_b32_e32 v76, 0x7f800001
	s_xor_b32 exec_lo, exec_lo, s73
	s_cbranch_execnz .LBB2_987
.LBB2_623:                              ;   in Loop: Header=BB2_352 Depth=4
	s_or_b32 exec_lo, exec_lo, s73
	s_and_saveexec_b32 s73, s17
	s_cbranch_execz .LBB2_625
.LBB2_624:                              ;   in Loop: Header=BB2_352 Depth=4
	v_bfe_u32 v76, v13, 24, 3
	v_bfe_u32 v79, v13, 27, 4
	v_ffbh_u32_e32 v77, v76
	v_cmp_eq_u32_e32 vcc_lo, 0, v79
	v_min_u32_e32 v77, 32, v77
	v_subrev_nc_u32_e32 v78, 28, v77
	v_sub_nc_u32_e32 v77, 29, v77
	v_lshlrev_b32_sdwa v78, v78, v13 dst_sel:DWORD dst_unused:UNUSED_PAD src0_sel:DWORD src1_sel:BYTE_3
	v_cndmask_b32_e32 v77, v79, v77, vcc_lo
	v_and_b32_e32 v13, 0x80000000, v13
	v_and_b32_e32 v78, 7, v78
	v_lshl_add_u32 v77, v77, 23, 0x3b800000
	v_cndmask_b32_e32 v76, v76, v78, vcc_lo
	v_lshlrev_b32_e32 v76, 20, v76
	v_or3_b32 v76, v13, v77, v76
.LBB2_625:                              ;   in Loop: Header=BB2_352 Depth=4
	s_or_b32 exec_lo, exec_lo, s73
	v_cmp_gt_i16_sdwa s73, v9, v102 src0_sel:BYTE_3 src1_sel:DWORD
	s_mov_b32 s17, 0
	s_and_saveexec_b32 s74, s73
	s_xor_b32 s73, exec_lo, s74
	s_cbranch_execz .LBB2_988
; %bb.626:                              ;   in Loop: Header=BB2_352 Depth=4
	v_cmp_eq_u16_sdwa s75, v9, v103 src0_sel:BYTE_3 src1_sel:DWORD
	s_mov_b32 s17, -1
	s_and_saveexec_b32 s74, s75
; %bb.627:                              ;   in Loop: Header=BB2_352 Depth=4
	s_xor_b32 s17, exec_lo, -1
; %bb.628:                              ;   in Loop: Header=BB2_352 Depth=4
	s_or_b32 exec_lo, exec_lo, s74
	s_and_b32 s17, s17, exec_lo
	s_or_saveexec_b32 s73, s73
	v_mov_b32_e32 v13, 0x7f800001
	s_xor_b32 exec_lo, exec_lo, s73
	s_cbranch_execnz .LBB2_989
.LBB2_629:                              ;   in Loop: Header=BB2_352 Depth=4
	s_or_b32 exec_lo, exec_lo, s73
	s_and_saveexec_b32 s73, s17
.LBB2_630:                              ;   in Loop: Header=BB2_352 Depth=4
	v_mov_b32_e32 v13, v8
.LBB2_631:                              ;   in Loop: Header=BB2_352 Depth=4
	s_or_b32 exec_lo, exec_lo, s73
	v_max_f32_e32 v8, v13, v13
	v_max_f32_e32 v9, v76, v76
	v_min_f32_e32 v76, v9, v8
.LBB2_632:                              ;   in Loop: Header=BB2_352 Depth=4
	v_and_b32_e32 v8, 0x7f800000, v76
	v_mov_b32_e32 v13, 0x8000
	s_mov_b32 s73, exec_lo
	v_cmpx_ne_u32_e32 0x7f800000, v8
	s_cbranch_execz .LBB2_640
; %bb.633:                              ;   in Loop: Header=BB2_352 Depth=4
	v_mov_b32_e32 v13, 0
	s_mov_b32 s74, exec_lo
	v_cmpx_ne_u32_e32 0, v76
	s_cbranch_execz .LBB2_639
; %bb.634:                              ;   in Loop: Header=BB2_352 Depth=4
	v_bfe_u32 v8, v76, 23, 8
	v_and_b32_e32 v9, 0x7fffff, v76
	v_sub_nc_u32_e32 v13, 0x78, v8
	v_cmp_gt_u32_e32 vcc_lo, 0x79, v8
	v_or_b32_e32 v77, 0x800000, v9
	v_cndmask_b32_e32 v13, 0, v13, vcc_lo
	v_cmp_eq_u32_e32 vcc_lo, 0, v8
	v_add_nc_u32_e32 v8, 0xffffff89, v8
	v_cndmask_b32_e64 v13, v13, 0x77, vcc_lo
	v_cndmask_b32_e32 v9, v77, v9, vcc_lo
	v_cndmask_b32_e64 v8, v8, 0xffffff8a, vcc_lo
	v_lshl_add_u32 v77, 0x100000, v13, -1
	v_lshrrev_b32_e32 v78, v13, v9
	v_lshlrev_b32_e64 v88, v13, 0x80000
	v_add_nc_u32_e32 v13, v13, v8
	v_and_b32_e32 v9, v77, v9
	v_bfe_u32 v79, v78, 20, 1
	v_cmp_eq_u32_e64 s17, v9, v88
	v_add_nc_u32_e32 v77, -1, v79
	v_cndmask_b32_e64 v9, 0, v77, s17
	v_lshrrev_b32_e32 v77, 23, v78
	s_mov_b32 s17, exec_lo
	v_add_nc_u32_e32 v9, v9, v78
	v_xor_b32_e32 v77, 1, v77
	v_and_b32_e32 v8, 0xfffff, v9
	v_add_nc_u32_e32 v9, v8, v78
                                        ; implicit-def: $vgpr8
	v_cmpx_ne_u32_e64 v13, v77
	s_xor_b32 s17, exec_lo, s17
; %bb.635:                              ;   in Loop: Header=BB2_352 Depth=4
	v_cmp_lt_u32_e32 vcc_lo, 0xffffff, v9
	v_sub_nc_u32_e32 v8, v13, v77
	v_cndmask_b32_e64 v13, 0, 1, vcc_lo
	v_add_co_ci_u32_e64 v8, null, 0, v8, vcc_lo
	v_lshrrev_b32_e32 v9, v13, v9
; %bb.636:                              ;   in Loop: Header=BB2_352 Depth=4
	s_andn2_saveexec_b32 s17, s17
; %bb.637:                              ;   in Loop: Header=BB2_352 Depth=4
	v_bfe_u32 v8, v9, 23, 1
; %bb.638:                              ;   in Loop: Header=BB2_352 Depth=4
	s_or_b32 exec_lo, exec_lo, s17
	v_lshrrev_b32_e32 v9, 20, v9
	v_min_i32_e32 v13, 15, v8
	v_cmp_gt_i32_e32 vcc_lo, 16, v8
	v_and_b32_sdwa v76, v76, v103 dst_sel:DWORD dst_unused:UNUSED_PAD src0_sel:BYTE_3 src1_sel:DWORD
	v_lshlrev_b32_e32 v13, 3, v13
	v_cndmask_b32_e32 v9, 7, v9, vcc_lo
	v_and_b32_e32 v13, 0xf8, v13
	v_and_b32_e32 v77, 7, v9
	v_or_b32_e32 v8, v8, v9
	v_or3_b32 v13, v76, v13, v77
	v_cmp_ne_u32_e32 vcc_lo, 0, v8
	v_lshlrev_b32_e32 v9, 8, v13
	v_cndmask_b32_e32 v13, 0, v9, vcc_lo
.LBB2_639:                              ;   in Loop: Header=BB2_352 Depth=4
	s_or_b32 exec_lo, exec_lo, s74
.LBB2_640:                              ;   in Loop: Header=BB2_352 Depth=4
	s_or_b32 exec_lo, exec_lo, s73
	v_and_b32_e32 v8, 7, v10
	v_bfe_u32 v77, v10, 3, 4
	v_lshlrev_b32_e32 v78, 24, v10
	s_mov_b32 s17, -1
	v_ffbh_u32_e32 v9, v8
	v_cmp_eq_u32_e32 vcc_lo, 0, v77
	v_min_u32_e32 v9, 32, v9
	v_subrev_nc_u32_e32 v76, 28, v9
	v_sub_nc_u32_e32 v9, 29, v9
	v_lshlrev_b32_e32 v76, v76, v10
	v_cndmask_b32_e32 v9, v77, v9, vcc_lo
	v_and_b32_e32 v76, 7, v76
	v_lshl_add_u32 v9, v9, 23, 0x3b800000
	v_cndmask_b32_e32 v8, v8, v76, vcc_lo
	v_and_b32_e32 v76, 0x80000000, v78
	s_and_b32 vcc_lo, exec_lo, s72
	v_lshlrev_b32_e32 v8, 20, v8
	v_or3_b32 v8, v76, v9, v8
                                        ; implicit-def: $vgpr9
	s_cbranch_vccz .LBB2_654
; %bb.641:                              ;   in Loop: Header=BB2_352 Depth=4
	v_cmp_gt_i16_sdwa s73, v14, v102 src0_sel:BYTE_0 src1_sel:DWORD
	s_mov_b32 s17, 0
	s_and_saveexec_b32 s74, s73
	s_xor_b32 s73, exec_lo, s74
	s_cbranch_execz .LBB2_990
; %bb.642:                              ;   in Loop: Header=BB2_352 Depth=4
	v_cmp_eq_u16_sdwa s75, v14, v103 src0_sel:BYTE_0 src1_sel:DWORD
	s_mov_b32 s17, -1
	s_and_saveexec_b32 s74, s75
; %bb.643:                              ;   in Loop: Header=BB2_352 Depth=4
	s_xor_b32 s17, exec_lo, -1
; %bb.644:                              ;   in Loop: Header=BB2_352 Depth=4
	s_or_b32 exec_lo, exec_lo, s74
	s_and_b32 s17, s17, exec_lo
	s_or_saveexec_b32 s73, s73
	v_mov_b32_e32 v9, 0x7f800001
	s_xor_b32 exec_lo, exec_lo, s73
	s_cbranch_execnz .LBB2_991
.LBB2_645:                              ;   in Loop: Header=BB2_352 Depth=4
	s_or_b32 exec_lo, exec_lo, s73
	s_and_saveexec_b32 s73, s17
	s_cbranch_execz .LBB2_647
.LBB2_646:                              ;   in Loop: Header=BB2_352 Depth=4
	v_and_b32_e32 v9, 7, v14
	v_bfe_u32 v78, v14, 3, 4
	v_lshlrev_b32_e32 v79, 24, v14
	v_ffbh_u32_e32 v76, v9
	v_cmp_eq_u32_e32 vcc_lo, 0, v78
	v_min_u32_e32 v76, 32, v76
	v_subrev_nc_u32_e32 v77, 28, v76
	v_sub_nc_u32_e32 v76, 29, v76
	v_lshlrev_b32_e32 v77, v77, v14
	v_cndmask_b32_e32 v76, v78, v76, vcc_lo
	v_and_b32_e32 v77, 7, v77
	v_lshl_add_u32 v76, v76, 23, 0x3b800000
	v_cndmask_b32_e32 v9, v9, v77, vcc_lo
	v_and_b32_e32 v77, 0x80000000, v79
	v_lshlrev_b32_e32 v9, 20, v9
	v_or3_b32 v9, v77, v76, v9
.LBB2_647:                              ;   in Loop: Header=BB2_352 Depth=4
	s_or_b32 exec_lo, exec_lo, s73
	v_cmp_gt_i16_sdwa s73, v10, v102 src0_sel:BYTE_0 src1_sel:DWORD
	s_mov_b32 s17, 0
	s_and_saveexec_b32 s74, s73
	s_xor_b32 s73, exec_lo, s74
	s_cbranch_execz .LBB2_992
; %bb.648:                              ;   in Loop: Header=BB2_352 Depth=4
	v_cmp_eq_u16_sdwa s75, v10, v103 src0_sel:BYTE_0 src1_sel:DWORD
	s_mov_b32 s17, -1
	s_and_saveexec_b32 s74, s75
; %bb.649:                              ;   in Loop: Header=BB2_352 Depth=4
	s_xor_b32 s17, exec_lo, -1
; %bb.650:                              ;   in Loop: Header=BB2_352 Depth=4
	s_or_b32 exec_lo, exec_lo, s74
	s_and_b32 s17, s17, exec_lo
	s_or_saveexec_b32 s73, s73
	v_mov_b32_e32 v76, 0x7f800001
	s_xor_b32 exec_lo, exec_lo, s73
	s_cbranch_execnz .LBB2_993
.LBB2_651:                              ;   in Loop: Header=BB2_352 Depth=4
	s_or_b32 exec_lo, exec_lo, s73
	s_and_saveexec_b32 s73, s17
.LBB2_652:                              ;   in Loop: Header=BB2_352 Depth=4
	v_mov_b32_e32 v76, v8
.LBB2_653:                              ;   in Loop: Header=BB2_352 Depth=4
	s_or_b32 exec_lo, exec_lo, s73
	v_max_f32_e32 v76, v76, v76
	v_max_f32_e32 v9, v9, v9
	s_mov_b32 s17, 0
	v_max_f32_e32 v9, v9, v76
.LBB2_654:                              ;   in Loop: Header=BB2_352 Depth=4
	s_and_b32 vcc_lo, exec_lo, s17
	s_cbranch_vccz .LBB2_668
; %bb.655:                              ;   in Loop: Header=BB2_352 Depth=4
	v_cmp_gt_i16_sdwa s73, v14, v102 src0_sel:BYTE_0 src1_sel:DWORD
	s_mov_b32 s17, 0
	s_and_saveexec_b32 s74, s73
	s_xor_b32 s73, exec_lo, s74
	s_cbranch_execz .LBB2_994
; %bb.656:                              ;   in Loop: Header=BB2_352 Depth=4
	v_cmp_eq_u16_sdwa s75, v14, v103 src0_sel:BYTE_0 src1_sel:DWORD
	s_mov_b32 s17, -1
	s_and_saveexec_b32 s74, s75
; %bb.657:                              ;   in Loop: Header=BB2_352 Depth=4
	s_xor_b32 s17, exec_lo, -1
; %bb.658:                              ;   in Loop: Header=BB2_352 Depth=4
	s_or_b32 exec_lo, exec_lo, s74
	s_and_b32 s17, s17, exec_lo
	s_or_saveexec_b32 s73, s73
	v_mov_b32_e32 v9, 0x7f800001
	s_xor_b32 exec_lo, exec_lo, s73
	s_cbranch_execnz .LBB2_995
.LBB2_659:                              ;   in Loop: Header=BB2_352 Depth=4
	s_or_b32 exec_lo, exec_lo, s73
	s_and_saveexec_b32 s73, s17
	s_cbranch_execz .LBB2_661
.LBB2_660:                              ;   in Loop: Header=BB2_352 Depth=4
	v_and_b32_e32 v9, 7, v14
	v_bfe_u32 v78, v14, 3, 4
	v_lshlrev_b32_e32 v79, 24, v14
	v_ffbh_u32_e32 v76, v9
	v_cmp_eq_u32_e32 vcc_lo, 0, v78
	v_min_u32_e32 v76, 32, v76
	v_subrev_nc_u32_e32 v77, 28, v76
	v_sub_nc_u32_e32 v76, 29, v76
	v_lshlrev_b32_e32 v77, v77, v14
	v_cndmask_b32_e32 v76, v78, v76, vcc_lo
	v_and_b32_e32 v77, 7, v77
	v_lshl_add_u32 v76, v76, 23, 0x3b800000
	v_cndmask_b32_e32 v9, v9, v77, vcc_lo
	v_and_b32_e32 v77, 0x80000000, v79
	v_lshlrev_b32_e32 v9, 20, v9
	v_or3_b32 v9, v77, v76, v9
.LBB2_661:                              ;   in Loop: Header=BB2_352 Depth=4
	s_or_b32 exec_lo, exec_lo, s73
	v_cmp_gt_i16_sdwa s73, v10, v102 src0_sel:BYTE_0 src1_sel:DWORD
	s_mov_b32 s17, 0
	s_and_saveexec_b32 s74, s73
	s_xor_b32 s73, exec_lo, s74
	s_cbranch_execz .LBB2_996
; %bb.662:                              ;   in Loop: Header=BB2_352 Depth=4
	v_cmp_eq_u16_sdwa s75, v10, v103 src0_sel:BYTE_0 src1_sel:DWORD
	s_mov_b32 s17, -1
	s_and_saveexec_b32 s74, s75
; %bb.663:                              ;   in Loop: Header=BB2_352 Depth=4
	s_xor_b32 s17, exec_lo, -1
; %bb.664:                              ;   in Loop: Header=BB2_352 Depth=4
	s_or_b32 exec_lo, exec_lo, s74
	s_and_b32 s17, s17, exec_lo
	s_or_saveexec_b32 s73, s73
	v_mov_b32_e32 v76, 0x7f800001
	s_xor_b32 exec_lo, exec_lo, s73
	s_cbranch_execnz .LBB2_997
.LBB2_665:                              ;   in Loop: Header=BB2_352 Depth=4
	s_or_b32 exec_lo, exec_lo, s73
	s_and_saveexec_b32 s73, s17
.LBB2_666:                              ;   in Loop: Header=BB2_352 Depth=4
	v_mov_b32_e32 v76, v8
.LBB2_667:                              ;   in Loop: Header=BB2_352 Depth=4
	s_or_b32 exec_lo, exec_lo, s73
	v_max_f32_e32 v8, v76, v76
	v_max_f32_e32 v9, v9, v9
	v_min_f32_e32 v9, v9, v8
.LBB2_668:                              ;   in Loop: Header=BB2_352 Depth=4
	v_and_b32_e32 v8, 0x7f800000, v9
	v_mov_b32_e32 v76, 0x80
	s_mov_b32 s73, exec_lo
	v_cmpx_ne_u32_e32 0x7f800000, v8
	s_cbranch_execz .LBB2_676
; %bb.669:                              ;   in Loop: Header=BB2_352 Depth=4
	v_mov_b32_e32 v76, 0
	s_mov_b32 s74, exec_lo
	v_cmpx_ne_u32_e32 0, v9
	s_cbranch_execz .LBB2_675
; %bb.670:                              ;   in Loop: Header=BB2_352 Depth=4
	v_bfe_u32 v8, v9, 23, 8
	v_and_b32_e32 v76, 0x7fffff, v9
	v_sub_nc_u32_e32 v77, 0x78, v8
	v_cmp_gt_u32_e32 vcc_lo, 0x79, v8
	v_or_b32_e32 v78, 0x800000, v76
	v_cndmask_b32_e32 v77, 0, v77, vcc_lo
	v_cmp_eq_u32_e32 vcc_lo, 0, v8
	v_add_nc_u32_e32 v8, 0xffffff89, v8
	v_cndmask_b32_e64 v77, v77, 0x77, vcc_lo
	v_cndmask_b32_e32 v76, v78, v76, vcc_lo
	v_cndmask_b32_e64 v8, v8, 0xffffff8a, vcc_lo
	v_lshl_add_u32 v78, 0x100000, v77, -1
	v_lshrrev_b32_e32 v79, v77, v76
	v_lshlrev_b32_e64 v89, v77, 0x80000
	v_add_nc_u32_e32 v77, v77, v8
	v_and_b32_e32 v76, v78, v76
	v_bfe_u32 v88, v79, 20, 1
	v_cmp_eq_u32_e64 s17, v76, v89
	v_add_nc_u32_e32 v78, -1, v88
	v_cndmask_b32_e64 v76, 0, v78, s17
	v_lshrrev_b32_e32 v78, 23, v79
	s_mov_b32 s17, exec_lo
	v_add_nc_u32_e32 v76, v76, v79
	v_xor_b32_e32 v78, 1, v78
	v_and_b32_e32 v8, 0xfffff, v76
	v_add_nc_u32_e32 v76, v8, v79
                                        ; implicit-def: $vgpr8
	v_cmpx_ne_u32_e64 v77, v78
	s_xor_b32 s17, exec_lo, s17
; %bb.671:                              ;   in Loop: Header=BB2_352 Depth=4
	v_cmp_lt_u32_e32 vcc_lo, 0xffffff, v76
	v_sub_nc_u32_e32 v8, v77, v78
	v_cndmask_b32_e64 v77, 0, 1, vcc_lo
	v_add_co_ci_u32_e64 v8, null, 0, v8, vcc_lo
	v_lshrrev_b32_e32 v76, v77, v76
; %bb.672:                              ;   in Loop: Header=BB2_352 Depth=4
	s_andn2_saveexec_b32 s17, s17
; %bb.673:                              ;   in Loop: Header=BB2_352 Depth=4
	v_bfe_u32 v8, v76, 23, 1
; %bb.674:                              ;   in Loop: Header=BB2_352 Depth=4
	s_or_b32 exec_lo, exec_lo, s17
	v_lshrrev_b32_e32 v76, 20, v76
	v_min_i32_e32 v77, 15, v8
	v_cmp_gt_i32_e32 vcc_lo, 16, v8
	v_and_b32_sdwa v9, v9, v103 dst_sel:DWORD dst_unused:UNUSED_PAD src0_sel:BYTE_3 src1_sel:DWORD
	v_lshlrev_b32_e32 v77, 3, v77
	v_cndmask_b32_e32 v76, 7, v76, vcc_lo
	v_and_b32_e32 v77, 0xf8, v77
	v_and_b32_e32 v78, 7, v76
	v_or_b32_e32 v8, v8, v76
	v_or3_b32 v9, v77, v9, v78
	v_cmp_ne_u32_e32 vcc_lo, 0, v8
	v_cndmask_b32_e32 v76, 0, v9, vcc_lo
.LBB2_675:                              ;   in Loop: Header=BB2_352 Depth=4
	s_or_b32 exec_lo, exec_lo, s74
.LBB2_676:                              ;   in Loop: Header=BB2_352 Depth=4
	s_or_b32 exec_lo, exec_lo, s73
	v_and_b32_sdwa v8, v112, v10 dst_sel:DWORD dst_unused:UNUSED_PAD src0_sel:DWORD src1_sel:BYTE_1
	s_mov_b32 s17, -1
	v_and_b32_e32 v9, 7, v8
	v_bfe_u32 v79, v8, 3, 4
	v_ffbh_u32_e32 v77, v9
	v_cmp_eq_u32_e32 vcc_lo, 0, v79
	v_min_u32_e32 v77, 32, v77
	v_subrev_nc_u32_e32 v78, 28, v77
	v_sub_nc_u32_e32 v77, 29, v77
	v_lshlrev_b32_e32 v8, v78, v8
	v_lshlrev_b32_sdwa v78, v113, v10 dst_sel:DWORD dst_unused:UNUSED_PAD src0_sel:DWORD src1_sel:BYTE_1
	v_cndmask_b32_e32 v77, v79, v77, vcc_lo
	v_and_b32_e32 v8, 7, v8
	v_lshl_add_u32 v77, v77, 23, 0x3b800000
	v_cndmask_b32_e32 v8, v9, v8, vcc_lo
	v_and_b32_e32 v9, 0x80000000, v78
	s_and_b32 vcc_lo, exec_lo, s72
	v_lshlrev_b32_e32 v8, 20, v8
	v_or3_b32 v8, v9, v77, v8
                                        ; implicit-def: $vgpr9
	s_cbranch_vccz .LBB2_690
; %bb.677:                              ;   in Loop: Header=BB2_352 Depth=4
	v_cmp_gt_i16_sdwa s73, v14, v102 src0_sel:BYTE_1 src1_sel:DWORD
	s_mov_b32 s17, 0
	s_and_saveexec_b32 s74, s73
	s_xor_b32 s73, exec_lo, s74
	s_cbranch_execz .LBB2_998
; %bb.678:                              ;   in Loop: Header=BB2_352 Depth=4
	v_cmp_eq_u16_sdwa s75, v14, v103 src0_sel:BYTE_1 src1_sel:DWORD
	s_mov_b32 s17, -1
	s_and_saveexec_b32 s74, s75
; %bb.679:                              ;   in Loop: Header=BB2_352 Depth=4
	s_xor_b32 s17, exec_lo, -1
; %bb.680:                              ;   in Loop: Header=BB2_352 Depth=4
	s_or_b32 exec_lo, exec_lo, s74
	s_and_b32 s17, s17, exec_lo
	s_or_saveexec_b32 s73, s73
	v_mov_b32_e32 v9, 0x7f800001
	s_xor_b32 exec_lo, exec_lo, s73
	s_cbranch_execnz .LBB2_999
.LBB2_681:                              ;   in Loop: Header=BB2_352 Depth=4
	s_or_b32 exec_lo, exec_lo, s73
	s_and_saveexec_b32 s73, s17
	s_cbranch_execz .LBB2_683
.LBB2_682:                              ;   in Loop: Header=BB2_352 Depth=4
	v_and_b32_sdwa v9, v112, v14 dst_sel:DWORD dst_unused:UNUSED_PAD src0_sel:DWORD src1_sel:BYTE_1
	v_and_b32_e32 v77, 7, v9
	v_bfe_u32 v88, v9, 3, 4
	v_ffbh_u32_e32 v78, v77
	v_cmp_eq_u32_e32 vcc_lo, 0, v88
	v_min_u32_e32 v78, 32, v78
	v_subrev_nc_u32_e32 v79, 28, v78
	v_sub_nc_u32_e32 v78, 29, v78
	v_lshlrev_b32_e32 v9, v79, v9
	v_lshlrev_b32_e32 v79, 16, v14
	v_cndmask_b32_e32 v78, v88, v78, vcc_lo
	v_and_b32_e32 v9, 7, v9
	v_lshl_add_u32 v78, v78, 23, 0x3b800000
	v_cndmask_b32_e32 v9, v77, v9, vcc_lo
	v_and_b32_e32 v77, 0x80000000, v79
	v_lshlrev_b32_e32 v9, 20, v9
	v_or3_b32 v9, v77, v78, v9
.LBB2_683:                              ;   in Loop: Header=BB2_352 Depth=4
	s_or_b32 exec_lo, exec_lo, s73
	v_cmp_gt_i16_sdwa s73, v10, v102 src0_sel:BYTE_1 src1_sel:DWORD
	s_mov_b32 s17, 0
	s_and_saveexec_b32 s74, s73
	s_xor_b32 s73, exec_lo, s74
	s_cbranch_execz .LBB2_1000
; %bb.684:                              ;   in Loop: Header=BB2_352 Depth=4
	v_cmp_eq_u16_sdwa s75, v10, v103 src0_sel:BYTE_1 src1_sel:DWORD
	s_mov_b32 s17, -1
	s_and_saveexec_b32 s74, s75
; %bb.685:                              ;   in Loop: Header=BB2_352 Depth=4
	s_xor_b32 s17, exec_lo, -1
; %bb.686:                              ;   in Loop: Header=BB2_352 Depth=4
	s_or_b32 exec_lo, exec_lo, s74
	s_and_b32 s17, s17, exec_lo
	s_or_saveexec_b32 s73, s73
	v_mov_b32_e32 v77, 0x7f800001
	s_xor_b32 exec_lo, exec_lo, s73
	s_cbranch_execnz .LBB2_1001
.LBB2_687:                              ;   in Loop: Header=BB2_352 Depth=4
	s_or_b32 exec_lo, exec_lo, s73
	s_and_saveexec_b32 s73, s17
.LBB2_688:                              ;   in Loop: Header=BB2_352 Depth=4
	v_mov_b32_e32 v77, v8
.LBB2_689:                              ;   in Loop: Header=BB2_352 Depth=4
	s_or_b32 exec_lo, exec_lo, s73
	v_max_f32_e32 v77, v77, v77
	v_max_f32_e32 v9, v9, v9
	s_mov_b32 s17, 0
	v_max_f32_e32 v9, v9, v77
.LBB2_690:                              ;   in Loop: Header=BB2_352 Depth=4
	s_and_b32 vcc_lo, exec_lo, s17
	s_cbranch_vccz .LBB2_704
; %bb.691:                              ;   in Loop: Header=BB2_352 Depth=4
	v_cmp_gt_i16_sdwa s73, v14, v102 src0_sel:BYTE_1 src1_sel:DWORD
	s_mov_b32 s17, 0
	s_and_saveexec_b32 s74, s73
	s_xor_b32 s73, exec_lo, s74
	s_cbranch_execz .LBB2_1002
; %bb.692:                              ;   in Loop: Header=BB2_352 Depth=4
	v_cmp_eq_u16_sdwa s75, v14, v103 src0_sel:BYTE_1 src1_sel:DWORD
	s_mov_b32 s17, -1
	s_and_saveexec_b32 s74, s75
; %bb.693:                              ;   in Loop: Header=BB2_352 Depth=4
	s_xor_b32 s17, exec_lo, -1
; %bb.694:                              ;   in Loop: Header=BB2_352 Depth=4
	s_or_b32 exec_lo, exec_lo, s74
	s_and_b32 s17, s17, exec_lo
	s_or_saveexec_b32 s73, s73
	v_mov_b32_e32 v9, 0x7f800001
	s_xor_b32 exec_lo, exec_lo, s73
	s_cbranch_execnz .LBB2_1003
.LBB2_695:                              ;   in Loop: Header=BB2_352 Depth=4
	s_or_b32 exec_lo, exec_lo, s73
	s_and_saveexec_b32 s73, s17
	s_cbranch_execz .LBB2_697
.LBB2_696:                              ;   in Loop: Header=BB2_352 Depth=4
	v_and_b32_sdwa v9, v112, v14 dst_sel:DWORD dst_unused:UNUSED_PAD src0_sel:DWORD src1_sel:BYTE_1
	v_and_b32_e32 v77, 7, v9
	v_bfe_u32 v88, v9, 3, 4
	v_ffbh_u32_e32 v78, v77
	v_cmp_eq_u32_e32 vcc_lo, 0, v88
	v_min_u32_e32 v78, 32, v78
	v_subrev_nc_u32_e32 v79, 28, v78
	v_sub_nc_u32_e32 v78, 29, v78
	v_lshlrev_b32_e32 v9, v79, v9
	v_lshlrev_b32_e32 v79, 16, v14
	v_cndmask_b32_e32 v78, v88, v78, vcc_lo
	v_and_b32_e32 v9, 7, v9
	v_lshl_add_u32 v78, v78, 23, 0x3b800000
	v_cndmask_b32_e32 v9, v77, v9, vcc_lo
	v_and_b32_e32 v77, 0x80000000, v79
	v_lshlrev_b32_e32 v9, 20, v9
	v_or3_b32 v9, v77, v78, v9
.LBB2_697:                              ;   in Loop: Header=BB2_352 Depth=4
	s_or_b32 exec_lo, exec_lo, s73
	v_cmp_gt_i16_sdwa s73, v10, v102 src0_sel:BYTE_1 src1_sel:DWORD
	s_mov_b32 s17, 0
	s_and_saveexec_b32 s74, s73
	s_xor_b32 s73, exec_lo, s74
	s_cbranch_execz .LBB2_1004
; %bb.698:                              ;   in Loop: Header=BB2_352 Depth=4
	v_cmp_eq_u16_sdwa s75, v10, v103 src0_sel:BYTE_1 src1_sel:DWORD
	s_mov_b32 s17, -1
	s_and_saveexec_b32 s74, s75
; %bb.699:                              ;   in Loop: Header=BB2_352 Depth=4
	s_xor_b32 s17, exec_lo, -1
; %bb.700:                              ;   in Loop: Header=BB2_352 Depth=4
	s_or_b32 exec_lo, exec_lo, s74
	s_and_b32 s17, s17, exec_lo
	s_or_saveexec_b32 s73, s73
	v_mov_b32_e32 v77, 0x7f800001
	s_xor_b32 exec_lo, exec_lo, s73
	s_cbranch_execnz .LBB2_1005
.LBB2_701:                              ;   in Loop: Header=BB2_352 Depth=4
	s_or_b32 exec_lo, exec_lo, s73
	s_and_saveexec_b32 s73, s17
.LBB2_702:                              ;   in Loop: Header=BB2_352 Depth=4
	v_mov_b32_e32 v77, v8
.LBB2_703:                              ;   in Loop: Header=BB2_352 Depth=4
	s_or_b32 exec_lo, exec_lo, s73
	v_max_f32_e32 v8, v77, v77
	v_max_f32_e32 v9, v9, v9
	v_min_f32_e32 v9, v9, v8
.LBB2_704:                              ;   in Loop: Header=BB2_352 Depth=4
	v_and_b32_e32 v8, 0x7f800000, v9
	v_mov_b32_e32 v77, 0x8000
	s_mov_b32 s73, exec_lo
	v_cmpx_ne_u32_e32 0x7f800000, v8
	s_cbranch_execz .LBB2_712
; %bb.705:                              ;   in Loop: Header=BB2_352 Depth=4
	v_mov_b32_e32 v77, 0
	s_mov_b32 s74, exec_lo
	v_cmpx_ne_u32_e32 0, v9
	s_cbranch_execz .LBB2_711
; %bb.706:                              ;   in Loop: Header=BB2_352 Depth=4
	v_bfe_u32 v8, v9, 23, 8
	v_and_b32_e32 v77, 0x7fffff, v9
	v_sub_nc_u32_e32 v78, 0x78, v8
	v_cmp_gt_u32_e32 vcc_lo, 0x79, v8
	v_or_b32_e32 v79, 0x800000, v77
	v_cndmask_b32_e32 v78, 0, v78, vcc_lo
	v_cmp_eq_u32_e32 vcc_lo, 0, v8
	v_add_nc_u32_e32 v8, 0xffffff89, v8
	v_cndmask_b32_e64 v78, v78, 0x77, vcc_lo
	v_cndmask_b32_e32 v77, v79, v77, vcc_lo
	v_cndmask_b32_e64 v8, v8, 0xffffff8a, vcc_lo
	v_lshl_add_u32 v79, 0x100000, v78, -1
	v_lshrrev_b32_e32 v88, v78, v77
	v_lshlrev_b32_e64 v90, v78, 0x80000
	v_add_nc_u32_e32 v78, v78, v8
	v_and_b32_e32 v77, v79, v77
	v_bfe_u32 v89, v88, 20, 1
	v_cmp_eq_u32_e64 s17, v77, v90
	v_add_nc_u32_e32 v79, -1, v89
	v_cndmask_b32_e64 v77, 0, v79, s17
	v_lshrrev_b32_e32 v79, 23, v88
	s_mov_b32 s17, exec_lo
	v_add_nc_u32_e32 v77, v77, v88
	v_xor_b32_e32 v79, 1, v79
	v_and_b32_e32 v8, 0xfffff, v77
	v_add_nc_u32_e32 v77, v8, v88
                                        ; implicit-def: $vgpr8
	v_cmpx_ne_u32_e64 v78, v79
	s_xor_b32 s17, exec_lo, s17
; %bb.707:                              ;   in Loop: Header=BB2_352 Depth=4
	v_cmp_lt_u32_e32 vcc_lo, 0xffffff, v77
	v_sub_nc_u32_e32 v8, v78, v79
	v_cndmask_b32_e64 v78, 0, 1, vcc_lo
	v_add_co_ci_u32_e64 v8, null, 0, v8, vcc_lo
	v_lshrrev_b32_e32 v77, v78, v77
; %bb.708:                              ;   in Loop: Header=BB2_352 Depth=4
	s_andn2_saveexec_b32 s17, s17
; %bb.709:                              ;   in Loop: Header=BB2_352 Depth=4
	v_bfe_u32 v8, v77, 23, 1
; %bb.710:                              ;   in Loop: Header=BB2_352 Depth=4
	s_or_b32 exec_lo, exec_lo, s17
	v_lshrrev_b32_e32 v77, 20, v77
	v_min_i32_e32 v78, 15, v8
	v_cmp_gt_i32_e32 vcc_lo, 16, v8
	v_and_b32_sdwa v9, v9, v103 dst_sel:DWORD dst_unused:UNUSED_PAD src0_sel:BYTE_3 src1_sel:DWORD
	v_lshlrev_b32_e32 v78, 3, v78
	v_cndmask_b32_e32 v77, 7, v77, vcc_lo
	v_and_b32_e32 v78, 0xf8, v78
	v_and_b32_e32 v79, 7, v77
	v_or_b32_e32 v8, v8, v77
	v_or3_b32 v9, v9, v78, v79
	v_cmp_ne_u32_e32 vcc_lo, 0, v8
	v_lshlrev_b32_e32 v9, 8, v9
	v_cndmask_b32_e32 v77, 0, v9, vcc_lo
.LBB2_711:                              ;   in Loop: Header=BB2_352 Depth=4
	s_or_b32 exec_lo, exec_lo, s74
.LBB2_712:                              ;   in Loop: Header=BB2_352 Depth=4
	s_or_b32 exec_lo, exec_lo, s73
	v_bfe_u32 v8, v10, 16, 3
	v_bfe_u32 v79, v10, 19, 4
	v_lshlrev_b32_e32 v88, 8, v10
	s_mov_b32 s17, -1
	v_ffbh_u32_e32 v9, v8
	v_cmp_eq_u32_e32 vcc_lo, 0, v79
	v_min_u32_e32 v9, 32, v9
	v_subrev_nc_u32_e32 v78, 28, v9
	v_sub_nc_u32_e32 v9, 29, v9
	v_lshlrev_b32_sdwa v78, v78, v10 dst_sel:DWORD dst_unused:UNUSED_PAD src0_sel:DWORD src1_sel:WORD_1
	v_cndmask_b32_e32 v9, v79, v9, vcc_lo
	v_and_b32_e32 v78, 7, v78
	v_lshl_add_u32 v9, v9, 23, 0x3b800000
	v_cndmask_b32_e32 v8, v8, v78, vcc_lo
	v_and_b32_e32 v78, 0x80000000, v88
	s_and_b32 vcc_lo, exec_lo, s72
	v_lshlrev_b32_e32 v8, 20, v8
	v_or3_b32 v8, v78, v9, v8
                                        ; implicit-def: $vgpr9
	s_cbranch_vccz .LBB2_726
; %bb.713:                              ;   in Loop: Header=BB2_352 Depth=4
	v_and_b32_sdwa v78, v14, v114 dst_sel:DWORD dst_unused:UNUSED_PAD src0_sel:WORD_1 src1_sel:DWORD
	s_mov_b32 s17, 0
	s_mov_b32 s73, exec_lo
	v_cmpx_lt_i16_e32 0x7f, v78
	s_xor_b32 s73, exec_lo, s73
	s_cbranch_execz .LBB2_1006
; %bb.714:                              ;   in Loop: Header=BB2_352 Depth=4
	s_mov_b32 s17, -1
	s_mov_b32 s74, exec_lo
	v_cmpx_eq_u16_e32 0x80, v78
; %bb.715:                              ;   in Loop: Header=BB2_352 Depth=4
	s_xor_b32 s17, exec_lo, -1
; %bb.716:                              ;   in Loop: Header=BB2_352 Depth=4
	s_or_b32 exec_lo, exec_lo, s74
	s_and_b32 s17, s17, exec_lo
                                        ; implicit-def: $vgpr78
	s_or_saveexec_b32 s73, s73
	v_mov_b32_e32 v9, 0x7f800001
	s_xor_b32 exec_lo, exec_lo, s73
	s_cbranch_execnz .LBB2_1007
.LBB2_717:                              ;   in Loop: Header=BB2_352 Depth=4
	s_or_b32 exec_lo, exec_lo, s73
	s_and_saveexec_b32 s73, s17
	s_cbranch_execz .LBB2_719
.LBB2_718:                              ;   in Loop: Header=BB2_352 Depth=4
	v_bfe_u32 v9, v14, 16, 3
	v_bfe_u32 v88, v14, 19, 4
	v_lshlrev_b32_sdwa v89, v113, v14 dst_sel:DWORD dst_unused:UNUSED_PAD src0_sel:DWORD src1_sel:WORD_1
	v_ffbh_u32_e32 v78, v9
	v_cmp_eq_u32_e32 vcc_lo, 0, v88
	v_min_u32_e32 v78, 32, v78
	v_subrev_nc_u32_e32 v79, 28, v78
	v_sub_nc_u32_e32 v78, 29, v78
	v_lshlrev_b32_sdwa v79, v79, v14 dst_sel:DWORD dst_unused:UNUSED_PAD src0_sel:DWORD src1_sel:WORD_1
	v_cndmask_b32_e32 v78, v88, v78, vcc_lo
	v_and_b32_e32 v79, 7, v79
	v_lshl_add_u32 v78, v78, 23, 0x3b800000
	v_cndmask_b32_e32 v9, v9, v79, vcc_lo
	v_and_b32_e32 v79, 0x80000000, v89
	v_lshlrev_b32_e32 v9, 20, v9
	v_or3_b32 v9, v79, v78, v9
.LBB2_719:                              ;   in Loop: Header=BB2_352 Depth=4
	s_or_b32 exec_lo, exec_lo, s73
	v_and_b32_sdwa v79, v10, v114 dst_sel:DWORD dst_unused:UNUSED_PAD src0_sel:WORD_1 src1_sel:DWORD
	s_mov_b32 s17, 0
	s_mov_b32 s73, exec_lo
	v_cmpx_lt_i16_e32 0x7f, v79
	s_xor_b32 s73, exec_lo, s73
	s_cbranch_execz .LBB2_1008
; %bb.720:                              ;   in Loop: Header=BB2_352 Depth=4
	s_mov_b32 s17, -1
	s_mov_b32 s74, exec_lo
	v_cmpx_eq_u16_e32 0x80, v79
; %bb.721:                              ;   in Loop: Header=BB2_352 Depth=4
	s_xor_b32 s17, exec_lo, -1
; %bb.722:                              ;   in Loop: Header=BB2_352 Depth=4
	s_or_b32 exec_lo, exec_lo, s74
	s_and_b32 s17, s17, exec_lo
                                        ; implicit-def: $vgpr79
	s_or_saveexec_b32 s73, s73
	v_mov_b32_e32 v78, 0x7f800001
	s_xor_b32 exec_lo, exec_lo, s73
	s_cbranch_execnz .LBB2_1009
.LBB2_723:                              ;   in Loop: Header=BB2_352 Depth=4
	s_or_b32 exec_lo, exec_lo, s73
	s_and_saveexec_b32 s73, s17
.LBB2_724:                              ;   in Loop: Header=BB2_352 Depth=4
	v_mov_b32_e32 v78, v8
.LBB2_725:                              ;   in Loop: Header=BB2_352 Depth=4
	s_or_b32 exec_lo, exec_lo, s73
	v_max_f32_e32 v78, v78, v78
	v_max_f32_e32 v9, v9, v9
	s_mov_b32 s17, 0
	v_max_f32_e32 v9, v9, v78
.LBB2_726:                              ;   in Loop: Header=BB2_352 Depth=4
	s_and_b32 vcc_lo, exec_lo, s17
	s_cbranch_vccz .LBB2_740
; %bb.727:                              ;   in Loop: Header=BB2_352 Depth=4
	v_and_b32_sdwa v78, v14, v114 dst_sel:DWORD dst_unused:UNUSED_PAD src0_sel:WORD_1 src1_sel:DWORD
	s_mov_b32 s17, 0
	s_mov_b32 s73, exec_lo
	v_cmpx_lt_i16_e32 0x7f, v78
	s_xor_b32 s73, exec_lo, s73
	s_cbranch_execz .LBB2_1010
; %bb.728:                              ;   in Loop: Header=BB2_352 Depth=4
	s_mov_b32 s17, -1
	s_mov_b32 s74, exec_lo
	v_cmpx_eq_u16_e32 0x80, v78
; %bb.729:                              ;   in Loop: Header=BB2_352 Depth=4
	s_xor_b32 s17, exec_lo, -1
; %bb.730:                              ;   in Loop: Header=BB2_352 Depth=4
	s_or_b32 exec_lo, exec_lo, s74
	s_and_b32 s17, s17, exec_lo
                                        ; implicit-def: $vgpr78
	s_or_saveexec_b32 s73, s73
	v_mov_b32_e32 v9, 0x7f800001
	s_xor_b32 exec_lo, exec_lo, s73
	s_cbranch_execnz .LBB2_1011
.LBB2_731:                              ;   in Loop: Header=BB2_352 Depth=4
	s_or_b32 exec_lo, exec_lo, s73
	s_and_saveexec_b32 s73, s17
	s_cbranch_execz .LBB2_733
.LBB2_732:                              ;   in Loop: Header=BB2_352 Depth=4
	v_bfe_u32 v9, v14, 16, 3
	v_bfe_u32 v88, v14, 19, 4
	v_lshlrev_b32_sdwa v89, v113, v14 dst_sel:DWORD dst_unused:UNUSED_PAD src0_sel:DWORD src1_sel:WORD_1
	v_ffbh_u32_e32 v78, v9
	v_cmp_eq_u32_e32 vcc_lo, 0, v88
	v_min_u32_e32 v78, 32, v78
	v_subrev_nc_u32_e32 v79, 28, v78
	v_sub_nc_u32_e32 v78, 29, v78
	v_lshlrev_b32_sdwa v79, v79, v14 dst_sel:DWORD dst_unused:UNUSED_PAD src0_sel:DWORD src1_sel:WORD_1
	v_cndmask_b32_e32 v78, v88, v78, vcc_lo
	v_and_b32_e32 v79, 7, v79
	v_lshl_add_u32 v78, v78, 23, 0x3b800000
	v_cndmask_b32_e32 v9, v9, v79, vcc_lo
	v_and_b32_e32 v79, 0x80000000, v89
	v_lshlrev_b32_e32 v9, 20, v9
	v_or3_b32 v9, v79, v78, v9
.LBB2_733:                              ;   in Loop: Header=BB2_352 Depth=4
	s_or_b32 exec_lo, exec_lo, s73
	v_and_b32_sdwa v79, v10, v114 dst_sel:DWORD dst_unused:UNUSED_PAD src0_sel:WORD_1 src1_sel:DWORD
	s_mov_b32 s17, 0
	s_mov_b32 s73, exec_lo
	v_cmpx_lt_i16_e32 0x7f, v79
	s_xor_b32 s73, exec_lo, s73
	s_cbranch_execz .LBB2_1012
; %bb.734:                              ;   in Loop: Header=BB2_352 Depth=4
	s_mov_b32 s17, -1
	s_mov_b32 s74, exec_lo
	v_cmpx_eq_u16_e32 0x80, v79
; %bb.735:                              ;   in Loop: Header=BB2_352 Depth=4
	s_xor_b32 s17, exec_lo, -1
; %bb.736:                              ;   in Loop: Header=BB2_352 Depth=4
	s_or_b32 exec_lo, exec_lo, s74
	s_and_b32 s17, s17, exec_lo
                                        ; implicit-def: $vgpr79
	s_or_saveexec_b32 s73, s73
	v_mov_b32_e32 v78, 0x7f800001
	s_xor_b32 exec_lo, exec_lo, s73
	s_cbranch_execnz .LBB2_1013
.LBB2_737:                              ;   in Loop: Header=BB2_352 Depth=4
	s_or_b32 exec_lo, exec_lo, s73
	s_and_saveexec_b32 s73, s17
.LBB2_738:                              ;   in Loop: Header=BB2_352 Depth=4
	v_mov_b32_e32 v78, v8
.LBB2_739:                              ;   in Loop: Header=BB2_352 Depth=4
	s_or_b32 exec_lo, exec_lo, s73
	v_max_f32_e32 v8, v78, v78
	v_max_f32_e32 v9, v9, v9
	v_min_f32_e32 v9, v9, v8
.LBB2_740:                              ;   in Loop: Header=BB2_352 Depth=4
	v_and_b32_e32 v8, 0x7f800000, v9
	v_mov_b32_e32 v78, 0x80
	s_mov_b32 s73, exec_lo
	v_cmpx_ne_u32_e32 0x7f800000, v8
	s_cbranch_execz .LBB2_748
; %bb.741:                              ;   in Loop: Header=BB2_352 Depth=4
	v_mov_b32_e32 v78, 0
	s_mov_b32 s74, exec_lo
	v_cmpx_ne_u32_e32 0, v9
	s_cbranch_execz .LBB2_747
; %bb.742:                              ;   in Loop: Header=BB2_352 Depth=4
	v_bfe_u32 v8, v9, 23, 8
	v_and_b32_e32 v78, 0x7fffff, v9
	v_sub_nc_u32_e32 v79, 0x78, v8
	v_cmp_gt_u32_e32 vcc_lo, 0x79, v8
	v_or_b32_e32 v88, 0x800000, v78
	v_cndmask_b32_e32 v79, 0, v79, vcc_lo
	v_cmp_eq_u32_e32 vcc_lo, 0, v8
	v_add_nc_u32_e32 v8, 0xffffff89, v8
	v_cndmask_b32_e64 v79, v79, 0x77, vcc_lo
	v_cndmask_b32_e32 v78, v88, v78, vcc_lo
	v_cndmask_b32_e64 v8, v8, 0xffffff8a, vcc_lo
	v_lshl_add_u32 v88, 0x100000, v79, -1
	v_lshrrev_b32_e32 v89, v79, v78
	v_lshlrev_b32_e64 v91, v79, 0x80000
	v_add_nc_u32_e32 v79, v79, v8
	v_and_b32_e32 v78, v88, v78
	v_bfe_u32 v90, v89, 20, 1
	v_cmp_eq_u32_e64 s17, v78, v91
	v_add_nc_u32_e32 v88, -1, v90
	v_cndmask_b32_e64 v78, 0, v88, s17
	v_lshrrev_b32_e32 v88, 23, v89
	s_mov_b32 s17, exec_lo
	v_add_nc_u32_e32 v78, v78, v89
	v_xor_b32_e32 v88, 1, v88
	v_and_b32_e32 v8, 0xfffff, v78
	v_add_nc_u32_e32 v78, v8, v89
                                        ; implicit-def: $vgpr8
	v_cmpx_ne_u32_e64 v79, v88
	s_xor_b32 s17, exec_lo, s17
; %bb.743:                              ;   in Loop: Header=BB2_352 Depth=4
	v_cmp_lt_u32_e32 vcc_lo, 0xffffff, v78
	v_sub_nc_u32_e32 v8, v79, v88
	v_cndmask_b32_e64 v79, 0, 1, vcc_lo
	v_add_co_ci_u32_e64 v8, null, 0, v8, vcc_lo
	v_lshrrev_b32_e32 v78, v79, v78
; %bb.744:                              ;   in Loop: Header=BB2_352 Depth=4
	s_andn2_saveexec_b32 s17, s17
; %bb.745:                              ;   in Loop: Header=BB2_352 Depth=4
	v_bfe_u32 v8, v78, 23, 1
; %bb.746:                              ;   in Loop: Header=BB2_352 Depth=4
	s_or_b32 exec_lo, exec_lo, s17
	v_lshrrev_b32_e32 v78, 20, v78
	v_min_i32_e32 v79, 15, v8
	v_cmp_gt_i32_e32 vcc_lo, 16, v8
	v_and_b32_sdwa v9, v9, v103 dst_sel:DWORD dst_unused:UNUSED_PAD src0_sel:BYTE_3 src1_sel:DWORD
	v_lshlrev_b32_e32 v79, 3, v79
	v_cndmask_b32_e32 v78, 7, v78, vcc_lo
	v_and_b32_e32 v79, 0xf8, v79
	v_and_b32_e32 v88, 7, v78
	v_or_b32_e32 v8, v8, v78
	v_or3_b32 v9, v79, v9, v88
	v_cmp_ne_u32_e32 vcc_lo, 0, v8
	v_cndmask_b32_e32 v78, 0, v9, vcc_lo
.LBB2_747:                              ;   in Loop: Header=BB2_352 Depth=4
	s_or_b32 exec_lo, exec_lo, s74
.LBB2_748:                              ;   in Loop: Header=BB2_352 Depth=4
	s_or_b32 exec_lo, exec_lo, s73
	v_bfe_u32 v8, v10, 24, 3
	v_bfe_u32 v88, v10, 27, 4
	s_mov_b32 s17, -1
	v_ffbh_u32_e32 v9, v8
	v_cmp_eq_u32_e32 vcc_lo, 0, v88
	v_min_u32_e32 v9, 32, v9
	v_subrev_nc_u32_e32 v79, 28, v9
	v_sub_nc_u32_e32 v9, 29, v9
	v_lshlrev_b32_sdwa v79, v79, v10 dst_sel:DWORD dst_unused:UNUSED_PAD src0_sel:DWORD src1_sel:BYTE_3
	v_cndmask_b32_e32 v9, v88, v9, vcc_lo
	v_and_b32_e32 v79, 7, v79
	v_lshl_add_u32 v9, v9, 23, 0x3b800000
	v_cndmask_b32_e32 v8, v8, v79, vcc_lo
	v_and_b32_e32 v79, 0x80000000, v10
	s_and_b32 vcc_lo, exec_lo, s72
	v_lshlrev_b32_e32 v8, 20, v8
	v_or3_b32 v8, v79, v9, v8
                                        ; implicit-def: $vgpr9
	s_cbranch_vccz .LBB2_762
; %bb.749:                              ;   in Loop: Header=BB2_352 Depth=4
	v_cmp_gt_i16_sdwa s73, v14, v102 src0_sel:BYTE_3 src1_sel:DWORD
	s_mov_b32 s17, 0
	s_and_saveexec_b32 s74, s73
	s_xor_b32 s73, exec_lo, s74
	s_cbranch_execz .LBB2_1014
; %bb.750:                              ;   in Loop: Header=BB2_352 Depth=4
	v_cmp_eq_u16_sdwa s75, v14, v103 src0_sel:BYTE_3 src1_sel:DWORD
	s_mov_b32 s17, -1
	s_and_saveexec_b32 s74, s75
; %bb.751:                              ;   in Loop: Header=BB2_352 Depth=4
	s_xor_b32 s17, exec_lo, -1
; %bb.752:                              ;   in Loop: Header=BB2_352 Depth=4
	s_or_b32 exec_lo, exec_lo, s74
	s_and_b32 s17, s17, exec_lo
	s_or_saveexec_b32 s73, s73
	v_mov_b32_e32 v9, 0x7f800001
	s_xor_b32 exec_lo, exec_lo, s73
	s_cbranch_execnz .LBB2_1015
.LBB2_753:                              ;   in Loop: Header=BB2_352 Depth=4
	s_or_b32 exec_lo, exec_lo, s73
	s_and_saveexec_b32 s73, s17
	s_cbranch_execz .LBB2_755
.LBB2_754:                              ;   in Loop: Header=BB2_352 Depth=4
	v_bfe_u32 v9, v14, 24, 3
	v_bfe_u32 v89, v14, 27, 4
	v_ffbh_u32_e32 v79, v9
	v_cmp_eq_u32_e32 vcc_lo, 0, v89
	v_min_u32_e32 v79, 32, v79
	v_subrev_nc_u32_e32 v88, 28, v79
	v_sub_nc_u32_e32 v79, 29, v79
	v_lshlrev_b32_sdwa v88, v88, v14 dst_sel:DWORD dst_unused:UNUSED_PAD src0_sel:DWORD src1_sel:BYTE_3
	v_cndmask_b32_e32 v79, v89, v79, vcc_lo
	v_and_b32_e32 v88, 7, v88
	v_lshl_add_u32 v79, v79, 23, 0x3b800000
	v_cndmask_b32_e32 v9, v9, v88, vcc_lo
	v_and_b32_e32 v88, 0x80000000, v14
	v_lshlrev_b32_e32 v9, 20, v9
	v_or3_b32 v9, v88, v79, v9
.LBB2_755:                              ;   in Loop: Header=BB2_352 Depth=4
	s_or_b32 exec_lo, exec_lo, s73
	v_cmp_gt_i16_sdwa s73, v10, v102 src0_sel:BYTE_3 src1_sel:DWORD
	s_mov_b32 s17, 0
	s_and_saveexec_b32 s74, s73
	s_xor_b32 s73, exec_lo, s74
	s_cbranch_execz .LBB2_1016
; %bb.756:                              ;   in Loop: Header=BB2_352 Depth=4
	v_cmp_eq_u16_sdwa s75, v10, v103 src0_sel:BYTE_3 src1_sel:DWORD
	s_mov_b32 s17, -1
	s_and_saveexec_b32 s74, s75
; %bb.757:                              ;   in Loop: Header=BB2_352 Depth=4
	s_xor_b32 s17, exec_lo, -1
; %bb.758:                              ;   in Loop: Header=BB2_352 Depth=4
	s_or_b32 exec_lo, exec_lo, s74
	s_and_b32 s17, s17, exec_lo
	s_or_saveexec_b32 s73, s73
	v_mov_b32_e32 v79, 0x7f800001
	s_xor_b32 exec_lo, exec_lo, s73
	s_cbranch_execnz .LBB2_1017
.LBB2_759:                              ;   in Loop: Header=BB2_352 Depth=4
	s_or_b32 exec_lo, exec_lo, s73
	s_and_saveexec_b32 s73, s17
.LBB2_760:                              ;   in Loop: Header=BB2_352 Depth=4
	v_mov_b32_e32 v79, v8
.LBB2_761:                              ;   in Loop: Header=BB2_352 Depth=4
	s_or_b32 exec_lo, exec_lo, s73
	v_max_f32_e32 v79, v79, v79
	v_max_f32_e32 v9, v9, v9
	s_mov_b32 s17, 0
	v_max_f32_e32 v9, v9, v79
.LBB2_762:                              ;   in Loop: Header=BB2_352 Depth=4
	s_and_b32 vcc_lo, exec_lo, s17
	s_cbranch_vccz .LBB2_776
; %bb.763:                              ;   in Loop: Header=BB2_352 Depth=4
	v_cmp_gt_i16_sdwa s73, v14, v102 src0_sel:BYTE_3 src1_sel:DWORD
	s_mov_b32 s17, 0
	s_and_saveexec_b32 s74, s73
	s_xor_b32 s73, exec_lo, s74
	s_cbranch_execz .LBB2_1018
; %bb.764:                              ;   in Loop: Header=BB2_352 Depth=4
	v_cmp_eq_u16_sdwa s75, v14, v103 src0_sel:BYTE_3 src1_sel:DWORD
	s_mov_b32 s17, -1
	s_and_saveexec_b32 s74, s75
; %bb.765:                              ;   in Loop: Header=BB2_352 Depth=4
	s_xor_b32 s17, exec_lo, -1
; %bb.766:                              ;   in Loop: Header=BB2_352 Depth=4
	s_or_b32 exec_lo, exec_lo, s74
	s_and_b32 s17, s17, exec_lo
	s_or_saveexec_b32 s73, s73
	v_mov_b32_e32 v9, 0x7f800001
	s_xor_b32 exec_lo, exec_lo, s73
	s_cbranch_execnz .LBB2_1019
.LBB2_767:                              ;   in Loop: Header=BB2_352 Depth=4
	s_or_b32 exec_lo, exec_lo, s73
	s_and_saveexec_b32 s73, s17
	s_cbranch_execz .LBB2_769
.LBB2_768:                              ;   in Loop: Header=BB2_352 Depth=4
	v_bfe_u32 v9, v14, 24, 3
	v_bfe_u32 v89, v14, 27, 4
	v_ffbh_u32_e32 v79, v9
	v_cmp_eq_u32_e32 vcc_lo, 0, v89
	v_min_u32_e32 v79, 32, v79
	v_subrev_nc_u32_e32 v88, 28, v79
	v_sub_nc_u32_e32 v79, 29, v79
	v_lshlrev_b32_sdwa v88, v88, v14 dst_sel:DWORD dst_unused:UNUSED_PAD src0_sel:DWORD src1_sel:BYTE_3
	v_cndmask_b32_e32 v79, v89, v79, vcc_lo
	v_and_b32_e32 v14, 0x80000000, v14
	v_and_b32_e32 v88, 7, v88
	v_lshl_add_u32 v79, v79, 23, 0x3b800000
	v_cndmask_b32_e32 v9, v9, v88, vcc_lo
	v_lshlrev_b32_e32 v9, 20, v9
	v_or3_b32 v9, v14, v79, v9
.LBB2_769:                              ;   in Loop: Header=BB2_352 Depth=4
	s_or_b32 exec_lo, exec_lo, s73
	v_cmp_gt_i16_sdwa s73, v10, v102 src0_sel:BYTE_3 src1_sel:DWORD
	s_mov_b32 s17, 0
	s_and_saveexec_b32 s74, s73
	s_xor_b32 s73, exec_lo, s74
	s_cbranch_execz .LBB2_1020
; %bb.770:                              ;   in Loop: Header=BB2_352 Depth=4
	v_cmp_eq_u16_sdwa s75, v10, v103 src0_sel:BYTE_3 src1_sel:DWORD
	s_mov_b32 s17, -1
	s_and_saveexec_b32 s74, s75
; %bb.771:                              ;   in Loop: Header=BB2_352 Depth=4
	s_xor_b32 s17, exec_lo, -1
; %bb.772:                              ;   in Loop: Header=BB2_352 Depth=4
	s_or_b32 exec_lo, exec_lo, s74
	s_and_b32 s17, s17, exec_lo
	s_or_saveexec_b32 s73, s73
	v_mov_b32_e32 v14, 0x7f800001
	s_xor_b32 exec_lo, exec_lo, s73
	s_cbranch_execnz .LBB2_1021
.LBB2_773:                              ;   in Loop: Header=BB2_352 Depth=4
	s_or_b32 exec_lo, exec_lo, s73
	s_and_saveexec_b32 s73, s17
.LBB2_774:                              ;   in Loop: Header=BB2_352 Depth=4
	v_mov_b32_e32 v14, v8
.LBB2_775:                              ;   in Loop: Header=BB2_352 Depth=4
	s_or_b32 exec_lo, exec_lo, s73
	v_max_f32_e32 v8, v14, v14
	v_max_f32_e32 v9, v9, v9
	v_min_f32_e32 v9, v9, v8
.LBB2_776:                              ;   in Loop: Header=BB2_352 Depth=4
	v_and_b32_e32 v8, 0x7f800000, v9
	v_mov_b32_e32 v14, 0x8000
	s_mov_b32 s73, exec_lo
	v_cmpx_ne_u32_e32 0x7f800000, v8
	s_cbranch_execz .LBB2_784
; %bb.777:                              ;   in Loop: Header=BB2_352 Depth=4
	v_mov_b32_e32 v14, 0
	s_mov_b32 s74, exec_lo
	v_cmpx_ne_u32_e32 0, v9
	s_cbranch_execz .LBB2_783
; %bb.778:                              ;   in Loop: Header=BB2_352 Depth=4
	v_bfe_u32 v8, v9, 23, 8
	v_and_b32_e32 v10, 0x7fffff, v9
	v_sub_nc_u32_e32 v14, 0x78, v8
	v_cmp_gt_u32_e32 vcc_lo, 0x79, v8
	v_or_b32_e32 v79, 0x800000, v10
	v_cndmask_b32_e32 v14, 0, v14, vcc_lo
	v_cmp_eq_u32_e32 vcc_lo, 0, v8
	v_add_nc_u32_e32 v8, 0xffffff89, v8
	v_cndmask_b32_e64 v14, v14, 0x77, vcc_lo
	v_cndmask_b32_e32 v10, v79, v10, vcc_lo
	v_cndmask_b32_e64 v8, v8, 0xffffff8a, vcc_lo
	v_lshl_add_u32 v79, 0x100000, v14, -1
	v_lshrrev_b32_e32 v88, v14, v10
	v_lshlrev_b32_e64 v90, v14, 0x80000
	v_add_nc_u32_e32 v14, v14, v8
	v_and_b32_e32 v10, v79, v10
	v_bfe_u32 v89, v88, 20, 1
	v_cmp_eq_u32_e64 s17, v10, v90
	v_add_nc_u32_e32 v79, -1, v89
	v_cndmask_b32_e64 v10, 0, v79, s17
	v_lshrrev_b32_e32 v79, 23, v88
	s_mov_b32 s17, exec_lo
	v_add_nc_u32_e32 v10, v10, v88
	v_xor_b32_e32 v79, 1, v79
	v_and_b32_e32 v8, 0xfffff, v10
	v_add_nc_u32_e32 v10, v8, v88
                                        ; implicit-def: $vgpr8
	v_cmpx_ne_u32_e64 v14, v79
	s_xor_b32 s17, exec_lo, s17
; %bb.779:                              ;   in Loop: Header=BB2_352 Depth=4
	v_cmp_lt_u32_e32 vcc_lo, 0xffffff, v10
	v_sub_nc_u32_e32 v8, v14, v79
	v_cndmask_b32_e64 v14, 0, 1, vcc_lo
	v_add_co_ci_u32_e64 v8, null, 0, v8, vcc_lo
	v_lshrrev_b32_e32 v10, v14, v10
; %bb.780:                              ;   in Loop: Header=BB2_352 Depth=4
	s_andn2_saveexec_b32 s17, s17
; %bb.781:                              ;   in Loop: Header=BB2_352 Depth=4
	v_bfe_u32 v8, v10, 23, 1
; %bb.782:                              ;   in Loop: Header=BB2_352 Depth=4
	s_or_b32 exec_lo, exec_lo, s17
	v_lshrrev_b32_e32 v10, 20, v10
	v_min_i32_e32 v14, 15, v8
	v_cmp_gt_i32_e32 vcc_lo, 16, v8
	v_and_b32_sdwa v9, v9, v103 dst_sel:DWORD dst_unused:UNUSED_PAD src0_sel:BYTE_3 src1_sel:DWORD
	v_lshlrev_b32_e32 v14, 3, v14
	v_cndmask_b32_e32 v10, 7, v10, vcc_lo
	v_and_b32_e32 v14, 0xf8, v14
	v_and_b32_e32 v79, 7, v10
	v_or_b32_e32 v8, v8, v10
	v_or3_b32 v9, v9, v14, v79
	v_cmp_ne_u32_e32 vcc_lo, 0, v8
	v_lshlrev_b32_e32 v9, 8, v9
	v_cndmask_b32_e32 v14, 0, v9, vcc_lo
.LBB2_783:                              ;   in Loop: Header=BB2_352 Depth=4
	s_or_b32 exec_lo, exec_lo, s74
.LBB2_784:                              ;   in Loop: Header=BB2_352 Depth=4
	s_or_b32 exec_lo, exec_lo, s73
	v_and_b32_e32 v8, 7, v11
	v_bfe_u32 v79, v11, 3, 4
	v_lshlrev_b32_e32 v88, 24, v11
	s_mov_b32 s17, -1
	v_ffbh_u32_e32 v9, v8
	v_cmp_eq_u32_e32 vcc_lo, 0, v79
	v_min_u32_e32 v9, 32, v9
	v_subrev_nc_u32_e32 v10, 28, v9
	v_sub_nc_u32_e32 v9, 29, v9
	v_lshlrev_b32_e32 v10, v10, v11
	v_cndmask_b32_e32 v9, v79, v9, vcc_lo
	v_and_b32_e32 v10, 7, v10
	v_lshl_add_u32 v9, v9, 23, 0x3b800000
	v_cndmask_b32_e32 v8, v8, v10, vcc_lo
	v_and_b32_e32 v10, 0x80000000, v88
	s_and_b32 vcc_lo, exec_lo, s72
	v_lshlrev_b32_e32 v8, 20, v8
	v_or3_b32 v8, v10, v9, v8
                                        ; implicit-def: $vgpr9
	s_cbranch_vccz .LBB2_798
; %bb.785:                              ;   in Loop: Header=BB2_352 Depth=4
	v_cmp_gt_i16_sdwa s73, v15, v102 src0_sel:BYTE_0 src1_sel:DWORD
	s_mov_b32 s17, 0
	s_and_saveexec_b32 s74, s73
	s_xor_b32 s73, exec_lo, s74
	s_cbranch_execz .LBB2_1022
; %bb.786:                              ;   in Loop: Header=BB2_352 Depth=4
	v_cmp_eq_u16_sdwa s75, v15, v103 src0_sel:BYTE_0 src1_sel:DWORD
	s_mov_b32 s17, -1
	s_and_saveexec_b32 s74, s75
; %bb.787:                              ;   in Loop: Header=BB2_352 Depth=4
	s_xor_b32 s17, exec_lo, -1
; %bb.788:                              ;   in Loop: Header=BB2_352 Depth=4
	s_or_b32 exec_lo, exec_lo, s74
	s_and_b32 s17, s17, exec_lo
	s_or_saveexec_b32 s73, s73
	v_mov_b32_e32 v9, 0x7f800001
	s_xor_b32 exec_lo, exec_lo, s73
	s_cbranch_execnz .LBB2_1023
.LBB2_789:                              ;   in Loop: Header=BB2_352 Depth=4
	s_or_b32 exec_lo, exec_lo, s73
	s_and_saveexec_b32 s73, s17
	s_cbranch_execz .LBB2_791
.LBB2_790:                              ;   in Loop: Header=BB2_352 Depth=4
	v_and_b32_e32 v9, 7, v15
	v_bfe_u32 v88, v15, 3, 4
	v_lshlrev_b32_e32 v89, 24, v15
	v_ffbh_u32_e32 v10, v9
	v_cmp_eq_u32_e32 vcc_lo, 0, v88
	v_min_u32_e32 v10, 32, v10
	v_subrev_nc_u32_e32 v79, 28, v10
	v_sub_nc_u32_e32 v10, 29, v10
	v_lshlrev_b32_e32 v79, v79, v15
	v_cndmask_b32_e32 v10, v88, v10, vcc_lo
	v_and_b32_e32 v79, 7, v79
	v_lshl_add_u32 v10, v10, 23, 0x3b800000
	v_cndmask_b32_e32 v9, v9, v79, vcc_lo
	v_and_b32_e32 v79, 0x80000000, v89
	v_lshlrev_b32_e32 v9, 20, v9
	v_or3_b32 v9, v79, v10, v9
.LBB2_791:                              ;   in Loop: Header=BB2_352 Depth=4
	s_or_b32 exec_lo, exec_lo, s73
	v_cmp_gt_i16_sdwa s73, v11, v102 src0_sel:BYTE_0 src1_sel:DWORD
	s_mov_b32 s17, 0
	s_and_saveexec_b32 s74, s73
	s_xor_b32 s73, exec_lo, s74
	s_cbranch_execz .LBB2_1024
; %bb.792:                              ;   in Loop: Header=BB2_352 Depth=4
	v_cmp_eq_u16_sdwa s75, v11, v103 src0_sel:BYTE_0 src1_sel:DWORD
	s_mov_b32 s17, -1
	s_and_saveexec_b32 s74, s75
; %bb.793:                              ;   in Loop: Header=BB2_352 Depth=4
	s_xor_b32 s17, exec_lo, -1
; %bb.794:                              ;   in Loop: Header=BB2_352 Depth=4
	s_or_b32 exec_lo, exec_lo, s74
	s_and_b32 s17, s17, exec_lo
	s_or_saveexec_b32 s73, s73
	v_mov_b32_e32 v10, 0x7f800001
	s_xor_b32 exec_lo, exec_lo, s73
	s_cbranch_execnz .LBB2_1025
.LBB2_795:                              ;   in Loop: Header=BB2_352 Depth=4
	s_or_b32 exec_lo, exec_lo, s73
	s_and_saveexec_b32 s73, s17
.LBB2_796:                              ;   in Loop: Header=BB2_352 Depth=4
	v_mov_b32_e32 v10, v8
.LBB2_797:                              ;   in Loop: Header=BB2_352 Depth=4
	s_or_b32 exec_lo, exec_lo, s73
	v_max_f32_e32 v10, v10, v10
	v_max_f32_e32 v9, v9, v9
	s_mov_b32 s17, 0
	v_max_f32_e32 v9, v9, v10
.LBB2_798:                              ;   in Loop: Header=BB2_352 Depth=4
	s_and_b32 vcc_lo, exec_lo, s17
	s_cbranch_vccz .LBB2_812
; %bb.799:                              ;   in Loop: Header=BB2_352 Depth=4
	v_cmp_gt_i16_sdwa s73, v15, v102 src0_sel:BYTE_0 src1_sel:DWORD
	s_mov_b32 s17, 0
	s_and_saveexec_b32 s74, s73
	s_xor_b32 s73, exec_lo, s74
	s_cbranch_execz .LBB2_1026
; %bb.800:                              ;   in Loop: Header=BB2_352 Depth=4
	v_cmp_eq_u16_sdwa s75, v15, v103 src0_sel:BYTE_0 src1_sel:DWORD
	s_mov_b32 s17, -1
	s_and_saveexec_b32 s74, s75
; %bb.801:                              ;   in Loop: Header=BB2_352 Depth=4
	s_xor_b32 s17, exec_lo, -1
; %bb.802:                              ;   in Loop: Header=BB2_352 Depth=4
	s_or_b32 exec_lo, exec_lo, s74
	s_and_b32 s17, s17, exec_lo
	s_or_saveexec_b32 s73, s73
	v_mov_b32_e32 v9, 0x7f800001
	s_xor_b32 exec_lo, exec_lo, s73
	s_cbranch_execnz .LBB2_1027
.LBB2_803:                              ;   in Loop: Header=BB2_352 Depth=4
	s_or_b32 exec_lo, exec_lo, s73
	s_and_saveexec_b32 s73, s17
	s_cbranch_execz .LBB2_805
.LBB2_804:                              ;   in Loop: Header=BB2_352 Depth=4
	v_and_b32_e32 v9, 7, v15
	v_bfe_u32 v88, v15, 3, 4
	v_lshlrev_b32_e32 v89, 24, v15
	v_ffbh_u32_e32 v10, v9
	v_cmp_eq_u32_e32 vcc_lo, 0, v88
	v_min_u32_e32 v10, 32, v10
	v_subrev_nc_u32_e32 v79, 28, v10
	v_sub_nc_u32_e32 v10, 29, v10
	v_lshlrev_b32_e32 v79, v79, v15
	v_cndmask_b32_e32 v10, v88, v10, vcc_lo
	v_and_b32_e32 v79, 7, v79
	v_lshl_add_u32 v10, v10, 23, 0x3b800000
	v_cndmask_b32_e32 v9, v9, v79, vcc_lo
	v_and_b32_e32 v79, 0x80000000, v89
	v_lshlrev_b32_e32 v9, 20, v9
	v_or3_b32 v9, v79, v10, v9
.LBB2_805:                              ;   in Loop: Header=BB2_352 Depth=4
	s_or_b32 exec_lo, exec_lo, s73
	v_cmp_gt_i16_sdwa s73, v11, v102 src0_sel:BYTE_0 src1_sel:DWORD
	s_mov_b32 s17, 0
	s_and_saveexec_b32 s74, s73
	s_xor_b32 s73, exec_lo, s74
	s_cbranch_execz .LBB2_1028
; %bb.806:                              ;   in Loop: Header=BB2_352 Depth=4
	v_cmp_eq_u16_sdwa s75, v11, v103 src0_sel:BYTE_0 src1_sel:DWORD
	s_mov_b32 s17, -1
	s_and_saveexec_b32 s74, s75
; %bb.807:                              ;   in Loop: Header=BB2_352 Depth=4
	s_xor_b32 s17, exec_lo, -1
; %bb.808:                              ;   in Loop: Header=BB2_352 Depth=4
	s_or_b32 exec_lo, exec_lo, s74
	s_and_b32 s17, s17, exec_lo
	s_or_saveexec_b32 s73, s73
	v_mov_b32_e32 v10, 0x7f800001
	s_xor_b32 exec_lo, exec_lo, s73
	s_cbranch_execnz .LBB2_1029
.LBB2_809:                              ;   in Loop: Header=BB2_352 Depth=4
	s_or_b32 exec_lo, exec_lo, s73
	s_and_saveexec_b32 s73, s17
.LBB2_810:                              ;   in Loop: Header=BB2_352 Depth=4
	v_mov_b32_e32 v10, v8
.LBB2_811:                              ;   in Loop: Header=BB2_352 Depth=4
	s_or_b32 exec_lo, exec_lo, s73
	v_max_f32_e32 v8, v10, v10
	v_max_f32_e32 v9, v9, v9
	v_min_f32_e32 v9, v9, v8
.LBB2_812:                              ;   in Loop: Header=BB2_352 Depth=4
	v_and_b32_e32 v8, 0x7f800000, v9
	v_mov_b32_e32 v79, 0x80
	s_mov_b32 s73, exec_lo
	v_cmpx_ne_u32_e32 0x7f800000, v8
	s_cbranch_execz .LBB2_820
; %bb.813:                              ;   in Loop: Header=BB2_352 Depth=4
	v_mov_b32_e32 v79, 0
	s_mov_b32 s74, exec_lo
	v_cmpx_ne_u32_e32 0, v9
	s_cbranch_execz .LBB2_819
; %bb.814:                              ;   in Loop: Header=BB2_352 Depth=4
	v_bfe_u32 v8, v9, 23, 8
	v_and_b32_e32 v10, 0x7fffff, v9
	v_sub_nc_u32_e32 v79, 0x78, v8
	v_cmp_gt_u32_e32 vcc_lo, 0x79, v8
	v_or_b32_e32 v88, 0x800000, v10
	v_cndmask_b32_e32 v79, 0, v79, vcc_lo
	v_cmp_eq_u32_e32 vcc_lo, 0, v8
	v_add_nc_u32_e32 v8, 0xffffff89, v8
	v_cndmask_b32_e64 v79, v79, 0x77, vcc_lo
	v_cndmask_b32_e32 v10, v88, v10, vcc_lo
	v_cndmask_b32_e64 v8, v8, 0xffffff8a, vcc_lo
	v_lshl_add_u32 v88, 0x100000, v79, -1
	v_lshrrev_b32_e32 v89, v79, v10
	v_lshlrev_b32_e64 v91, v79, 0x80000
	v_add_nc_u32_e32 v79, v79, v8
	v_and_b32_e32 v10, v88, v10
	v_bfe_u32 v90, v89, 20, 1
	v_cmp_eq_u32_e64 s17, v10, v91
	v_add_nc_u32_e32 v88, -1, v90
	v_cndmask_b32_e64 v10, 0, v88, s17
	v_lshrrev_b32_e32 v88, 23, v89
	s_mov_b32 s17, exec_lo
	v_add_nc_u32_e32 v10, v10, v89
	v_xor_b32_e32 v88, 1, v88
	v_and_b32_e32 v8, 0xfffff, v10
	v_add_nc_u32_e32 v10, v8, v89
                                        ; implicit-def: $vgpr8
	v_cmpx_ne_u32_e64 v79, v88
	s_xor_b32 s17, exec_lo, s17
; %bb.815:                              ;   in Loop: Header=BB2_352 Depth=4
	v_cmp_lt_u32_e32 vcc_lo, 0xffffff, v10
	v_sub_nc_u32_e32 v8, v79, v88
	v_cndmask_b32_e64 v79, 0, 1, vcc_lo
	v_add_co_ci_u32_e64 v8, null, 0, v8, vcc_lo
	v_lshrrev_b32_e32 v10, v79, v10
; %bb.816:                              ;   in Loop: Header=BB2_352 Depth=4
	s_andn2_saveexec_b32 s17, s17
; %bb.817:                              ;   in Loop: Header=BB2_352 Depth=4
	v_bfe_u32 v8, v10, 23, 1
; %bb.818:                              ;   in Loop: Header=BB2_352 Depth=4
	s_or_b32 exec_lo, exec_lo, s17
	v_lshrrev_b32_e32 v10, 20, v10
	v_min_i32_e32 v79, 15, v8
	v_cmp_gt_i32_e32 vcc_lo, 16, v8
	v_and_b32_sdwa v9, v9, v103 dst_sel:DWORD dst_unused:UNUSED_PAD src0_sel:BYTE_3 src1_sel:DWORD
	v_lshlrev_b32_e32 v79, 3, v79
	v_cndmask_b32_e32 v10, 7, v10, vcc_lo
	v_and_b32_e32 v79, 0xf8, v79
	v_and_b32_e32 v88, 7, v10
	v_or_b32_e32 v8, v8, v10
	v_or3_b32 v9, v79, v9, v88
	v_cmp_ne_u32_e32 vcc_lo, 0, v8
	v_cndmask_b32_e32 v79, 0, v9, vcc_lo
.LBB2_819:                              ;   in Loop: Header=BB2_352 Depth=4
	s_or_b32 exec_lo, exec_lo, s74
.LBB2_820:                              ;   in Loop: Header=BB2_352 Depth=4
	s_or_b32 exec_lo, exec_lo, s73
	v_and_b32_sdwa v8, v112, v11 dst_sel:DWORD dst_unused:UNUSED_PAD src0_sel:DWORD src1_sel:BYTE_1
	s_mov_b32 s17, -1
	v_and_b32_e32 v9, 7, v8
	v_bfe_u32 v89, v8, 3, 4
	v_ffbh_u32_e32 v10, v9
	v_cmp_eq_u32_e32 vcc_lo, 0, v89
	v_min_u32_e32 v10, 32, v10
	v_subrev_nc_u32_e32 v88, 28, v10
	v_sub_nc_u32_e32 v10, 29, v10
	v_lshlrev_b32_e32 v8, v88, v8
	v_lshlrev_b32_sdwa v88, v113, v11 dst_sel:DWORD dst_unused:UNUSED_PAD src0_sel:DWORD src1_sel:BYTE_1
	v_cndmask_b32_e32 v10, v89, v10, vcc_lo
	v_and_b32_e32 v8, 7, v8
	v_lshl_add_u32 v10, v10, 23, 0x3b800000
	v_cndmask_b32_e32 v8, v9, v8, vcc_lo
	v_and_b32_e32 v9, 0x80000000, v88
	s_and_b32 vcc_lo, exec_lo, s72
	v_lshlrev_b32_e32 v8, 20, v8
	v_or3_b32 v8, v9, v10, v8
                                        ; implicit-def: $vgpr9
	s_cbranch_vccz .LBB2_834
; %bb.821:                              ;   in Loop: Header=BB2_352 Depth=4
	v_cmp_gt_i16_sdwa s73, v15, v102 src0_sel:BYTE_1 src1_sel:DWORD
	s_mov_b32 s17, 0
	s_and_saveexec_b32 s74, s73
	s_xor_b32 s73, exec_lo, s74
	s_cbranch_execz .LBB2_1030
; %bb.822:                              ;   in Loop: Header=BB2_352 Depth=4
	v_cmp_eq_u16_sdwa s75, v15, v103 src0_sel:BYTE_1 src1_sel:DWORD
	s_mov_b32 s17, -1
	s_and_saveexec_b32 s74, s75
; %bb.823:                              ;   in Loop: Header=BB2_352 Depth=4
	s_xor_b32 s17, exec_lo, -1
; %bb.824:                              ;   in Loop: Header=BB2_352 Depth=4
	s_or_b32 exec_lo, exec_lo, s74
	s_and_b32 s17, s17, exec_lo
	s_or_saveexec_b32 s73, s73
	v_mov_b32_e32 v9, 0x7f800001
	s_xor_b32 exec_lo, exec_lo, s73
	s_cbranch_execnz .LBB2_1031
.LBB2_825:                              ;   in Loop: Header=BB2_352 Depth=4
	s_or_b32 exec_lo, exec_lo, s73
	s_and_saveexec_b32 s73, s17
	s_cbranch_execz .LBB2_827
.LBB2_826:                              ;   in Loop: Header=BB2_352 Depth=4
	v_and_b32_sdwa v9, v112, v15 dst_sel:DWORD dst_unused:UNUSED_PAD src0_sel:DWORD src1_sel:BYTE_1
	v_and_b32_e32 v10, 7, v9
	v_bfe_u32 v90, v9, 3, 4
	v_ffbh_u32_e32 v88, v10
	v_cmp_eq_u32_e32 vcc_lo, 0, v90
	v_min_u32_e32 v88, 32, v88
	v_subrev_nc_u32_e32 v89, 28, v88
	v_sub_nc_u32_e32 v88, 29, v88
	v_lshlrev_b32_e32 v9, v89, v9
	v_lshlrev_b32_e32 v89, 16, v15
	v_cndmask_b32_e32 v88, v90, v88, vcc_lo
	v_and_b32_e32 v9, 7, v9
	v_lshl_add_u32 v88, v88, 23, 0x3b800000
	v_cndmask_b32_e32 v9, v10, v9, vcc_lo
	v_and_b32_e32 v10, 0x80000000, v89
	v_lshlrev_b32_e32 v9, 20, v9
	v_or3_b32 v9, v10, v88, v9
.LBB2_827:                              ;   in Loop: Header=BB2_352 Depth=4
	s_or_b32 exec_lo, exec_lo, s73
	v_cmp_gt_i16_sdwa s73, v11, v102 src0_sel:BYTE_1 src1_sel:DWORD
	s_mov_b32 s17, 0
	s_and_saveexec_b32 s74, s73
	s_xor_b32 s73, exec_lo, s74
	s_cbranch_execz .LBB2_1032
; %bb.828:                              ;   in Loop: Header=BB2_352 Depth=4
	v_cmp_eq_u16_sdwa s75, v11, v103 src0_sel:BYTE_1 src1_sel:DWORD
	s_mov_b32 s17, -1
	s_and_saveexec_b32 s74, s75
; %bb.829:                              ;   in Loop: Header=BB2_352 Depth=4
	s_xor_b32 s17, exec_lo, -1
; %bb.830:                              ;   in Loop: Header=BB2_352 Depth=4
	s_or_b32 exec_lo, exec_lo, s74
	s_and_b32 s17, s17, exec_lo
	s_or_saveexec_b32 s73, s73
	v_mov_b32_e32 v10, 0x7f800001
	s_xor_b32 exec_lo, exec_lo, s73
	s_cbranch_execnz .LBB2_1033
.LBB2_831:                              ;   in Loop: Header=BB2_352 Depth=4
	s_or_b32 exec_lo, exec_lo, s73
	s_and_saveexec_b32 s73, s17
.LBB2_832:                              ;   in Loop: Header=BB2_352 Depth=4
	v_mov_b32_e32 v10, v8
.LBB2_833:                              ;   in Loop: Header=BB2_352 Depth=4
	s_or_b32 exec_lo, exec_lo, s73
	v_max_f32_e32 v10, v10, v10
	v_max_f32_e32 v9, v9, v9
	s_mov_b32 s17, 0
	v_max_f32_e32 v9, v9, v10
.LBB2_834:                              ;   in Loop: Header=BB2_352 Depth=4
	s_and_b32 vcc_lo, exec_lo, s17
	s_cbranch_vccz .LBB2_848
; %bb.835:                              ;   in Loop: Header=BB2_352 Depth=4
	v_cmp_gt_i16_sdwa s73, v15, v102 src0_sel:BYTE_1 src1_sel:DWORD
	s_mov_b32 s17, 0
	s_and_saveexec_b32 s74, s73
	s_xor_b32 s73, exec_lo, s74
	s_cbranch_execz .LBB2_1034
; %bb.836:                              ;   in Loop: Header=BB2_352 Depth=4
	v_cmp_eq_u16_sdwa s75, v15, v103 src0_sel:BYTE_1 src1_sel:DWORD
	s_mov_b32 s17, -1
	s_and_saveexec_b32 s74, s75
; %bb.837:                              ;   in Loop: Header=BB2_352 Depth=4
	s_xor_b32 s17, exec_lo, -1
; %bb.838:                              ;   in Loop: Header=BB2_352 Depth=4
	s_or_b32 exec_lo, exec_lo, s74
	s_and_b32 s17, s17, exec_lo
	s_or_saveexec_b32 s73, s73
	v_mov_b32_e32 v9, 0x7f800001
	s_xor_b32 exec_lo, exec_lo, s73
	s_cbranch_execnz .LBB2_1035
.LBB2_839:                              ;   in Loop: Header=BB2_352 Depth=4
	s_or_b32 exec_lo, exec_lo, s73
	s_and_saveexec_b32 s73, s17
	s_cbranch_execz .LBB2_841
.LBB2_840:                              ;   in Loop: Header=BB2_352 Depth=4
	v_and_b32_sdwa v9, v112, v15 dst_sel:DWORD dst_unused:UNUSED_PAD src0_sel:DWORD src1_sel:BYTE_1
	v_and_b32_e32 v10, 7, v9
	v_bfe_u32 v90, v9, 3, 4
	v_ffbh_u32_e32 v88, v10
	v_cmp_eq_u32_e32 vcc_lo, 0, v90
	v_min_u32_e32 v88, 32, v88
	v_subrev_nc_u32_e32 v89, 28, v88
	v_sub_nc_u32_e32 v88, 29, v88
	v_lshlrev_b32_e32 v9, v89, v9
	v_lshlrev_b32_e32 v89, 16, v15
	v_cndmask_b32_e32 v88, v90, v88, vcc_lo
	v_and_b32_e32 v9, 7, v9
	v_lshl_add_u32 v88, v88, 23, 0x3b800000
	v_cndmask_b32_e32 v9, v10, v9, vcc_lo
	v_and_b32_e32 v10, 0x80000000, v89
	v_lshlrev_b32_e32 v9, 20, v9
	v_or3_b32 v9, v10, v88, v9
.LBB2_841:                              ;   in Loop: Header=BB2_352 Depth=4
	s_or_b32 exec_lo, exec_lo, s73
	v_cmp_gt_i16_sdwa s73, v11, v102 src0_sel:BYTE_1 src1_sel:DWORD
	s_mov_b32 s17, 0
	s_and_saveexec_b32 s74, s73
	s_xor_b32 s73, exec_lo, s74
	s_cbranch_execz .LBB2_1036
; %bb.842:                              ;   in Loop: Header=BB2_352 Depth=4
	v_cmp_eq_u16_sdwa s75, v11, v103 src0_sel:BYTE_1 src1_sel:DWORD
	s_mov_b32 s17, -1
	s_and_saveexec_b32 s74, s75
; %bb.843:                              ;   in Loop: Header=BB2_352 Depth=4
	s_xor_b32 s17, exec_lo, -1
; %bb.844:                              ;   in Loop: Header=BB2_352 Depth=4
	s_or_b32 exec_lo, exec_lo, s74
	s_and_b32 s17, s17, exec_lo
	s_or_saveexec_b32 s73, s73
	v_mov_b32_e32 v10, 0x7f800001
	s_xor_b32 exec_lo, exec_lo, s73
	s_cbranch_execnz .LBB2_1037
.LBB2_845:                              ;   in Loop: Header=BB2_352 Depth=4
	s_or_b32 exec_lo, exec_lo, s73
	s_and_saveexec_b32 s73, s17
.LBB2_846:                              ;   in Loop: Header=BB2_352 Depth=4
	v_mov_b32_e32 v10, v8
.LBB2_847:                              ;   in Loop: Header=BB2_352 Depth=4
	s_or_b32 exec_lo, exec_lo, s73
	v_max_f32_e32 v8, v10, v10
	v_max_f32_e32 v9, v9, v9
	v_min_f32_e32 v9, v9, v8
.LBB2_848:                              ;   in Loop: Header=BB2_352 Depth=4
	v_and_b32_e32 v8, 0x7f800000, v9
	v_mov_b32_e32 v88, 0x8000
	s_mov_b32 s73, exec_lo
	v_cmpx_ne_u32_e32 0x7f800000, v8
	s_cbranch_execz .LBB2_856
; %bb.849:                              ;   in Loop: Header=BB2_352 Depth=4
	v_mov_b32_e32 v88, 0
	s_mov_b32 s74, exec_lo
	v_cmpx_ne_u32_e32 0, v9
	s_cbranch_execz .LBB2_855
; %bb.850:                              ;   in Loop: Header=BB2_352 Depth=4
	v_bfe_u32 v8, v9, 23, 8
	v_and_b32_e32 v10, 0x7fffff, v9
	v_sub_nc_u32_e32 v88, 0x78, v8
	v_cmp_gt_u32_e32 vcc_lo, 0x79, v8
	v_or_b32_e32 v89, 0x800000, v10
	v_cndmask_b32_e32 v88, 0, v88, vcc_lo
	v_cmp_eq_u32_e32 vcc_lo, 0, v8
	v_add_nc_u32_e32 v8, 0xffffff89, v8
	v_cndmask_b32_e64 v88, v88, 0x77, vcc_lo
	v_cndmask_b32_e32 v10, v89, v10, vcc_lo
	v_cndmask_b32_e64 v8, v8, 0xffffff8a, vcc_lo
	v_lshl_add_u32 v89, 0x100000, v88, -1
	v_lshrrev_b32_e32 v90, v88, v10
	v_lshlrev_b32_e64 v92, v88, 0x80000
	v_add_nc_u32_e32 v88, v88, v8
	v_and_b32_e32 v10, v89, v10
	v_bfe_u32 v91, v90, 20, 1
	v_cmp_eq_u32_e64 s17, v10, v92
	v_add_nc_u32_e32 v89, -1, v91
	v_cndmask_b32_e64 v10, 0, v89, s17
	v_lshrrev_b32_e32 v89, 23, v90
	s_mov_b32 s17, exec_lo
	v_add_nc_u32_e32 v10, v10, v90
	v_xor_b32_e32 v89, 1, v89
	v_and_b32_e32 v8, 0xfffff, v10
	v_add_nc_u32_e32 v10, v8, v90
                                        ; implicit-def: $vgpr8
	v_cmpx_ne_u32_e64 v88, v89
	s_xor_b32 s17, exec_lo, s17
; %bb.851:                              ;   in Loop: Header=BB2_352 Depth=4
	v_cmp_lt_u32_e32 vcc_lo, 0xffffff, v10
	v_sub_nc_u32_e32 v8, v88, v89
	v_cndmask_b32_e64 v88, 0, 1, vcc_lo
	v_add_co_ci_u32_e64 v8, null, 0, v8, vcc_lo
	v_lshrrev_b32_e32 v10, v88, v10
; %bb.852:                              ;   in Loop: Header=BB2_352 Depth=4
	s_andn2_saveexec_b32 s17, s17
; %bb.853:                              ;   in Loop: Header=BB2_352 Depth=4
	v_bfe_u32 v8, v10, 23, 1
; %bb.854:                              ;   in Loop: Header=BB2_352 Depth=4
	s_or_b32 exec_lo, exec_lo, s17
	v_lshrrev_b32_e32 v10, 20, v10
	v_min_i32_e32 v88, 15, v8
	v_cmp_gt_i32_e32 vcc_lo, 16, v8
	v_and_b32_sdwa v9, v9, v103 dst_sel:DWORD dst_unused:UNUSED_PAD src0_sel:BYTE_3 src1_sel:DWORD
	v_lshlrev_b32_e32 v88, 3, v88
	v_cndmask_b32_e32 v10, 7, v10, vcc_lo
	v_and_b32_e32 v88, 0xf8, v88
	v_and_b32_e32 v89, 7, v10
	v_or_b32_e32 v8, v8, v10
	v_or3_b32 v9, v9, v88, v89
	v_cmp_ne_u32_e32 vcc_lo, 0, v8
	v_lshlrev_b32_e32 v9, 8, v9
	v_cndmask_b32_e32 v88, 0, v9, vcc_lo
.LBB2_855:                              ;   in Loop: Header=BB2_352 Depth=4
	s_or_b32 exec_lo, exec_lo, s74
.LBB2_856:                              ;   in Loop: Header=BB2_352 Depth=4
	s_or_b32 exec_lo, exec_lo, s73
	v_bfe_u32 v8, v11, 16, 3
	v_bfe_u32 v89, v11, 19, 4
	v_lshlrev_b32_e32 v90, 8, v11
	s_mov_b32 s17, -1
	v_ffbh_u32_e32 v9, v8
	v_cmp_eq_u32_e32 vcc_lo, 0, v89
	v_min_u32_e32 v9, 32, v9
	v_subrev_nc_u32_e32 v10, 28, v9
	v_sub_nc_u32_e32 v9, 29, v9
	v_lshlrev_b32_sdwa v10, v10, v11 dst_sel:DWORD dst_unused:UNUSED_PAD src0_sel:DWORD src1_sel:WORD_1
	v_cndmask_b32_e32 v9, v89, v9, vcc_lo
	v_and_b32_e32 v10, 7, v10
	v_lshl_add_u32 v9, v9, 23, 0x3b800000
	v_cndmask_b32_e32 v8, v8, v10, vcc_lo
	v_and_b32_e32 v10, 0x80000000, v90
	s_and_b32 vcc_lo, exec_lo, s72
	v_lshlrev_b32_e32 v8, 20, v8
	v_or3_b32 v8, v10, v9, v8
                                        ; implicit-def: $vgpr9
	s_cbranch_vccz .LBB2_870
; %bb.857:                              ;   in Loop: Header=BB2_352 Depth=4
	v_and_b32_sdwa v10, v15, v114 dst_sel:DWORD dst_unused:UNUSED_PAD src0_sel:WORD_1 src1_sel:DWORD
	s_mov_b32 s17, 0
	s_mov_b32 s73, exec_lo
	v_cmpx_lt_i16_e32 0x7f, v10
	s_xor_b32 s73, exec_lo, s73
	s_cbranch_execz .LBB2_1038
; %bb.858:                              ;   in Loop: Header=BB2_352 Depth=4
	s_mov_b32 s17, -1
	s_mov_b32 s74, exec_lo
	v_cmpx_eq_u16_e32 0x80, v10
; %bb.859:                              ;   in Loop: Header=BB2_352 Depth=4
	s_xor_b32 s17, exec_lo, -1
; %bb.860:                              ;   in Loop: Header=BB2_352 Depth=4
	s_or_b32 exec_lo, exec_lo, s74
	s_and_b32 s17, s17, exec_lo
                                        ; implicit-def: $vgpr10
	s_or_saveexec_b32 s73, s73
	v_mov_b32_e32 v9, 0x7f800001
	s_xor_b32 exec_lo, exec_lo, s73
	s_cbranch_execnz .LBB2_1039
.LBB2_861:                              ;   in Loop: Header=BB2_352 Depth=4
	s_or_b32 exec_lo, exec_lo, s73
	s_and_saveexec_b32 s73, s17
	s_cbranch_execz .LBB2_863
.LBB2_862:                              ;   in Loop: Header=BB2_352 Depth=4
	v_bfe_u32 v9, v15, 16, 3
	v_bfe_u32 v90, v15, 19, 4
	v_lshlrev_b32_sdwa v91, v113, v15 dst_sel:DWORD dst_unused:UNUSED_PAD src0_sel:DWORD src1_sel:WORD_1
	v_ffbh_u32_e32 v10, v9
	v_cmp_eq_u32_e32 vcc_lo, 0, v90
	v_min_u32_e32 v10, 32, v10
	v_subrev_nc_u32_e32 v89, 28, v10
	v_sub_nc_u32_e32 v10, 29, v10
	v_lshlrev_b32_sdwa v89, v89, v15 dst_sel:DWORD dst_unused:UNUSED_PAD src0_sel:DWORD src1_sel:WORD_1
	v_cndmask_b32_e32 v10, v90, v10, vcc_lo
	v_and_b32_e32 v89, 7, v89
	v_lshl_add_u32 v10, v10, 23, 0x3b800000
	v_cndmask_b32_e32 v9, v9, v89, vcc_lo
	v_and_b32_e32 v89, 0x80000000, v91
	v_lshlrev_b32_e32 v9, 20, v9
	v_or3_b32 v9, v89, v10, v9
.LBB2_863:                              ;   in Loop: Header=BB2_352 Depth=4
	s_or_b32 exec_lo, exec_lo, s73
	v_and_b32_sdwa v89, v11, v114 dst_sel:DWORD dst_unused:UNUSED_PAD src0_sel:WORD_1 src1_sel:DWORD
	s_mov_b32 s17, 0
	s_mov_b32 s73, exec_lo
	v_cmpx_lt_i16_e32 0x7f, v89
	s_xor_b32 s73, exec_lo, s73
	s_cbranch_execz .LBB2_1040
; %bb.864:                              ;   in Loop: Header=BB2_352 Depth=4
	s_mov_b32 s17, -1
	s_mov_b32 s74, exec_lo
	v_cmpx_eq_u16_e32 0x80, v89
; %bb.865:                              ;   in Loop: Header=BB2_352 Depth=4
	s_xor_b32 s17, exec_lo, -1
; %bb.866:                              ;   in Loop: Header=BB2_352 Depth=4
	s_or_b32 exec_lo, exec_lo, s74
	s_and_b32 s17, s17, exec_lo
                                        ; implicit-def: $vgpr89
	s_or_saveexec_b32 s73, s73
	v_mov_b32_e32 v10, 0x7f800001
	s_xor_b32 exec_lo, exec_lo, s73
	s_cbranch_execnz .LBB2_1041
.LBB2_867:                              ;   in Loop: Header=BB2_352 Depth=4
	s_or_b32 exec_lo, exec_lo, s73
	s_and_saveexec_b32 s73, s17
.LBB2_868:                              ;   in Loop: Header=BB2_352 Depth=4
	v_mov_b32_e32 v10, v8
.LBB2_869:                              ;   in Loop: Header=BB2_352 Depth=4
	s_or_b32 exec_lo, exec_lo, s73
	v_max_f32_e32 v10, v10, v10
	v_max_f32_e32 v9, v9, v9
	s_mov_b32 s17, 0
	v_max_f32_e32 v9, v9, v10
.LBB2_870:                              ;   in Loop: Header=BB2_352 Depth=4
	s_and_b32 vcc_lo, exec_lo, s17
	s_cbranch_vccz .LBB2_884
; %bb.871:                              ;   in Loop: Header=BB2_352 Depth=4
	v_and_b32_sdwa v10, v15, v114 dst_sel:DWORD dst_unused:UNUSED_PAD src0_sel:WORD_1 src1_sel:DWORD
	s_mov_b32 s17, 0
	s_mov_b32 s73, exec_lo
	v_cmpx_lt_i16_e32 0x7f, v10
	s_xor_b32 s73, exec_lo, s73
	s_cbranch_execz .LBB2_1042
; %bb.872:                              ;   in Loop: Header=BB2_352 Depth=4
	s_mov_b32 s17, -1
	s_mov_b32 s74, exec_lo
	v_cmpx_eq_u16_e32 0x80, v10
; %bb.873:                              ;   in Loop: Header=BB2_352 Depth=4
	s_xor_b32 s17, exec_lo, -1
; %bb.874:                              ;   in Loop: Header=BB2_352 Depth=4
	s_or_b32 exec_lo, exec_lo, s74
	s_and_b32 s17, s17, exec_lo
                                        ; implicit-def: $vgpr10
	s_or_saveexec_b32 s73, s73
	v_mov_b32_e32 v9, 0x7f800001
	s_xor_b32 exec_lo, exec_lo, s73
	s_cbranch_execnz .LBB2_1043
.LBB2_875:                              ;   in Loop: Header=BB2_352 Depth=4
	s_or_b32 exec_lo, exec_lo, s73
	s_and_saveexec_b32 s73, s17
	s_cbranch_execz .LBB2_877
.LBB2_876:                              ;   in Loop: Header=BB2_352 Depth=4
	v_bfe_u32 v9, v15, 16, 3
	v_bfe_u32 v90, v15, 19, 4
	v_lshlrev_b32_sdwa v91, v113, v15 dst_sel:DWORD dst_unused:UNUSED_PAD src0_sel:DWORD src1_sel:WORD_1
	v_ffbh_u32_e32 v10, v9
	v_cmp_eq_u32_e32 vcc_lo, 0, v90
	v_min_u32_e32 v10, 32, v10
	v_subrev_nc_u32_e32 v89, 28, v10
	v_sub_nc_u32_e32 v10, 29, v10
	v_lshlrev_b32_sdwa v89, v89, v15 dst_sel:DWORD dst_unused:UNUSED_PAD src0_sel:DWORD src1_sel:WORD_1
	v_cndmask_b32_e32 v10, v90, v10, vcc_lo
	v_and_b32_e32 v89, 7, v89
	v_lshl_add_u32 v10, v10, 23, 0x3b800000
	v_cndmask_b32_e32 v9, v9, v89, vcc_lo
	v_and_b32_e32 v89, 0x80000000, v91
	v_lshlrev_b32_e32 v9, 20, v9
	v_or3_b32 v9, v89, v10, v9
.LBB2_877:                              ;   in Loop: Header=BB2_352 Depth=4
	s_or_b32 exec_lo, exec_lo, s73
	v_and_b32_sdwa v89, v11, v114 dst_sel:DWORD dst_unused:UNUSED_PAD src0_sel:WORD_1 src1_sel:DWORD
	s_mov_b32 s17, 0
	s_mov_b32 s73, exec_lo
	v_cmpx_lt_i16_e32 0x7f, v89
	s_xor_b32 s73, exec_lo, s73
	s_cbranch_execz .LBB2_1044
; %bb.878:                              ;   in Loop: Header=BB2_352 Depth=4
	s_mov_b32 s17, -1
	s_mov_b32 s74, exec_lo
	v_cmpx_eq_u16_e32 0x80, v89
; %bb.879:                              ;   in Loop: Header=BB2_352 Depth=4
	s_xor_b32 s17, exec_lo, -1
; %bb.880:                              ;   in Loop: Header=BB2_352 Depth=4
	s_or_b32 exec_lo, exec_lo, s74
	s_and_b32 s17, s17, exec_lo
                                        ; implicit-def: $vgpr89
	s_or_saveexec_b32 s73, s73
	v_mov_b32_e32 v10, 0x7f800001
	s_xor_b32 exec_lo, exec_lo, s73
	s_cbranch_execnz .LBB2_1045
.LBB2_881:                              ;   in Loop: Header=BB2_352 Depth=4
	s_or_b32 exec_lo, exec_lo, s73
	s_and_saveexec_b32 s73, s17
.LBB2_882:                              ;   in Loop: Header=BB2_352 Depth=4
	v_mov_b32_e32 v10, v8
.LBB2_883:                              ;   in Loop: Header=BB2_352 Depth=4
	s_or_b32 exec_lo, exec_lo, s73
	v_max_f32_e32 v8, v10, v10
	v_max_f32_e32 v9, v9, v9
	v_min_f32_e32 v9, v9, v8
.LBB2_884:                              ;   in Loop: Header=BB2_352 Depth=4
	v_and_b32_e32 v8, 0x7f800000, v9
	v_mov_b32_e32 v89, 0x80
	s_mov_b32 s73, exec_lo
	v_cmpx_ne_u32_e32 0x7f800000, v8
	s_cbranch_execz .LBB2_892
; %bb.885:                              ;   in Loop: Header=BB2_352 Depth=4
	v_mov_b32_e32 v89, 0
	s_mov_b32 s74, exec_lo
	v_cmpx_ne_u32_e32 0, v9
	s_cbranch_execz .LBB2_891
; %bb.886:                              ;   in Loop: Header=BB2_352 Depth=4
	v_bfe_u32 v8, v9, 23, 8
	v_and_b32_e32 v10, 0x7fffff, v9
	v_sub_nc_u32_e32 v89, 0x78, v8
	v_cmp_gt_u32_e32 vcc_lo, 0x79, v8
	v_or_b32_e32 v90, 0x800000, v10
	v_cndmask_b32_e32 v89, 0, v89, vcc_lo
	v_cmp_eq_u32_e32 vcc_lo, 0, v8
	v_add_nc_u32_e32 v8, 0xffffff89, v8
	v_cndmask_b32_e64 v89, v89, 0x77, vcc_lo
	v_cndmask_b32_e32 v10, v90, v10, vcc_lo
	v_cndmask_b32_e64 v8, v8, 0xffffff8a, vcc_lo
	v_lshl_add_u32 v90, 0x100000, v89, -1
	v_lshrrev_b32_e32 v91, v89, v10
	v_lshlrev_b32_e64 v93, v89, 0x80000
	v_add_nc_u32_e32 v89, v89, v8
	v_and_b32_e32 v10, v90, v10
	v_bfe_u32 v92, v91, 20, 1
	v_cmp_eq_u32_e64 s17, v10, v93
	v_add_nc_u32_e32 v90, -1, v92
	v_cndmask_b32_e64 v10, 0, v90, s17
	v_lshrrev_b32_e32 v90, 23, v91
	s_mov_b32 s17, exec_lo
	v_add_nc_u32_e32 v10, v10, v91
	v_xor_b32_e32 v90, 1, v90
	v_and_b32_e32 v8, 0xfffff, v10
	v_add_nc_u32_e32 v10, v8, v91
                                        ; implicit-def: $vgpr8
	v_cmpx_ne_u32_e64 v89, v90
	s_xor_b32 s17, exec_lo, s17
; %bb.887:                              ;   in Loop: Header=BB2_352 Depth=4
	v_cmp_lt_u32_e32 vcc_lo, 0xffffff, v10
	v_sub_nc_u32_e32 v8, v89, v90
	v_cndmask_b32_e64 v89, 0, 1, vcc_lo
	v_add_co_ci_u32_e64 v8, null, 0, v8, vcc_lo
	v_lshrrev_b32_e32 v10, v89, v10
; %bb.888:                              ;   in Loop: Header=BB2_352 Depth=4
	s_andn2_saveexec_b32 s17, s17
; %bb.889:                              ;   in Loop: Header=BB2_352 Depth=4
	v_bfe_u32 v8, v10, 23, 1
; %bb.890:                              ;   in Loop: Header=BB2_352 Depth=4
	s_or_b32 exec_lo, exec_lo, s17
	v_lshrrev_b32_e32 v10, 20, v10
	v_min_i32_e32 v89, 15, v8
	v_cmp_gt_i32_e32 vcc_lo, 16, v8
	v_and_b32_sdwa v9, v9, v103 dst_sel:DWORD dst_unused:UNUSED_PAD src0_sel:BYTE_3 src1_sel:DWORD
	v_lshlrev_b32_e32 v89, 3, v89
	v_cndmask_b32_e32 v10, 7, v10, vcc_lo
	v_and_b32_e32 v89, 0xf8, v89
	v_and_b32_e32 v90, 7, v10
	v_or_b32_e32 v8, v8, v10
	v_or3_b32 v9, v89, v9, v90
	v_cmp_ne_u32_e32 vcc_lo, 0, v8
	v_cndmask_b32_e32 v89, 0, v9, vcc_lo
.LBB2_891:                              ;   in Loop: Header=BB2_352 Depth=4
	s_or_b32 exec_lo, exec_lo, s74
.LBB2_892:                              ;   in Loop: Header=BB2_352 Depth=4
	s_or_b32 exec_lo, exec_lo, s73
	v_bfe_u32 v8, v11, 24, 3
	v_bfe_u32 v90, v11, 27, 4
	s_mov_b32 s17, -1
	v_ffbh_u32_e32 v9, v8
	v_cmp_eq_u32_e32 vcc_lo, 0, v90
	v_min_u32_e32 v9, 32, v9
	v_subrev_nc_u32_e32 v10, 28, v9
	v_sub_nc_u32_e32 v9, 29, v9
	v_lshlrev_b32_sdwa v10, v10, v11 dst_sel:DWORD dst_unused:UNUSED_PAD src0_sel:DWORD src1_sel:BYTE_3
	v_cndmask_b32_e32 v9, v90, v9, vcc_lo
	v_and_b32_e32 v10, 7, v10
	v_lshl_add_u32 v9, v9, 23, 0x3b800000
	v_cndmask_b32_e32 v8, v8, v10, vcc_lo
	v_and_b32_e32 v10, 0x80000000, v11
	s_and_b32 vcc_lo, exec_lo, s72
	v_lshlrev_b32_e32 v8, 20, v8
	v_or3_b32 v90, v10, v9, v8
                                        ; implicit-def: $vgpr8
	s_cbranch_vccz .LBB2_906
; %bb.893:                              ;   in Loop: Header=BB2_352 Depth=4
	v_cmp_gt_i16_sdwa s73, v15, v102 src0_sel:BYTE_3 src1_sel:DWORD
	s_mov_b32 s17, 0
	s_and_saveexec_b32 s74, s73
	s_xor_b32 s73, exec_lo, s74
	s_cbranch_execz .LBB2_1046
; %bb.894:                              ;   in Loop: Header=BB2_352 Depth=4
	v_cmp_eq_u16_sdwa s75, v15, v103 src0_sel:BYTE_3 src1_sel:DWORD
	s_mov_b32 s17, -1
	s_and_saveexec_b32 s74, s75
; %bb.895:                              ;   in Loop: Header=BB2_352 Depth=4
	s_xor_b32 s17, exec_lo, -1
; %bb.896:                              ;   in Loop: Header=BB2_352 Depth=4
	s_or_b32 exec_lo, exec_lo, s74
	s_and_b32 s17, s17, exec_lo
	s_or_saveexec_b32 s73, s73
	v_mov_b32_e32 v8, 0x7f800001
	s_xor_b32 exec_lo, exec_lo, s73
	s_cbranch_execnz .LBB2_1047
.LBB2_897:                              ;   in Loop: Header=BB2_352 Depth=4
	s_or_b32 exec_lo, exec_lo, s73
	s_and_saveexec_b32 s73, s17
	s_cbranch_execz .LBB2_899
.LBB2_898:                              ;   in Loop: Header=BB2_352 Depth=4
	v_bfe_u32 v8, v15, 24, 3
	v_bfe_u32 v91, v15, 27, 4
	v_ffbh_u32_e32 v9, v8
	v_cmp_eq_u32_e32 vcc_lo, 0, v91
	v_min_u32_e32 v9, 32, v9
	v_subrev_nc_u32_e32 v10, 28, v9
	v_sub_nc_u32_e32 v9, 29, v9
	v_lshlrev_b32_sdwa v10, v10, v15 dst_sel:DWORD dst_unused:UNUSED_PAD src0_sel:DWORD src1_sel:BYTE_3
	v_cndmask_b32_e32 v9, v91, v9, vcc_lo
	v_and_b32_e32 v10, 7, v10
	v_lshl_add_u32 v9, v9, 23, 0x3b800000
	v_cndmask_b32_e32 v8, v8, v10, vcc_lo
	v_and_b32_e32 v10, 0x80000000, v15
	v_lshlrev_b32_e32 v8, 20, v8
	v_or3_b32 v8, v10, v9, v8
.LBB2_899:                              ;   in Loop: Header=BB2_352 Depth=4
	s_or_b32 exec_lo, exec_lo, s73
	v_cmp_gt_i16_sdwa s73, v11, v102 src0_sel:BYTE_3 src1_sel:DWORD
	s_mov_b32 s17, 0
	s_and_saveexec_b32 s74, s73
	s_xor_b32 s73, exec_lo, s74
	s_cbranch_execz .LBB2_1048
; %bb.900:                              ;   in Loop: Header=BB2_352 Depth=4
	v_cmp_eq_u16_sdwa s75, v11, v103 src0_sel:BYTE_3 src1_sel:DWORD
	s_mov_b32 s17, -1
	s_and_saveexec_b32 s74, s75
; %bb.901:                              ;   in Loop: Header=BB2_352 Depth=4
	s_xor_b32 s17, exec_lo, -1
; %bb.902:                              ;   in Loop: Header=BB2_352 Depth=4
	s_or_b32 exec_lo, exec_lo, s74
	s_and_b32 s17, s17, exec_lo
	s_or_saveexec_b32 s73, s73
	v_mov_b32_e32 v9, 0x7f800001
	s_xor_b32 exec_lo, exec_lo, s73
	s_cbranch_execnz .LBB2_1049
.LBB2_903:                              ;   in Loop: Header=BB2_352 Depth=4
	s_or_b32 exec_lo, exec_lo, s73
	s_and_saveexec_b32 s73, s17
.LBB2_904:                              ;   in Loop: Header=BB2_352 Depth=4
	v_mov_b32_e32 v9, v90
.LBB2_905:                              ;   in Loop: Header=BB2_352 Depth=4
	s_or_b32 exec_lo, exec_lo, s73
	v_max_f32_e32 v9, v9, v9
	v_max_f32_e32 v8, v8, v8
	s_mov_b32 s17, 0
	v_max_f32_e32 v8, v8, v9
.LBB2_906:                              ;   in Loop: Header=BB2_352 Depth=4
	s_and_b32 vcc_lo, exec_lo, s17
	s_cbranch_vccz .LBB2_920
; %bb.907:                              ;   in Loop: Header=BB2_352 Depth=4
	v_cmp_gt_i16_sdwa s73, v15, v102 src0_sel:BYTE_3 src1_sel:DWORD
	s_mov_b32 s17, 0
	s_and_saveexec_b32 s74, s73
	s_xor_b32 s73, exec_lo, s74
	s_cbranch_execz .LBB2_1050
; %bb.908:                              ;   in Loop: Header=BB2_352 Depth=4
	v_cmp_eq_u16_sdwa s75, v15, v103 src0_sel:BYTE_3 src1_sel:DWORD
	s_mov_b32 s17, -1
	s_and_saveexec_b32 s74, s75
; %bb.909:                              ;   in Loop: Header=BB2_352 Depth=4
	s_xor_b32 s17, exec_lo, -1
; %bb.910:                              ;   in Loop: Header=BB2_352 Depth=4
	s_or_b32 exec_lo, exec_lo, s74
	s_and_b32 s17, s17, exec_lo
	s_or_saveexec_b32 s73, s73
	v_mov_b32_e32 v91, 0x7f800001
	s_xor_b32 exec_lo, exec_lo, s73
	s_cbranch_execnz .LBB2_1051
.LBB2_911:                              ;   in Loop: Header=BB2_352 Depth=4
	s_or_b32 exec_lo, exec_lo, s73
	s_and_saveexec_b32 s73, s17
	s_cbranch_execz .LBB2_913
.LBB2_912:                              ;   in Loop: Header=BB2_352 Depth=4
	v_bfe_u32 v8, v15, 24, 3
	v_bfe_u32 v91, v15, 27, 4
	v_ffbh_u32_e32 v9, v8
	v_cmp_eq_u32_e32 vcc_lo, 0, v91
	v_min_u32_e32 v9, 32, v9
	v_subrev_nc_u32_e32 v10, 28, v9
	v_sub_nc_u32_e32 v9, 29, v9
	v_lshlrev_b32_sdwa v10, v10, v15 dst_sel:DWORD dst_unused:UNUSED_PAD src0_sel:DWORD src1_sel:BYTE_3
	v_cndmask_b32_e32 v9, v91, v9, vcc_lo
	v_and_b32_e32 v10, 7, v10
	v_lshl_add_u32 v9, v9, 23, 0x3b800000
	v_cndmask_b32_e32 v8, v8, v10, vcc_lo
	v_and_b32_e32 v10, 0x80000000, v15
	v_lshlrev_b32_e32 v8, 20, v8
	v_or3_b32 v91, v10, v9, v8
.LBB2_913:                              ;   in Loop: Header=BB2_352 Depth=4
	s_or_b32 exec_lo, exec_lo, s73
	v_cmp_gt_i16_sdwa s73, v11, v102 src0_sel:BYTE_3 src1_sel:DWORD
	s_mov_b32 s17, 0
	s_and_saveexec_b32 s74, s73
	s_xor_b32 s73, exec_lo, s74
	s_cbranch_execz .LBB2_1052
; %bb.914:                              ;   in Loop: Header=BB2_352 Depth=4
	v_cmp_eq_u16_sdwa s75, v11, v103 src0_sel:BYTE_3 src1_sel:DWORD
	s_mov_b32 s17, -1
	s_and_saveexec_b32 s74, s75
; %bb.915:                              ;   in Loop: Header=BB2_352 Depth=4
	s_xor_b32 s17, exec_lo, -1
; %bb.916:                              ;   in Loop: Header=BB2_352 Depth=4
	s_or_b32 exec_lo, exec_lo, s74
	s_and_b32 s17, s17, exec_lo
                                        ; implicit-def: $vgpr8_vgpr9_vgpr10_vgpr11
	s_or_saveexec_b32 s73, s73
	v_mov_b32_e32 v8, 0x7f800001
	s_xor_b32 exec_lo, exec_lo, s73
	s_cbranch_execnz .LBB2_1053
.LBB2_917:                              ;   in Loop: Header=BB2_352 Depth=4
	s_or_b32 exec_lo, exec_lo, s73
	s_and_saveexec_b32 s73, s17
.LBB2_918:                              ;   in Loop: Header=BB2_352 Depth=4
	v_mov_b32_e32 v8, v90
.LBB2_919:                              ;   in Loop: Header=BB2_352 Depth=4
	s_or_b32 exec_lo, exec_lo, s73
	v_max_f32_e32 v8, v8, v8
	v_max_f32_e32 v9, v91, v91
	v_min_f32_e32 v8, v9, v8
.LBB2_920:                              ;   in Loop: Header=BB2_352 Depth=4
	v_and_b32_e32 v9, 0x7f800000, v8
	v_cmp_ne_u32_e32 vcc_lo, 0x7f800000, v9
	v_mov_b32_e32 v9, 0x8000
	s_and_saveexec_b32 s73, vcc_lo
	s_cbranch_execz .LBB2_351
; %bb.921:                              ;   in Loop: Header=BB2_352 Depth=4
	v_mov_b32_e32 v9, 0
	s_mov_b32 s74, exec_lo
	v_cmpx_ne_u32_e32 0, v8
	s_cbranch_execz .LBB2_350
; %bb.922:                              ;   in Loop: Header=BB2_352 Depth=4
	v_bfe_u32 v9, v8, 23, 8
	v_and_b32_e32 v10, 0x7fffff, v8
	v_sub_nc_u32_e32 v11, 0x78, v9
	v_cmp_gt_u32_e32 vcc_lo, 0x79, v9
	v_or_b32_e32 v15, 0x800000, v10
	v_cndmask_b32_e32 v11, 0, v11, vcc_lo
	v_cmp_eq_u32_e32 vcc_lo, 0, v9
	v_add_nc_u32_e32 v9, 0xffffff89, v9
	v_cndmask_b32_e64 v11, v11, 0x77, vcc_lo
	v_cndmask_b32_e32 v10, v15, v10, vcc_lo
	v_cndmask_b32_e64 v9, v9, 0xffffff8a, vcc_lo
	v_lshl_add_u32 v15, 0x100000, v11, -1
	v_lshrrev_b32_e32 v90, v11, v10
	v_lshlrev_b32_e64 v92, v11, 0x80000
	v_add_nc_u32_e32 v11, v11, v9
	v_and_b32_e32 v10, v15, v10
	v_bfe_u32 v91, v90, 20, 1
	v_cmp_eq_u32_e64 s17, v10, v92
	v_add_nc_u32_e32 v15, -1, v91
	v_cndmask_b32_e64 v10, 0, v15, s17
	v_lshrrev_b32_e32 v15, 23, v90
	s_mov_b32 s17, exec_lo
	v_add_nc_u32_e32 v10, v10, v90
	v_xor_b32_e32 v15, 1, v15
	v_and_b32_e32 v9, 0xfffff, v10
	v_add_nc_u32_e32 v10, v9, v90
                                        ; implicit-def: $vgpr9
	v_cmpx_ne_u32_e64 v11, v15
	s_xor_b32 s17, exec_lo, s17
; %bb.923:                              ;   in Loop: Header=BB2_352 Depth=4
	v_cmp_lt_u32_e32 vcc_lo, 0xffffff, v10
	v_sub_nc_u32_e32 v9, v11, v15
	v_cndmask_b32_e64 v11, 0, 1, vcc_lo
	v_add_co_ci_u32_e64 v9, null, 0, v9, vcc_lo
	v_lshrrev_b32_e32 v10, v11, v10
; %bb.924:                              ;   in Loop: Header=BB2_352 Depth=4
	s_andn2_saveexec_b32 s17, s17
	s_cbranch_execz .LBB2_349
; %bb.925:                              ;   in Loop: Header=BB2_352 Depth=4
	v_bfe_u32 v9, v10, 23, 1
	s_branch .LBB2_349
.LBB2_926:                              ;   in Loop: Header=BB2_352 Depth=4
	s_or_saveexec_b32 s73, s73
	v_mov_b32_e32 v63, 0x7f800001
	s_xor_b32 exec_lo, exec_lo, s73
	s_cbranch_execz .LBB2_357
.LBB2_927:                              ;   in Loop: Header=BB2_352 Depth=4
	v_cmp_ne_u16_sdwa s74, v12, v2 src0_sel:BYTE_0 src1_sel:DWORD
	v_mov_b32_e32 v63, 0
	s_andn2_b32 s17, s17, exec_lo
	s_and_b32 s74, s74, exec_lo
	s_or_b32 s17, s17, s74
	s_or_b32 exec_lo, exec_lo, s73
	s_and_saveexec_b32 s73, s17
	s_cbranch_execnz .LBB2_358
	s_branch .LBB2_359
.LBB2_928:                              ;   in Loop: Header=BB2_352 Depth=4
	s_or_saveexec_b32 s73, s73
	v_mov_b32_e32 v72, 0x7f800001
	s_xor_b32 exec_lo, exec_lo, s73
	s_cbranch_execz .LBB2_363
.LBB2_929:                              ;   in Loop: Header=BB2_352 Depth=4
	v_cmp_ne_u16_sdwa s74, v8, v2 src0_sel:BYTE_0 src1_sel:DWORD
	v_mov_b32_e32 v72, 0
	s_andn2_b32 s17, s17, exec_lo
	s_and_b32 s74, s74, exec_lo
	s_or_b32 s17, s17, s74
	s_or_b32 exec_lo, exec_lo, s73
	s_and_saveexec_b32 s73, s17
	s_cbranch_execnz .LBB2_364
	s_branch .LBB2_365
.LBB2_930:                              ;   in Loop: Header=BB2_352 Depth=4
	s_or_saveexec_b32 s73, s73
	v_mov_b32_e32 v63, 0x7f800001
	s_xor_b32 exec_lo, exec_lo, s73
	s_cbranch_execz .LBB2_371
.LBB2_931:                              ;   in Loop: Header=BB2_352 Depth=4
	v_cmp_ne_u16_sdwa s74, v12, v2 src0_sel:BYTE_0 src1_sel:DWORD
	v_mov_b32_e32 v63, 0
	s_andn2_b32 s17, s17, exec_lo
	s_and_b32 s74, s74, exec_lo
	s_or_b32 s17, s17, s74
	s_or_b32 exec_lo, exec_lo, s73
	s_and_saveexec_b32 s73, s17
	s_cbranch_execnz .LBB2_372
	s_branch .LBB2_373
.LBB2_932:                              ;   in Loop: Header=BB2_352 Depth=4
	s_or_saveexec_b32 s73, s73
	v_mov_b32_e32 v72, 0x7f800001
	s_xor_b32 exec_lo, exec_lo, s73
	s_cbranch_execz .LBB2_377
.LBB2_933:                              ;   in Loop: Header=BB2_352 Depth=4
	v_cmp_ne_u16_sdwa s74, v8, v2 src0_sel:BYTE_0 src1_sel:DWORD
	v_mov_b32_e32 v72, 0
	s_andn2_b32 s17, s17, exec_lo
	s_and_b32 s74, s74, exec_lo
	s_or_b32 s17, s17, s74
	s_or_b32 exec_lo, exec_lo, s73
	s_and_saveexec_b32 s73, s17
	s_cbranch_execnz .LBB2_378
	s_branch .LBB2_379
.LBB2_934:                              ;   in Loop: Header=BB2_352 Depth=4
	s_or_saveexec_b32 s73, s73
	v_mov_b32_e32 v72, 0x7f800001
	s_xor_b32 exec_lo, exec_lo, s73
	s_cbranch_execz .LBB2_393
.LBB2_935:                              ;   in Loop: Header=BB2_352 Depth=4
	v_cmp_ne_u16_sdwa s74, v12, v2 src0_sel:BYTE_1 src1_sel:DWORD
	v_mov_b32_e32 v72, 0
	s_andn2_b32 s17, s17, exec_lo
	s_and_b32 s74, s74, exec_lo
	s_or_b32 s17, s17, s74
	s_or_b32 exec_lo, exec_lo, s73
	s_and_saveexec_b32 s73, s17
	s_cbranch_execnz .LBB2_394
	s_branch .LBB2_395
.LBB2_936:                              ;   in Loop: Header=BB2_352 Depth=4
	s_or_saveexec_b32 s73, s73
	v_mov_b32_e32 v73, 0x7f800001
	s_xor_b32 exec_lo, exec_lo, s73
	s_cbranch_execz .LBB2_399
.LBB2_937:                              ;   in Loop: Header=BB2_352 Depth=4
	v_cmp_ne_u16_sdwa s74, v8, v2 src0_sel:BYTE_1 src1_sel:DWORD
	v_mov_b32_e32 v73, 0
	s_andn2_b32 s17, s17, exec_lo
	s_and_b32 s74, s74, exec_lo
	s_or_b32 s17, s17, s74
	s_or_b32 exec_lo, exec_lo, s73
	s_and_saveexec_b32 s73, s17
	s_cbranch_execnz .LBB2_400
	s_branch .LBB2_401
.LBB2_938:                              ;   in Loop: Header=BB2_352 Depth=4
	s_or_saveexec_b32 s73, s73
	v_mov_b32_e32 v72, 0x7f800001
	s_xor_b32 exec_lo, exec_lo, s73
	s_cbranch_execz .LBB2_407
.LBB2_939:                              ;   in Loop: Header=BB2_352 Depth=4
	v_cmp_ne_u16_sdwa s74, v12, v2 src0_sel:BYTE_1 src1_sel:DWORD
	v_mov_b32_e32 v72, 0
	s_andn2_b32 s17, s17, exec_lo
	s_and_b32 s74, s74, exec_lo
	s_or_b32 s17, s17, s74
	s_or_b32 exec_lo, exec_lo, s73
	s_and_saveexec_b32 s73, s17
	s_cbranch_execnz .LBB2_408
	s_branch .LBB2_409
.LBB2_940:                              ;   in Loop: Header=BB2_352 Depth=4
	s_or_saveexec_b32 s73, s73
	v_mov_b32_e32 v73, 0x7f800001
	s_xor_b32 exec_lo, exec_lo, s73
	s_cbranch_execz .LBB2_413
.LBB2_941:                              ;   in Loop: Header=BB2_352 Depth=4
	v_cmp_ne_u16_sdwa s74, v8, v2 src0_sel:BYTE_1 src1_sel:DWORD
	v_mov_b32_e32 v73, 0
	s_andn2_b32 s17, s17, exec_lo
	s_and_b32 s74, s74, exec_lo
	s_or_b32 s17, s17, s74
	s_or_b32 exec_lo, exec_lo, s73
	s_and_saveexec_b32 s73, s17
	s_cbranch_execnz .LBB2_414
	s_branch .LBB2_415
.LBB2_942:                              ;   in Loop: Header=BB2_352 Depth=4
	s_or_saveexec_b32 s73, s73
	v_mov_b32_e32 v73, 0x7f800001
	s_xor_b32 exec_lo, exec_lo, s73
	s_cbranch_execz .LBB2_429
.LBB2_943:                              ;   in Loop: Header=BB2_352 Depth=4
	v_cmp_ne_u16_e32 vcc_lo, 0, v74
	v_mov_b32_e32 v73, 0
	s_andn2_b32 s17, s17, exec_lo
	s_and_b32 s74, vcc_lo, exec_lo
	s_or_b32 s17, s17, s74
	s_or_b32 exec_lo, exec_lo, s73
	s_and_saveexec_b32 s73, s17
	s_cbranch_execnz .LBB2_430
	s_branch .LBB2_431
.LBB2_944:                              ;   in Loop: Header=BB2_352 Depth=4
	s_or_saveexec_b32 s73, s73
	v_mov_b32_e32 v74, 0x7f800001
	s_xor_b32 exec_lo, exec_lo, s73
	s_cbranch_execz .LBB2_435
.LBB2_945:                              ;   in Loop: Header=BB2_352 Depth=4
	v_cmp_ne_u16_e32 vcc_lo, 0, v75
	v_mov_b32_e32 v74, 0
	s_andn2_b32 s17, s17, exec_lo
	s_and_b32 s74, vcc_lo, exec_lo
	s_or_b32 s17, s17, s74
	s_or_b32 exec_lo, exec_lo, s73
	s_and_saveexec_b32 s73, s17
	s_cbranch_execnz .LBB2_436
	s_branch .LBB2_437
.LBB2_946:                              ;   in Loop: Header=BB2_352 Depth=4
	s_or_saveexec_b32 s73, s73
	v_mov_b32_e32 v73, 0x7f800001
	s_xor_b32 exec_lo, exec_lo, s73
	s_cbranch_execz .LBB2_443
.LBB2_947:                              ;   in Loop: Header=BB2_352 Depth=4
	v_cmp_ne_u16_e32 vcc_lo, 0, v74
	v_mov_b32_e32 v73, 0
	s_andn2_b32 s17, s17, exec_lo
	s_and_b32 s74, vcc_lo, exec_lo
	s_or_b32 s17, s17, s74
	s_or_b32 exec_lo, exec_lo, s73
	s_and_saveexec_b32 s73, s17
	s_cbranch_execnz .LBB2_444
	s_branch .LBB2_445
.LBB2_948:                              ;   in Loop: Header=BB2_352 Depth=4
	s_or_saveexec_b32 s73, s73
	v_mov_b32_e32 v74, 0x7f800001
	s_xor_b32 exec_lo, exec_lo, s73
	s_cbranch_execz .LBB2_449
.LBB2_949:                              ;   in Loop: Header=BB2_352 Depth=4
	v_cmp_ne_u16_e32 vcc_lo, 0, v75
	v_mov_b32_e32 v74, 0
	s_andn2_b32 s17, s17, exec_lo
	s_and_b32 s74, vcc_lo, exec_lo
	s_or_b32 s17, s17, s74
	s_or_b32 exec_lo, exec_lo, s73
	s_and_saveexec_b32 s73, s17
	s_cbranch_execnz .LBB2_450
	s_branch .LBB2_451
.LBB2_950:                              ;   in Loop: Header=BB2_352 Depth=4
	s_or_saveexec_b32 s73, s73
	v_mov_b32_e32 v74, 0x7f800001
	s_xor_b32 exec_lo, exec_lo, s73
	s_cbranch_execz .LBB2_465
.LBB2_951:                              ;   in Loop: Header=BB2_352 Depth=4
	v_cmp_ne_u16_sdwa s74, v12, v2 src0_sel:BYTE_3 src1_sel:DWORD
	v_mov_b32_e32 v74, 0
	s_andn2_b32 s17, s17, exec_lo
	s_and_b32 s74, s74, exec_lo
	s_or_b32 s17, s17, s74
	s_or_b32 exec_lo, exec_lo, s73
	s_and_saveexec_b32 s73, s17
	s_cbranch_execnz .LBB2_466
	s_branch .LBB2_467
.LBB2_952:                              ;   in Loop: Header=BB2_352 Depth=4
	s_or_saveexec_b32 s73, s73
	v_mov_b32_e32 v75, 0x7f800001
	s_xor_b32 exec_lo, exec_lo, s73
	s_cbranch_execz .LBB2_471
.LBB2_953:                              ;   in Loop: Header=BB2_352 Depth=4
	v_cmp_ne_u16_sdwa s74, v8, v2 src0_sel:BYTE_3 src1_sel:DWORD
	v_mov_b32_e32 v75, 0
	s_andn2_b32 s17, s17, exec_lo
	s_and_b32 s74, s74, exec_lo
	s_or_b32 s17, s17, s74
	s_or_b32 exec_lo, exec_lo, s73
	s_and_saveexec_b32 s73, s17
	s_cbranch_execnz .LBB2_472
	s_branch .LBB2_473
.LBB2_954:                              ;   in Loop: Header=BB2_352 Depth=4
	s_or_saveexec_b32 s73, s73
	v_mov_b32_e32 v74, 0x7f800001
	s_xor_b32 exec_lo, exec_lo, s73
	s_cbranch_execz .LBB2_479
.LBB2_955:                              ;   in Loop: Header=BB2_352 Depth=4
	v_cmp_ne_u16_sdwa s74, v12, v2 src0_sel:BYTE_3 src1_sel:DWORD
	v_mov_b32_e32 v74, 0
	s_andn2_b32 s17, s17, exec_lo
	s_and_b32 s74, s74, exec_lo
	s_or_b32 s17, s17, s74
	s_or_b32 exec_lo, exec_lo, s73
	s_and_saveexec_b32 s73, s17
	s_cbranch_execnz .LBB2_480
	s_branch .LBB2_481
.LBB2_956:                              ;   in Loop: Header=BB2_352 Depth=4
	s_or_saveexec_b32 s73, s73
	v_mov_b32_e32 v12, 0x7f800001
	s_xor_b32 exec_lo, exec_lo, s73
	s_cbranch_execz .LBB2_485
.LBB2_957:                              ;   in Loop: Header=BB2_352 Depth=4
	v_cmp_ne_u16_sdwa s74, v8, v2 src0_sel:BYTE_3 src1_sel:DWORD
	v_mov_b32_e32 v12, 0
	s_andn2_b32 s17, s17, exec_lo
	s_and_b32 s74, s74, exec_lo
	s_or_b32 s17, s17, s74
	s_or_b32 exec_lo, exec_lo, s73
	s_and_saveexec_b32 s73, s17
	s_cbranch_execnz .LBB2_486
	s_branch .LBB2_487
.LBB2_958:                              ;   in Loop: Header=BB2_352 Depth=4
	s_or_saveexec_b32 s73, s73
	v_mov_b32_e32 v73, 0x7f800001
	s_xor_b32 exec_lo, exec_lo, s73
	s_cbranch_execz .LBB2_501
.LBB2_959:                              ;   in Loop: Header=BB2_352 Depth=4
	v_cmp_ne_u16_sdwa s74, v13, v2 src0_sel:BYTE_0 src1_sel:DWORD
	v_mov_b32_e32 v73, 0
	s_andn2_b32 s17, s17, exec_lo
	s_and_b32 s74, s74, exec_lo
	s_or_b32 s17, s17, s74
	s_or_b32 exec_lo, exec_lo, s73
	s_and_saveexec_b32 s73, s17
	s_cbranch_execnz .LBB2_502
	s_branch .LBB2_503
.LBB2_960:                              ;   in Loop: Header=BB2_352 Depth=4
	s_or_saveexec_b32 s73, s73
	v_mov_b32_e32 v74, 0x7f800001
	s_xor_b32 exec_lo, exec_lo, s73
	s_cbranch_execz .LBB2_507
.LBB2_961:                              ;   in Loop: Header=BB2_352 Depth=4
	v_cmp_ne_u16_sdwa s74, v9, v2 src0_sel:BYTE_0 src1_sel:DWORD
	v_mov_b32_e32 v74, 0
	s_andn2_b32 s17, s17, exec_lo
	s_and_b32 s74, s74, exec_lo
	s_or_b32 s17, s17, s74
	s_or_b32 exec_lo, exec_lo, s73
	s_and_saveexec_b32 s73, s17
	s_cbranch_execnz .LBB2_508
	s_branch .LBB2_509
.LBB2_962:                              ;   in Loop: Header=BB2_352 Depth=4
	s_or_saveexec_b32 s73, s73
	v_mov_b32_e32 v73, 0x7f800001
	s_xor_b32 exec_lo, exec_lo, s73
	s_cbranch_execz .LBB2_515
.LBB2_963:                              ;   in Loop: Header=BB2_352 Depth=4
	v_cmp_ne_u16_sdwa s74, v13, v2 src0_sel:BYTE_0 src1_sel:DWORD
	v_mov_b32_e32 v73, 0
	s_andn2_b32 s17, s17, exec_lo
	s_and_b32 s74, s74, exec_lo
	s_or_b32 s17, s17, s74
	s_or_b32 exec_lo, exec_lo, s73
	s_and_saveexec_b32 s73, s17
	s_cbranch_execnz .LBB2_516
	s_branch .LBB2_517
.LBB2_964:                              ;   in Loop: Header=BB2_352 Depth=4
	s_or_saveexec_b32 s73, s73
	v_mov_b32_e32 v74, 0x7f800001
	s_xor_b32 exec_lo, exec_lo, s73
	s_cbranch_execz .LBB2_521
.LBB2_965:                              ;   in Loop: Header=BB2_352 Depth=4
	v_cmp_ne_u16_sdwa s74, v9, v2 src0_sel:BYTE_0 src1_sel:DWORD
	v_mov_b32_e32 v74, 0
	s_andn2_b32 s17, s17, exec_lo
	s_and_b32 s74, s74, exec_lo
	s_or_b32 s17, s17, s74
	s_or_b32 exec_lo, exec_lo, s73
	s_and_saveexec_b32 s73, s17
	s_cbranch_execnz .LBB2_522
	s_branch .LBB2_523
.LBB2_966:                              ;   in Loop: Header=BB2_352 Depth=4
	s_or_saveexec_b32 s73, s73
	v_mov_b32_e32 v74, 0x7f800001
	s_xor_b32 exec_lo, exec_lo, s73
	s_cbranch_execz .LBB2_537
.LBB2_967:                              ;   in Loop: Header=BB2_352 Depth=4
	v_cmp_ne_u16_sdwa s74, v13, v2 src0_sel:BYTE_1 src1_sel:DWORD
	v_mov_b32_e32 v74, 0
	s_andn2_b32 s17, s17, exec_lo
	s_and_b32 s74, s74, exec_lo
	s_or_b32 s17, s17, s74
	s_or_b32 exec_lo, exec_lo, s73
	s_and_saveexec_b32 s73, s17
	s_cbranch_execnz .LBB2_538
	s_branch .LBB2_539
.LBB2_968:                              ;   in Loop: Header=BB2_352 Depth=4
	s_or_saveexec_b32 s73, s73
	v_mov_b32_e32 v75, 0x7f800001
	s_xor_b32 exec_lo, exec_lo, s73
	s_cbranch_execz .LBB2_543
.LBB2_969:                              ;   in Loop: Header=BB2_352 Depth=4
	v_cmp_ne_u16_sdwa s74, v9, v2 src0_sel:BYTE_1 src1_sel:DWORD
	v_mov_b32_e32 v75, 0
	s_andn2_b32 s17, s17, exec_lo
	s_and_b32 s74, s74, exec_lo
	s_or_b32 s17, s17, s74
	s_or_b32 exec_lo, exec_lo, s73
	s_and_saveexec_b32 s73, s17
	s_cbranch_execnz .LBB2_544
	s_branch .LBB2_545
.LBB2_970:                              ;   in Loop: Header=BB2_352 Depth=4
	s_or_saveexec_b32 s73, s73
	v_mov_b32_e32 v74, 0x7f800001
	s_xor_b32 exec_lo, exec_lo, s73
	s_cbranch_execz .LBB2_551
.LBB2_971:                              ;   in Loop: Header=BB2_352 Depth=4
	v_cmp_ne_u16_sdwa s74, v13, v2 src0_sel:BYTE_1 src1_sel:DWORD
	v_mov_b32_e32 v74, 0
	s_andn2_b32 s17, s17, exec_lo
	s_and_b32 s74, s74, exec_lo
	s_or_b32 s17, s17, s74
	s_or_b32 exec_lo, exec_lo, s73
	s_and_saveexec_b32 s73, s17
	s_cbranch_execnz .LBB2_552
	s_branch .LBB2_553
.LBB2_972:                              ;   in Loop: Header=BB2_352 Depth=4
	s_or_saveexec_b32 s73, s73
	v_mov_b32_e32 v75, 0x7f800001
	s_xor_b32 exec_lo, exec_lo, s73
	s_cbranch_execz .LBB2_557
.LBB2_973:                              ;   in Loop: Header=BB2_352 Depth=4
	v_cmp_ne_u16_sdwa s74, v9, v2 src0_sel:BYTE_1 src1_sel:DWORD
	v_mov_b32_e32 v75, 0
	s_andn2_b32 s17, s17, exec_lo
	s_and_b32 s74, s74, exec_lo
	s_or_b32 s17, s17, s74
	s_or_b32 exec_lo, exec_lo, s73
	s_and_saveexec_b32 s73, s17
	s_cbranch_execnz .LBB2_558
	s_branch .LBB2_559
.LBB2_974:                              ;   in Loop: Header=BB2_352 Depth=4
	s_or_saveexec_b32 s73, s73
	v_mov_b32_e32 v75, 0x7f800001
	s_xor_b32 exec_lo, exec_lo, s73
	s_cbranch_execz .LBB2_573
.LBB2_975:                              ;   in Loop: Header=BB2_352 Depth=4
	v_cmp_ne_u16_e32 vcc_lo, 0, v76
	v_mov_b32_e32 v75, 0
	s_andn2_b32 s17, s17, exec_lo
	s_and_b32 s74, vcc_lo, exec_lo
	s_or_b32 s17, s17, s74
	s_or_b32 exec_lo, exec_lo, s73
	s_and_saveexec_b32 s73, s17
	s_cbranch_execnz .LBB2_574
	s_branch .LBB2_575
.LBB2_976:                              ;   in Loop: Header=BB2_352 Depth=4
	s_or_saveexec_b32 s73, s73
	v_mov_b32_e32 v76, 0x7f800001
	s_xor_b32 exec_lo, exec_lo, s73
	s_cbranch_execz .LBB2_579
.LBB2_977:                              ;   in Loop: Header=BB2_352 Depth=4
	v_cmp_ne_u16_e32 vcc_lo, 0, v77
	v_mov_b32_e32 v76, 0
	s_andn2_b32 s17, s17, exec_lo
	s_and_b32 s74, vcc_lo, exec_lo
	s_or_b32 s17, s17, s74
	s_or_b32 exec_lo, exec_lo, s73
	s_and_saveexec_b32 s73, s17
	s_cbranch_execnz .LBB2_580
	s_branch .LBB2_581
.LBB2_978:                              ;   in Loop: Header=BB2_352 Depth=4
	s_or_saveexec_b32 s73, s73
	v_mov_b32_e32 v75, 0x7f800001
	s_xor_b32 exec_lo, exec_lo, s73
	s_cbranch_execz .LBB2_587
.LBB2_979:                              ;   in Loop: Header=BB2_352 Depth=4
	v_cmp_ne_u16_e32 vcc_lo, 0, v76
	v_mov_b32_e32 v75, 0
	s_andn2_b32 s17, s17, exec_lo
	s_and_b32 s74, vcc_lo, exec_lo
	s_or_b32 s17, s17, s74
	s_or_b32 exec_lo, exec_lo, s73
	s_and_saveexec_b32 s73, s17
	s_cbranch_execnz .LBB2_588
	s_branch .LBB2_589
.LBB2_980:                              ;   in Loop: Header=BB2_352 Depth=4
	s_or_saveexec_b32 s73, s73
	v_mov_b32_e32 v76, 0x7f800001
	s_xor_b32 exec_lo, exec_lo, s73
	s_cbranch_execz .LBB2_593
.LBB2_981:                              ;   in Loop: Header=BB2_352 Depth=4
	v_cmp_ne_u16_e32 vcc_lo, 0, v77
	v_mov_b32_e32 v76, 0
	s_andn2_b32 s17, s17, exec_lo
	s_and_b32 s74, vcc_lo, exec_lo
	s_or_b32 s17, s17, s74
	s_or_b32 exec_lo, exec_lo, s73
	s_and_saveexec_b32 s73, s17
	s_cbranch_execnz .LBB2_594
	s_branch .LBB2_595
.LBB2_982:                              ;   in Loop: Header=BB2_352 Depth=4
	s_or_saveexec_b32 s73, s73
	v_mov_b32_e32 v76, 0x7f800001
	s_xor_b32 exec_lo, exec_lo, s73
	s_cbranch_execz .LBB2_609
.LBB2_983:                              ;   in Loop: Header=BB2_352 Depth=4
	v_cmp_ne_u16_sdwa s74, v13, v2 src0_sel:BYTE_3 src1_sel:DWORD
	v_mov_b32_e32 v76, 0
	s_andn2_b32 s17, s17, exec_lo
	s_and_b32 s74, s74, exec_lo
	s_or_b32 s17, s17, s74
	s_or_b32 exec_lo, exec_lo, s73
	s_and_saveexec_b32 s73, s17
	s_cbranch_execnz .LBB2_610
	s_branch .LBB2_611
.LBB2_984:                              ;   in Loop: Header=BB2_352 Depth=4
	s_or_saveexec_b32 s73, s73
	v_mov_b32_e32 v77, 0x7f800001
	s_xor_b32 exec_lo, exec_lo, s73
	s_cbranch_execz .LBB2_615
.LBB2_985:                              ;   in Loop: Header=BB2_352 Depth=4
	v_cmp_ne_u16_sdwa s74, v9, v2 src0_sel:BYTE_3 src1_sel:DWORD
	v_mov_b32_e32 v77, 0
	s_andn2_b32 s17, s17, exec_lo
	s_and_b32 s74, s74, exec_lo
	s_or_b32 s17, s17, s74
	s_or_b32 exec_lo, exec_lo, s73
	s_and_saveexec_b32 s73, s17
	s_cbranch_execnz .LBB2_616
	s_branch .LBB2_617
.LBB2_986:                              ;   in Loop: Header=BB2_352 Depth=4
	s_or_saveexec_b32 s73, s73
	v_mov_b32_e32 v76, 0x7f800001
	s_xor_b32 exec_lo, exec_lo, s73
	s_cbranch_execz .LBB2_623
.LBB2_987:                              ;   in Loop: Header=BB2_352 Depth=4
	v_cmp_ne_u16_sdwa s74, v13, v2 src0_sel:BYTE_3 src1_sel:DWORD
	v_mov_b32_e32 v76, 0
	s_andn2_b32 s17, s17, exec_lo
	s_and_b32 s74, s74, exec_lo
	s_or_b32 s17, s17, s74
	s_or_b32 exec_lo, exec_lo, s73
	s_and_saveexec_b32 s73, s17
	s_cbranch_execnz .LBB2_624
	s_branch .LBB2_625
.LBB2_988:                              ;   in Loop: Header=BB2_352 Depth=4
	s_or_saveexec_b32 s73, s73
	v_mov_b32_e32 v13, 0x7f800001
	s_xor_b32 exec_lo, exec_lo, s73
	s_cbranch_execz .LBB2_629
.LBB2_989:                              ;   in Loop: Header=BB2_352 Depth=4
	v_cmp_ne_u16_sdwa s74, v9, v2 src0_sel:BYTE_3 src1_sel:DWORD
	v_mov_b32_e32 v13, 0
	s_andn2_b32 s17, s17, exec_lo
	s_and_b32 s74, s74, exec_lo
	s_or_b32 s17, s17, s74
	s_or_b32 exec_lo, exec_lo, s73
	s_and_saveexec_b32 s73, s17
	s_cbranch_execnz .LBB2_630
	s_branch .LBB2_631
.LBB2_990:                              ;   in Loop: Header=BB2_352 Depth=4
	s_or_saveexec_b32 s73, s73
	v_mov_b32_e32 v9, 0x7f800001
	s_xor_b32 exec_lo, exec_lo, s73
	s_cbranch_execz .LBB2_645
.LBB2_991:                              ;   in Loop: Header=BB2_352 Depth=4
	v_cmp_ne_u16_sdwa s74, v14, v2 src0_sel:BYTE_0 src1_sel:DWORD
	v_mov_b32_e32 v9, 0
	s_andn2_b32 s17, s17, exec_lo
	s_and_b32 s74, s74, exec_lo
	s_or_b32 s17, s17, s74
	s_or_b32 exec_lo, exec_lo, s73
	s_and_saveexec_b32 s73, s17
	s_cbranch_execnz .LBB2_646
	s_branch .LBB2_647
.LBB2_992:                              ;   in Loop: Header=BB2_352 Depth=4
	s_or_saveexec_b32 s73, s73
	v_mov_b32_e32 v76, 0x7f800001
	s_xor_b32 exec_lo, exec_lo, s73
	s_cbranch_execz .LBB2_651
.LBB2_993:                              ;   in Loop: Header=BB2_352 Depth=4
	v_cmp_ne_u16_sdwa s74, v10, v2 src0_sel:BYTE_0 src1_sel:DWORD
	v_mov_b32_e32 v76, 0
	s_andn2_b32 s17, s17, exec_lo
	s_and_b32 s74, s74, exec_lo
	s_or_b32 s17, s17, s74
	s_or_b32 exec_lo, exec_lo, s73
	s_and_saveexec_b32 s73, s17
	s_cbranch_execnz .LBB2_652
	s_branch .LBB2_653
.LBB2_994:                              ;   in Loop: Header=BB2_352 Depth=4
	s_or_saveexec_b32 s73, s73
	v_mov_b32_e32 v9, 0x7f800001
	s_xor_b32 exec_lo, exec_lo, s73
	s_cbranch_execz .LBB2_659
.LBB2_995:                              ;   in Loop: Header=BB2_352 Depth=4
	v_cmp_ne_u16_sdwa s74, v14, v2 src0_sel:BYTE_0 src1_sel:DWORD
	v_mov_b32_e32 v9, 0
	s_andn2_b32 s17, s17, exec_lo
	s_and_b32 s74, s74, exec_lo
	s_or_b32 s17, s17, s74
	s_or_b32 exec_lo, exec_lo, s73
	s_and_saveexec_b32 s73, s17
	s_cbranch_execnz .LBB2_660
	s_branch .LBB2_661
.LBB2_996:                              ;   in Loop: Header=BB2_352 Depth=4
	s_or_saveexec_b32 s73, s73
	v_mov_b32_e32 v76, 0x7f800001
	s_xor_b32 exec_lo, exec_lo, s73
	s_cbranch_execz .LBB2_665
.LBB2_997:                              ;   in Loop: Header=BB2_352 Depth=4
	v_cmp_ne_u16_sdwa s74, v10, v2 src0_sel:BYTE_0 src1_sel:DWORD
	v_mov_b32_e32 v76, 0
	s_andn2_b32 s17, s17, exec_lo
	s_and_b32 s74, s74, exec_lo
	s_or_b32 s17, s17, s74
	s_or_b32 exec_lo, exec_lo, s73
	s_and_saveexec_b32 s73, s17
	s_cbranch_execnz .LBB2_666
	s_branch .LBB2_667
.LBB2_998:                              ;   in Loop: Header=BB2_352 Depth=4
	s_or_saveexec_b32 s73, s73
	v_mov_b32_e32 v9, 0x7f800001
	s_xor_b32 exec_lo, exec_lo, s73
	s_cbranch_execz .LBB2_681
.LBB2_999:                              ;   in Loop: Header=BB2_352 Depth=4
	v_cmp_ne_u16_sdwa s74, v14, v2 src0_sel:BYTE_1 src1_sel:DWORD
	v_mov_b32_e32 v9, 0
	s_andn2_b32 s17, s17, exec_lo
	s_and_b32 s74, s74, exec_lo
	s_or_b32 s17, s17, s74
	s_or_b32 exec_lo, exec_lo, s73
	s_and_saveexec_b32 s73, s17
	s_cbranch_execnz .LBB2_682
	s_branch .LBB2_683
.LBB2_1000:                             ;   in Loop: Header=BB2_352 Depth=4
	s_or_saveexec_b32 s73, s73
	v_mov_b32_e32 v77, 0x7f800001
	s_xor_b32 exec_lo, exec_lo, s73
	s_cbranch_execz .LBB2_687
.LBB2_1001:                             ;   in Loop: Header=BB2_352 Depth=4
	v_cmp_ne_u16_sdwa s74, v10, v2 src0_sel:BYTE_1 src1_sel:DWORD
	v_mov_b32_e32 v77, 0
	s_andn2_b32 s17, s17, exec_lo
	s_and_b32 s74, s74, exec_lo
	s_or_b32 s17, s17, s74
	s_or_b32 exec_lo, exec_lo, s73
	s_and_saveexec_b32 s73, s17
	s_cbranch_execnz .LBB2_688
	s_branch .LBB2_689
.LBB2_1002:                             ;   in Loop: Header=BB2_352 Depth=4
	s_or_saveexec_b32 s73, s73
	v_mov_b32_e32 v9, 0x7f800001
	s_xor_b32 exec_lo, exec_lo, s73
	s_cbranch_execz .LBB2_695
.LBB2_1003:                             ;   in Loop: Header=BB2_352 Depth=4
	v_cmp_ne_u16_sdwa s74, v14, v2 src0_sel:BYTE_1 src1_sel:DWORD
	v_mov_b32_e32 v9, 0
	s_andn2_b32 s17, s17, exec_lo
	s_and_b32 s74, s74, exec_lo
	s_or_b32 s17, s17, s74
	s_or_b32 exec_lo, exec_lo, s73
	s_and_saveexec_b32 s73, s17
	s_cbranch_execnz .LBB2_696
	s_branch .LBB2_697
.LBB2_1004:                             ;   in Loop: Header=BB2_352 Depth=4
	s_or_saveexec_b32 s73, s73
	v_mov_b32_e32 v77, 0x7f800001
	s_xor_b32 exec_lo, exec_lo, s73
	s_cbranch_execz .LBB2_701
.LBB2_1005:                             ;   in Loop: Header=BB2_352 Depth=4
	v_cmp_ne_u16_sdwa s74, v10, v2 src0_sel:BYTE_1 src1_sel:DWORD
	v_mov_b32_e32 v77, 0
	s_andn2_b32 s17, s17, exec_lo
	s_and_b32 s74, s74, exec_lo
	s_or_b32 s17, s17, s74
	s_or_b32 exec_lo, exec_lo, s73
	s_and_saveexec_b32 s73, s17
	s_cbranch_execnz .LBB2_702
	s_branch .LBB2_703
.LBB2_1006:                             ;   in Loop: Header=BB2_352 Depth=4
	s_or_saveexec_b32 s73, s73
	v_mov_b32_e32 v9, 0x7f800001
	s_xor_b32 exec_lo, exec_lo, s73
	s_cbranch_execz .LBB2_717
.LBB2_1007:                             ;   in Loop: Header=BB2_352 Depth=4
	v_cmp_ne_u16_e32 vcc_lo, 0, v78
	v_mov_b32_e32 v9, 0
	s_andn2_b32 s17, s17, exec_lo
	s_and_b32 s74, vcc_lo, exec_lo
	s_or_b32 s17, s17, s74
	s_or_b32 exec_lo, exec_lo, s73
	s_and_saveexec_b32 s73, s17
	s_cbranch_execnz .LBB2_718
	s_branch .LBB2_719
.LBB2_1008:                             ;   in Loop: Header=BB2_352 Depth=4
	s_or_saveexec_b32 s73, s73
	v_mov_b32_e32 v78, 0x7f800001
	s_xor_b32 exec_lo, exec_lo, s73
	s_cbranch_execz .LBB2_723
.LBB2_1009:                             ;   in Loop: Header=BB2_352 Depth=4
	v_cmp_ne_u16_e32 vcc_lo, 0, v79
	v_mov_b32_e32 v78, 0
	s_andn2_b32 s17, s17, exec_lo
	s_and_b32 s74, vcc_lo, exec_lo
	s_or_b32 s17, s17, s74
	s_or_b32 exec_lo, exec_lo, s73
	s_and_saveexec_b32 s73, s17
	s_cbranch_execnz .LBB2_724
	s_branch .LBB2_725
.LBB2_1010:                             ;   in Loop: Header=BB2_352 Depth=4
	s_or_saveexec_b32 s73, s73
	v_mov_b32_e32 v9, 0x7f800001
	s_xor_b32 exec_lo, exec_lo, s73
	s_cbranch_execz .LBB2_731
.LBB2_1011:                             ;   in Loop: Header=BB2_352 Depth=4
	v_cmp_ne_u16_e32 vcc_lo, 0, v78
	v_mov_b32_e32 v9, 0
	s_andn2_b32 s17, s17, exec_lo
	s_and_b32 s74, vcc_lo, exec_lo
	s_or_b32 s17, s17, s74
	s_or_b32 exec_lo, exec_lo, s73
	s_and_saveexec_b32 s73, s17
	s_cbranch_execnz .LBB2_732
	s_branch .LBB2_733
.LBB2_1012:                             ;   in Loop: Header=BB2_352 Depth=4
	s_or_saveexec_b32 s73, s73
	v_mov_b32_e32 v78, 0x7f800001
	s_xor_b32 exec_lo, exec_lo, s73
	s_cbranch_execz .LBB2_737
.LBB2_1013:                             ;   in Loop: Header=BB2_352 Depth=4
	v_cmp_ne_u16_e32 vcc_lo, 0, v79
	v_mov_b32_e32 v78, 0
	s_andn2_b32 s17, s17, exec_lo
	s_and_b32 s74, vcc_lo, exec_lo
	s_or_b32 s17, s17, s74
	s_or_b32 exec_lo, exec_lo, s73
	s_and_saveexec_b32 s73, s17
	s_cbranch_execnz .LBB2_738
	s_branch .LBB2_739
.LBB2_1014:                             ;   in Loop: Header=BB2_352 Depth=4
	s_or_saveexec_b32 s73, s73
	v_mov_b32_e32 v9, 0x7f800001
	s_xor_b32 exec_lo, exec_lo, s73
	s_cbranch_execz .LBB2_753
.LBB2_1015:                             ;   in Loop: Header=BB2_352 Depth=4
	v_cmp_ne_u16_sdwa s74, v14, v2 src0_sel:BYTE_3 src1_sel:DWORD
	v_mov_b32_e32 v9, 0
	s_andn2_b32 s17, s17, exec_lo
	s_and_b32 s74, s74, exec_lo
	s_or_b32 s17, s17, s74
	s_or_b32 exec_lo, exec_lo, s73
	s_and_saveexec_b32 s73, s17
	s_cbranch_execnz .LBB2_754
	s_branch .LBB2_755
.LBB2_1016:                             ;   in Loop: Header=BB2_352 Depth=4
	s_or_saveexec_b32 s73, s73
	v_mov_b32_e32 v79, 0x7f800001
	s_xor_b32 exec_lo, exec_lo, s73
	s_cbranch_execz .LBB2_759
.LBB2_1017:                             ;   in Loop: Header=BB2_352 Depth=4
	v_cmp_ne_u16_sdwa s74, v10, v2 src0_sel:BYTE_3 src1_sel:DWORD
	v_mov_b32_e32 v79, 0
	s_andn2_b32 s17, s17, exec_lo
	s_and_b32 s74, s74, exec_lo
	s_or_b32 s17, s17, s74
	s_or_b32 exec_lo, exec_lo, s73
	s_and_saveexec_b32 s73, s17
	s_cbranch_execnz .LBB2_760
	s_branch .LBB2_761
.LBB2_1018:                             ;   in Loop: Header=BB2_352 Depth=4
	s_or_saveexec_b32 s73, s73
	v_mov_b32_e32 v9, 0x7f800001
	s_xor_b32 exec_lo, exec_lo, s73
	s_cbranch_execz .LBB2_767
.LBB2_1019:                             ;   in Loop: Header=BB2_352 Depth=4
	v_cmp_ne_u16_sdwa s74, v14, v2 src0_sel:BYTE_3 src1_sel:DWORD
	v_mov_b32_e32 v9, 0
	s_andn2_b32 s17, s17, exec_lo
	s_and_b32 s74, s74, exec_lo
	s_or_b32 s17, s17, s74
	s_or_b32 exec_lo, exec_lo, s73
	s_and_saveexec_b32 s73, s17
	s_cbranch_execnz .LBB2_768
	s_branch .LBB2_769
.LBB2_1020:                             ;   in Loop: Header=BB2_352 Depth=4
	s_or_saveexec_b32 s73, s73
	v_mov_b32_e32 v14, 0x7f800001
	s_xor_b32 exec_lo, exec_lo, s73
	s_cbranch_execz .LBB2_773
.LBB2_1021:                             ;   in Loop: Header=BB2_352 Depth=4
	v_cmp_ne_u16_sdwa s74, v10, v2 src0_sel:BYTE_3 src1_sel:DWORD
	v_mov_b32_e32 v14, 0
	s_andn2_b32 s17, s17, exec_lo
	s_and_b32 s74, s74, exec_lo
	s_or_b32 s17, s17, s74
	s_or_b32 exec_lo, exec_lo, s73
	s_and_saveexec_b32 s73, s17
	s_cbranch_execnz .LBB2_774
	s_branch .LBB2_775
.LBB2_1022:                             ;   in Loop: Header=BB2_352 Depth=4
	s_or_saveexec_b32 s73, s73
	v_mov_b32_e32 v9, 0x7f800001
	s_xor_b32 exec_lo, exec_lo, s73
	s_cbranch_execz .LBB2_789
.LBB2_1023:                             ;   in Loop: Header=BB2_352 Depth=4
	v_cmp_ne_u16_sdwa s74, v15, v2 src0_sel:BYTE_0 src1_sel:DWORD
	v_mov_b32_e32 v9, 0
	s_andn2_b32 s17, s17, exec_lo
	s_and_b32 s74, s74, exec_lo
	s_or_b32 s17, s17, s74
	s_or_b32 exec_lo, exec_lo, s73
	s_and_saveexec_b32 s73, s17
	s_cbranch_execnz .LBB2_790
	s_branch .LBB2_791
.LBB2_1024:                             ;   in Loop: Header=BB2_352 Depth=4
	s_or_saveexec_b32 s73, s73
	v_mov_b32_e32 v10, 0x7f800001
	s_xor_b32 exec_lo, exec_lo, s73
	s_cbranch_execz .LBB2_795
.LBB2_1025:                             ;   in Loop: Header=BB2_352 Depth=4
	v_cmp_ne_u16_sdwa s74, v11, v2 src0_sel:BYTE_0 src1_sel:DWORD
	v_mov_b32_e32 v10, 0
	s_andn2_b32 s17, s17, exec_lo
	s_and_b32 s74, s74, exec_lo
	s_or_b32 s17, s17, s74
	s_or_b32 exec_lo, exec_lo, s73
	s_and_saveexec_b32 s73, s17
	s_cbranch_execnz .LBB2_796
	s_branch .LBB2_797
.LBB2_1026:                             ;   in Loop: Header=BB2_352 Depth=4
	s_or_saveexec_b32 s73, s73
	v_mov_b32_e32 v9, 0x7f800001
	s_xor_b32 exec_lo, exec_lo, s73
	s_cbranch_execz .LBB2_803
.LBB2_1027:                             ;   in Loop: Header=BB2_352 Depth=4
	v_cmp_ne_u16_sdwa s74, v15, v2 src0_sel:BYTE_0 src1_sel:DWORD
	v_mov_b32_e32 v9, 0
	s_andn2_b32 s17, s17, exec_lo
	s_and_b32 s74, s74, exec_lo
	s_or_b32 s17, s17, s74
	s_or_b32 exec_lo, exec_lo, s73
	s_and_saveexec_b32 s73, s17
	s_cbranch_execnz .LBB2_804
	s_branch .LBB2_805
.LBB2_1028:                             ;   in Loop: Header=BB2_352 Depth=4
	s_or_saveexec_b32 s73, s73
	v_mov_b32_e32 v10, 0x7f800001
	s_xor_b32 exec_lo, exec_lo, s73
	s_cbranch_execz .LBB2_809
.LBB2_1029:                             ;   in Loop: Header=BB2_352 Depth=4
	v_cmp_ne_u16_sdwa s74, v11, v2 src0_sel:BYTE_0 src1_sel:DWORD
	v_mov_b32_e32 v10, 0
	s_andn2_b32 s17, s17, exec_lo
	s_and_b32 s74, s74, exec_lo
	s_or_b32 s17, s17, s74
	s_or_b32 exec_lo, exec_lo, s73
	s_and_saveexec_b32 s73, s17
	s_cbranch_execnz .LBB2_810
	s_branch .LBB2_811
.LBB2_1030:                             ;   in Loop: Header=BB2_352 Depth=4
	s_or_saveexec_b32 s73, s73
	v_mov_b32_e32 v9, 0x7f800001
	s_xor_b32 exec_lo, exec_lo, s73
	s_cbranch_execz .LBB2_825
.LBB2_1031:                             ;   in Loop: Header=BB2_352 Depth=4
	v_cmp_ne_u16_sdwa s74, v15, v2 src0_sel:BYTE_1 src1_sel:DWORD
	v_mov_b32_e32 v9, 0
	s_andn2_b32 s17, s17, exec_lo
	s_and_b32 s74, s74, exec_lo
	s_or_b32 s17, s17, s74
	s_or_b32 exec_lo, exec_lo, s73
	s_and_saveexec_b32 s73, s17
	s_cbranch_execnz .LBB2_826
	s_branch .LBB2_827
.LBB2_1032:                             ;   in Loop: Header=BB2_352 Depth=4
	s_or_saveexec_b32 s73, s73
	v_mov_b32_e32 v10, 0x7f800001
	s_xor_b32 exec_lo, exec_lo, s73
	s_cbranch_execz .LBB2_831
.LBB2_1033:                             ;   in Loop: Header=BB2_352 Depth=4
	v_cmp_ne_u16_sdwa s74, v11, v2 src0_sel:BYTE_1 src1_sel:DWORD
	v_mov_b32_e32 v10, 0
	s_andn2_b32 s17, s17, exec_lo
	s_and_b32 s74, s74, exec_lo
	s_or_b32 s17, s17, s74
	s_or_b32 exec_lo, exec_lo, s73
	s_and_saveexec_b32 s73, s17
	s_cbranch_execnz .LBB2_832
	s_branch .LBB2_833
.LBB2_1034:                             ;   in Loop: Header=BB2_352 Depth=4
	s_or_saveexec_b32 s73, s73
	v_mov_b32_e32 v9, 0x7f800001
	s_xor_b32 exec_lo, exec_lo, s73
	s_cbranch_execz .LBB2_839
.LBB2_1035:                             ;   in Loop: Header=BB2_352 Depth=4
	v_cmp_ne_u16_sdwa s74, v15, v2 src0_sel:BYTE_1 src1_sel:DWORD
	v_mov_b32_e32 v9, 0
	s_andn2_b32 s17, s17, exec_lo
	s_and_b32 s74, s74, exec_lo
	s_or_b32 s17, s17, s74
	s_or_b32 exec_lo, exec_lo, s73
	s_and_saveexec_b32 s73, s17
	s_cbranch_execnz .LBB2_840
	s_branch .LBB2_841
.LBB2_1036:                             ;   in Loop: Header=BB2_352 Depth=4
	s_or_saveexec_b32 s73, s73
	v_mov_b32_e32 v10, 0x7f800001
	s_xor_b32 exec_lo, exec_lo, s73
	s_cbranch_execz .LBB2_845
.LBB2_1037:                             ;   in Loop: Header=BB2_352 Depth=4
	v_cmp_ne_u16_sdwa s74, v11, v2 src0_sel:BYTE_1 src1_sel:DWORD
	v_mov_b32_e32 v10, 0
	s_andn2_b32 s17, s17, exec_lo
	s_and_b32 s74, s74, exec_lo
	s_or_b32 s17, s17, s74
	s_or_b32 exec_lo, exec_lo, s73
	s_and_saveexec_b32 s73, s17
	s_cbranch_execnz .LBB2_846
	s_branch .LBB2_847
.LBB2_1038:                             ;   in Loop: Header=BB2_352 Depth=4
	s_or_saveexec_b32 s73, s73
	v_mov_b32_e32 v9, 0x7f800001
	s_xor_b32 exec_lo, exec_lo, s73
	s_cbranch_execz .LBB2_861
.LBB2_1039:                             ;   in Loop: Header=BB2_352 Depth=4
	v_cmp_ne_u16_e32 vcc_lo, 0, v10
	v_mov_b32_e32 v9, 0
	s_andn2_b32 s17, s17, exec_lo
	s_and_b32 s74, vcc_lo, exec_lo
	s_or_b32 s17, s17, s74
	s_or_b32 exec_lo, exec_lo, s73
	s_and_saveexec_b32 s73, s17
	s_cbranch_execnz .LBB2_862
	s_branch .LBB2_863
.LBB2_1040:                             ;   in Loop: Header=BB2_352 Depth=4
	s_or_saveexec_b32 s73, s73
	v_mov_b32_e32 v10, 0x7f800001
	s_xor_b32 exec_lo, exec_lo, s73
	s_cbranch_execz .LBB2_867
.LBB2_1041:                             ;   in Loop: Header=BB2_352 Depth=4
	v_cmp_ne_u16_e32 vcc_lo, 0, v89
	v_mov_b32_e32 v10, 0
	s_andn2_b32 s17, s17, exec_lo
	s_and_b32 s74, vcc_lo, exec_lo
	s_or_b32 s17, s17, s74
	s_or_b32 exec_lo, exec_lo, s73
	s_and_saveexec_b32 s73, s17
	s_cbranch_execnz .LBB2_868
	s_branch .LBB2_869
.LBB2_1042:                             ;   in Loop: Header=BB2_352 Depth=4
	s_or_saveexec_b32 s73, s73
	v_mov_b32_e32 v9, 0x7f800001
	s_xor_b32 exec_lo, exec_lo, s73
	s_cbranch_execz .LBB2_875
.LBB2_1043:                             ;   in Loop: Header=BB2_352 Depth=4
	v_cmp_ne_u16_e32 vcc_lo, 0, v10
	v_mov_b32_e32 v9, 0
	s_andn2_b32 s17, s17, exec_lo
	s_and_b32 s74, vcc_lo, exec_lo
	s_or_b32 s17, s17, s74
	s_or_b32 exec_lo, exec_lo, s73
	s_and_saveexec_b32 s73, s17
	s_cbranch_execnz .LBB2_876
	s_branch .LBB2_877
.LBB2_1044:                             ;   in Loop: Header=BB2_352 Depth=4
	s_or_saveexec_b32 s73, s73
	v_mov_b32_e32 v10, 0x7f800001
	s_xor_b32 exec_lo, exec_lo, s73
	s_cbranch_execz .LBB2_881
.LBB2_1045:                             ;   in Loop: Header=BB2_352 Depth=4
	v_cmp_ne_u16_e32 vcc_lo, 0, v89
	v_mov_b32_e32 v10, 0
	s_andn2_b32 s17, s17, exec_lo
	s_and_b32 s74, vcc_lo, exec_lo
	s_or_b32 s17, s17, s74
	s_or_b32 exec_lo, exec_lo, s73
	s_and_saveexec_b32 s73, s17
	s_cbranch_execnz .LBB2_882
	s_branch .LBB2_883
.LBB2_1046:                             ;   in Loop: Header=BB2_352 Depth=4
	s_or_saveexec_b32 s73, s73
	v_mov_b32_e32 v8, 0x7f800001
	s_xor_b32 exec_lo, exec_lo, s73
	s_cbranch_execz .LBB2_897
.LBB2_1047:                             ;   in Loop: Header=BB2_352 Depth=4
	v_cmp_ne_u16_sdwa s74, v15, v2 src0_sel:BYTE_3 src1_sel:DWORD
	v_mov_b32_e32 v8, 0
	s_andn2_b32 s17, s17, exec_lo
	s_and_b32 s74, s74, exec_lo
	s_or_b32 s17, s17, s74
	s_or_b32 exec_lo, exec_lo, s73
	s_and_saveexec_b32 s73, s17
	s_cbranch_execnz .LBB2_898
	s_branch .LBB2_899
.LBB2_1048:                             ;   in Loop: Header=BB2_352 Depth=4
	s_or_saveexec_b32 s73, s73
	v_mov_b32_e32 v9, 0x7f800001
	s_xor_b32 exec_lo, exec_lo, s73
	s_cbranch_execz .LBB2_903
.LBB2_1049:                             ;   in Loop: Header=BB2_352 Depth=4
	v_cmp_ne_u16_sdwa s74, v11, v2 src0_sel:BYTE_3 src1_sel:DWORD
	v_mov_b32_e32 v9, 0
	s_andn2_b32 s17, s17, exec_lo
	s_and_b32 s74, s74, exec_lo
	s_or_b32 s17, s17, s74
	s_or_b32 exec_lo, exec_lo, s73
	s_and_saveexec_b32 s73, s17
	s_cbranch_execnz .LBB2_904
	s_branch .LBB2_905
.LBB2_1050:                             ;   in Loop: Header=BB2_352 Depth=4
	s_or_saveexec_b32 s73, s73
	v_mov_b32_e32 v91, 0x7f800001
	s_xor_b32 exec_lo, exec_lo, s73
	s_cbranch_execz .LBB2_911
.LBB2_1051:                             ;   in Loop: Header=BB2_352 Depth=4
	v_cmp_ne_u16_sdwa s74, v15, v2 src0_sel:BYTE_3 src1_sel:DWORD
	v_mov_b32_e32 v91, 0
	s_andn2_b32 s17, s17, exec_lo
	s_and_b32 s74, s74, exec_lo
	s_or_b32 s17, s17, s74
	s_or_b32 exec_lo, exec_lo, s73
	s_and_saveexec_b32 s73, s17
	s_cbranch_execnz .LBB2_912
	s_branch .LBB2_913
.LBB2_1052:                             ;   in Loop: Header=BB2_352 Depth=4
	s_or_saveexec_b32 s73, s73
	v_mov_b32_e32 v8, 0x7f800001
	s_xor_b32 exec_lo, exec_lo, s73
	s_cbranch_execz .LBB2_917
.LBB2_1053:                             ;   in Loop: Header=BB2_352 Depth=4
	v_cmp_ne_u16_sdwa s74, v11, v2 src0_sel:BYTE_3 src1_sel:DWORD
	v_mov_b32_e32 v8, 0
	s_andn2_b32 s17, s17, exec_lo
	s_and_b32 s74, s74, exec_lo
	s_or_b32 s17, s17, s74
	s_or_b32 exec_lo, exec_lo, s73
	s_and_saveexec_b32 s73, s17
	s_cbranch_execnz .LBB2_918
	s_branch .LBB2_919
.LBB2_1054:                             ;   in Loop: Header=BB2_272 Depth=3
	s_or_b32 exec_lo, exec_lo, s63
.LBB2_1055:                             ;   in Loop: Header=BB2_272 Depth=3
	s_or_b32 exec_lo, exec_lo, s62
	v_and_b32_e32 v8, 15, v3
	v_mov_b32_e32 v14, 0
	s_mov_b32 s63, 0
	s_mov_b32 s62, exec_lo
                                        ; implicit-def: $vgpr15
                                        ; implicit-def: $vgpr70
	v_cndmask_b32_e64 v59, v60, v8, s16
	v_cmpx_ne_u32_e32 0, v59
	s_cbranch_execz .LBB2_1765
; %bb.1056:                             ;   in Loop: Header=BB2_272 Depth=3
	v_cmp_lt_i32_e32 vcc_lo, 0, v61
	v_ashrrev_i32_e32 v11, 31, v59
	s_mov_b32 s63, exec_lo
	v_cndmask_b32_e32 v9, 0, v87, vcc_lo
	v_lshrrev_b32_e32 v11, 23, v11
	v_sub_nc_u32_e32 v9, v9, v61
	v_add_nc_u32_e32 v11, v59, v11
	v_lshl_or_b32 v9, v9, 5, v96
	v_and_b32_e32 v62, 0xfffffe00, v11
	v_ashrrev_i32_e32 v11, 9, v11
	v_ashrrev_i32_e32 v10, 31, v9
	v_lshrrev_b32_e32 v10, 27, v10
	v_add_nc_u32_e32 v10, v9, v10
	v_and_b32_e32 v12, 0xffffffe0, v10
	v_sub_nc_u32_e32 v61, v9, v12
	v_ashrrev_i32_e32 v9, 5, v10
	v_sub_nc_u32_e32 v12, v60, v8
	v_sub_nc_u32_e32 v60, v59, v62
	v_lshlrev_b32_e32 v10, 4, v61
	v_lshl_add_u32 v8, v9, 9, v10
	v_cndmask_b32_e64 v10, 0, v12, s16
	v_cmp_lt_i32_e64 s16, 15, v60
	v_sub_nc_u32_e32 v72, v59, v8
	v_add_nc_u32_e32 v55, v10, v55
	v_add_co_ci_u32_e64 v11, null, 0, v11, s16
	v_sub_nc_u32_e32 v63, v11, v9
	v_cmpx_lt_i32_e32 15, v72
	s_cbranch_execz .LBB2_1764
; %bb.1057:                             ;   in Loop: Header=BB2_272 Depth=3
	s_trap 2
	ds_read_b64 v[9:10], v0
	v_add_nc_u32_e32 v8, v8, v55
	s_bitcmp1_b32 s61, 0
	s_mov_b32 s72, 0
	s_cselect_b32 s73, -1, 0
	v_ashrrev_i32_e32 v11, 31, v8
	v_add_co_u32 v70, vcc_lo, v8, v66
	v_add_co_ci_u32_e64 v71, null, v11, v67, vcc_lo
	s_waitcnt lgkmcnt(0)
	v_add_co_u32 v80, vcc_lo, v9, v8
	v_add_co_ci_u32_e64 v81, null, v10, v11, vcc_lo
	v_add_co_u32 v82, vcc_lo, v8, v68
	v_add_co_ci_u32_e64 v83, null, v11, v69, vcc_lo
	s_branch .LBB2_1061
.LBB2_1058:                             ;   in Loop: Header=BB2_1061 Depth=4
	s_or_b32 exec_lo, exec_lo, s17
	v_lshrrev_b32_e32 v10, 20, v10
	v_min_i32_e32 v11, 15, v9
	v_cmp_gt_i32_e32 vcc_lo, 16, v9
	v_and_b32_sdwa v8, v8, v103 dst_sel:DWORD dst_unused:UNUSED_PAD src0_sel:BYTE_3 src1_sel:DWORD
	v_lshlrev_b32_e32 v11, 3, v11
	v_cndmask_b32_e32 v10, 7, v10, vcc_lo
	v_and_b32_e32 v11, 0xf8, v11
	v_and_b32_e32 v15, 7, v10
	v_or_b32_e32 v9, v9, v10
	v_or3_b32 v8, v8, v11, v15
	v_cmp_ne_u32_e32 vcc_lo, 0, v9
	v_lshlrev_b32_e32 v8, 8, v8
	v_cndmask_b32_e32 v9, 0, v8, vcc_lo
.LBB2_1059:                             ;   in Loop: Header=BB2_1061 Depth=4
	s_or_b32 exec_lo, exec_lo, s75
.LBB2_1060:                             ;   in Loop: Header=BB2_1061 Depth=4
	s_or_b32 exec_lo, exec_lo, s74
	v_or_b32_sdwa v8, v13, v78 dst_sel:WORD_1 dst_unused:UNUSED_PAD src0_sel:DWORD src1_sel:DWORD
	v_or_b32_sdwa v10, v12, v75 dst_sel:WORD_1 dst_unused:UNUSED_PAD src0_sel:DWORD src1_sel:DWORD
	;; [unrolled: 1-line block ×4, first 2 shown]
	v_sub_nc_u32_e32 v72, v72, v117
	v_or3_b32 v9, v77, v76, v8
	v_or3_b32 v8, v74, v73, v10
	;; [unrolled: 1-line block ×4, first 2 shown]
	v_add_co_u32 v70, vcc_lo, v70, v117
	v_add_co_ci_u32_e64 v71, null, 0, v71, vcc_lo
	v_add_co_u32 v80, vcc_lo, v80, v117
	global_store_dwordx4 v[82:83], v[8:11], off glc slc
	v_add_co_ci_u32_e64 v81, null, 0, v81, vcc_lo
	v_cmp_gt_i32_e32 vcc_lo, 16, v72
	v_add_co_u32 v82, s17, v82, v117
	v_add_co_ci_u32_e64 v83, null, 0, v83, s17
	v_sub_nc_u32_e32 v63, v63, v87
	s_or_b32 s72, vcc_lo, s72
	s_andn2_b32 exec_lo, exec_lo, s72
	s_cbranch_execz .LBB2_1763
.LBB2_1061:                             ;   Parent Loop BB2_47 Depth=1
                                        ;     Parent Loop BB2_269 Depth=2
                                        ;       Parent Loop BB2_272 Depth=3
                                        ; =>      This Inner Loop Header: Depth=4
	global_load_dwordx4 v[8:11], v[80:81], off slc
	global_load_dwordx4 v[12:15], v[70:71], off slc
	s_mov_b32 s17, -1
	s_waitcnt vmcnt(1)
	v_and_b32_e32 v73, 7, v8
	v_bfe_u32 v76, v8, 3, 4
	v_lshlrev_b32_e32 v77, 24, v8
	v_ffbh_u32_e32 v74, v73
	v_cmp_eq_u32_e32 vcc_lo, 0, v76
	v_min_u32_e32 v74, 32, v74
	v_subrev_nc_u32_e32 v75, 28, v74
	v_sub_nc_u32_e32 v74, 29, v74
	v_lshlrev_b32_e32 v75, v75, v8
	v_cndmask_b32_e32 v74, v76, v74, vcc_lo
	v_and_b32_e32 v75, 7, v75
	v_lshl_add_u32 v74, v74, 23, 0x3b800000
	v_cndmask_b32_e32 v73, v73, v75, vcc_lo
	v_and_b32_e32 v75, 0x80000000, v77
	s_and_b32 vcc_lo, exec_lo, s73
	v_lshlrev_b32_e32 v73, 20, v73
	v_or3_b32 v73, v75, v74, v73
                                        ; implicit-def: $vgpr74
	s_cbranch_vccz .LBB2_1075
; %bb.1062:                             ;   in Loop: Header=BB2_1061 Depth=4
	s_waitcnt vmcnt(0)
	v_cmp_gt_i16_sdwa s74, v12, v102 src0_sel:BYTE_0 src1_sel:DWORD
	s_mov_b32 s17, 0
	s_and_saveexec_b32 s75, s74
	s_xor_b32 s74, exec_lo, s75
	s_cbranch_execz .LBB2_1635
; %bb.1063:                             ;   in Loop: Header=BB2_1061 Depth=4
	v_cmp_eq_u16_sdwa s76, v12, v103 src0_sel:BYTE_0 src1_sel:DWORD
	s_mov_b32 s17, -1
	s_and_saveexec_b32 s75, s76
; %bb.1064:                             ;   in Loop: Header=BB2_1061 Depth=4
	s_xor_b32 s17, exec_lo, -1
; %bb.1065:                             ;   in Loop: Header=BB2_1061 Depth=4
	s_or_b32 exec_lo, exec_lo, s75
	s_and_b32 s17, s17, exec_lo
	s_or_saveexec_b32 s74, s74
	v_mov_b32_e32 v74, 0x7f800001
	s_xor_b32 exec_lo, exec_lo, s74
	s_cbranch_execnz .LBB2_1636
.LBB2_1066:                             ;   in Loop: Header=BB2_1061 Depth=4
	s_or_b32 exec_lo, exec_lo, s74
	s_and_saveexec_b32 s74, s17
	s_cbranch_execz .LBB2_1068
.LBB2_1067:                             ;   in Loop: Header=BB2_1061 Depth=4
	v_and_b32_e32 v74, 7, v12
	v_bfe_u32 v77, v12, 3, 4
	v_lshlrev_b32_e32 v78, 24, v12
	v_ffbh_u32_e32 v75, v74
	v_cmp_eq_u32_e32 vcc_lo, 0, v77
	v_min_u32_e32 v75, 32, v75
	v_subrev_nc_u32_e32 v76, 28, v75
	v_sub_nc_u32_e32 v75, 29, v75
	v_lshlrev_b32_e32 v76, v76, v12
	v_cndmask_b32_e32 v75, v77, v75, vcc_lo
	v_and_b32_e32 v76, 7, v76
	v_lshl_add_u32 v75, v75, 23, 0x3b800000
	v_cndmask_b32_e32 v74, v74, v76, vcc_lo
	v_and_b32_e32 v76, 0x80000000, v78
	v_lshlrev_b32_e32 v74, 20, v74
	v_or3_b32 v74, v76, v75, v74
.LBB2_1068:                             ;   in Loop: Header=BB2_1061 Depth=4
	s_or_b32 exec_lo, exec_lo, s74
	v_cmp_gt_i16_sdwa s74, v8, v102 src0_sel:BYTE_0 src1_sel:DWORD
	s_mov_b32 s17, 0
	s_and_saveexec_b32 s75, s74
	s_xor_b32 s74, exec_lo, s75
	s_cbranch_execz .LBB2_1637
; %bb.1069:                             ;   in Loop: Header=BB2_1061 Depth=4
	v_cmp_eq_u16_sdwa s76, v8, v103 src0_sel:BYTE_0 src1_sel:DWORD
	s_mov_b32 s17, -1
	s_and_saveexec_b32 s75, s76
; %bb.1070:                             ;   in Loop: Header=BB2_1061 Depth=4
	s_xor_b32 s17, exec_lo, -1
; %bb.1071:                             ;   in Loop: Header=BB2_1061 Depth=4
	s_or_b32 exec_lo, exec_lo, s75
	s_and_b32 s17, s17, exec_lo
	s_or_saveexec_b32 s74, s74
	v_mov_b32_e32 v75, 0x7f800001
	s_xor_b32 exec_lo, exec_lo, s74
	s_cbranch_execnz .LBB2_1638
.LBB2_1072:                             ;   in Loop: Header=BB2_1061 Depth=4
	s_or_b32 exec_lo, exec_lo, s74
	s_and_saveexec_b32 s74, s17
.LBB2_1073:                             ;   in Loop: Header=BB2_1061 Depth=4
	v_mov_b32_e32 v75, v73
.LBB2_1074:                             ;   in Loop: Header=BB2_1061 Depth=4
	s_or_b32 exec_lo, exec_lo, s74
	v_max_f32_e32 v75, v75, v75
	v_max_f32_e32 v74, v74, v74
	s_mov_b32 s17, 0
	v_max_f32_e32 v74, v74, v75
.LBB2_1075:                             ;   in Loop: Header=BB2_1061 Depth=4
	s_and_b32 vcc_lo, exec_lo, s17
	s_cbranch_vccz .LBB2_1089
; %bb.1076:                             ;   in Loop: Header=BB2_1061 Depth=4
	s_waitcnt vmcnt(0)
	v_cmp_gt_i16_sdwa s74, v12, v102 src0_sel:BYTE_0 src1_sel:DWORD
	s_mov_b32 s17, 0
	s_and_saveexec_b32 s75, s74
	s_xor_b32 s74, exec_lo, s75
	s_cbranch_execz .LBB2_1639
; %bb.1077:                             ;   in Loop: Header=BB2_1061 Depth=4
	v_cmp_eq_u16_sdwa s76, v12, v103 src0_sel:BYTE_0 src1_sel:DWORD
	s_mov_b32 s17, -1
	s_and_saveexec_b32 s75, s76
; %bb.1078:                             ;   in Loop: Header=BB2_1061 Depth=4
	s_xor_b32 s17, exec_lo, -1
; %bb.1079:                             ;   in Loop: Header=BB2_1061 Depth=4
	s_or_b32 exec_lo, exec_lo, s75
	s_and_b32 s17, s17, exec_lo
	s_or_saveexec_b32 s74, s74
	v_mov_b32_e32 v74, 0x7f800001
	s_xor_b32 exec_lo, exec_lo, s74
	s_cbranch_execnz .LBB2_1640
.LBB2_1080:                             ;   in Loop: Header=BB2_1061 Depth=4
	s_or_b32 exec_lo, exec_lo, s74
	s_and_saveexec_b32 s74, s17
	s_cbranch_execz .LBB2_1082
.LBB2_1081:                             ;   in Loop: Header=BB2_1061 Depth=4
	v_and_b32_e32 v74, 7, v12
	v_bfe_u32 v77, v12, 3, 4
	v_lshlrev_b32_e32 v78, 24, v12
	v_ffbh_u32_e32 v75, v74
	v_cmp_eq_u32_e32 vcc_lo, 0, v77
	v_min_u32_e32 v75, 32, v75
	v_subrev_nc_u32_e32 v76, 28, v75
	v_sub_nc_u32_e32 v75, 29, v75
	v_lshlrev_b32_e32 v76, v76, v12
	v_cndmask_b32_e32 v75, v77, v75, vcc_lo
	v_and_b32_e32 v76, 7, v76
	v_lshl_add_u32 v75, v75, 23, 0x3b800000
	v_cndmask_b32_e32 v74, v74, v76, vcc_lo
	v_and_b32_e32 v76, 0x80000000, v78
	v_lshlrev_b32_e32 v74, 20, v74
	v_or3_b32 v74, v76, v75, v74
.LBB2_1082:                             ;   in Loop: Header=BB2_1061 Depth=4
	s_or_b32 exec_lo, exec_lo, s74
	v_cmp_gt_i16_sdwa s74, v8, v102 src0_sel:BYTE_0 src1_sel:DWORD
	s_mov_b32 s17, 0
	s_and_saveexec_b32 s75, s74
	s_xor_b32 s74, exec_lo, s75
	s_cbranch_execz .LBB2_1641
; %bb.1083:                             ;   in Loop: Header=BB2_1061 Depth=4
	v_cmp_eq_u16_sdwa s76, v8, v103 src0_sel:BYTE_0 src1_sel:DWORD
	s_mov_b32 s17, -1
	s_and_saveexec_b32 s75, s76
; %bb.1084:                             ;   in Loop: Header=BB2_1061 Depth=4
	s_xor_b32 s17, exec_lo, -1
; %bb.1085:                             ;   in Loop: Header=BB2_1061 Depth=4
	s_or_b32 exec_lo, exec_lo, s75
	s_and_b32 s17, s17, exec_lo
	s_or_saveexec_b32 s74, s74
	v_mov_b32_e32 v75, 0x7f800001
	s_xor_b32 exec_lo, exec_lo, s74
	s_cbranch_execnz .LBB2_1642
.LBB2_1086:                             ;   in Loop: Header=BB2_1061 Depth=4
	s_or_b32 exec_lo, exec_lo, s74
	s_and_saveexec_b32 s74, s17
.LBB2_1087:                             ;   in Loop: Header=BB2_1061 Depth=4
	v_mov_b32_e32 v75, v73
.LBB2_1088:                             ;   in Loop: Header=BB2_1061 Depth=4
	s_or_b32 exec_lo, exec_lo, s74
	v_max_f32_e32 v73, v75, v75
	v_max_f32_e32 v74, v74, v74
	v_min_f32_e32 v74, v74, v73
.LBB2_1089:                             ;   in Loop: Header=BB2_1061 Depth=4
	v_and_b32_e32 v73, 0x7f800000, v74
	v_cmp_ne_u32_e32 vcc_lo, 0x7f800000, v73
	v_mov_b32_e32 v73, 0x80
	s_and_saveexec_b32 s74, vcc_lo
	s_cbranch_execz .LBB2_1097
; %bb.1090:                             ;   in Loop: Header=BB2_1061 Depth=4
	v_mov_b32_e32 v73, 0
	s_mov_b32 s75, exec_lo
	v_cmpx_ne_u32_e32 0, v74
	s_cbranch_execz .LBB2_1096
; %bb.1091:                             ;   in Loop: Header=BB2_1061 Depth=4
	v_bfe_u32 v73, v74, 23, 8
	v_and_b32_e32 v75, 0x7fffff, v74
	v_sub_nc_u32_e32 v76, 0x78, v73
	v_cmp_gt_u32_e32 vcc_lo, 0x79, v73
	v_or_b32_e32 v77, 0x800000, v75
	v_cndmask_b32_e32 v76, 0, v76, vcc_lo
	v_cmp_eq_u32_e32 vcc_lo, 0, v73
	v_add_nc_u32_e32 v73, 0xffffff89, v73
	v_cndmask_b32_e64 v76, v76, 0x77, vcc_lo
	v_cndmask_b32_e32 v75, v77, v75, vcc_lo
	v_cndmask_b32_e64 v73, v73, 0xffffff8a, vcc_lo
	v_lshl_add_u32 v77, 0x100000, v76, -1
	v_lshrrev_b32_e32 v78, v76, v75
	v_lshlrev_b32_e64 v88, v76, 0x80000
	v_add_nc_u32_e32 v76, v76, v73
	v_and_b32_e32 v75, v77, v75
	v_bfe_u32 v79, v78, 20, 1
	v_cmp_eq_u32_e64 s17, v75, v88
	v_add_nc_u32_e32 v77, -1, v79
	v_cndmask_b32_e64 v75, 0, v77, s17
	v_lshrrev_b32_e32 v77, 23, v78
	s_mov_b32 s17, exec_lo
	v_add_nc_u32_e32 v75, v75, v78
	v_xor_b32_e32 v77, 1, v77
	v_and_b32_e32 v73, 0xfffff, v75
	v_add_nc_u32_e32 v75, v73, v78
                                        ; implicit-def: $vgpr73
	v_cmpx_ne_u32_e64 v76, v77
	s_xor_b32 s17, exec_lo, s17
; %bb.1092:                             ;   in Loop: Header=BB2_1061 Depth=4
	v_cmp_lt_u32_e32 vcc_lo, 0xffffff, v75
	v_sub_nc_u32_e32 v73, v76, v77
	v_cndmask_b32_e64 v76, 0, 1, vcc_lo
	v_add_co_ci_u32_e64 v73, null, 0, v73, vcc_lo
	v_lshrrev_b32_e32 v75, v76, v75
; %bb.1093:                             ;   in Loop: Header=BB2_1061 Depth=4
	s_andn2_saveexec_b32 s17, s17
; %bb.1094:                             ;   in Loop: Header=BB2_1061 Depth=4
	v_bfe_u32 v73, v75, 23, 1
; %bb.1095:                             ;   in Loop: Header=BB2_1061 Depth=4
	s_or_b32 exec_lo, exec_lo, s17
	v_lshrrev_b32_e32 v75, 20, v75
	v_min_i32_e32 v76, 15, v73
	v_cmp_gt_i32_e32 vcc_lo, 16, v73
	v_and_b32_sdwa v74, v74, v103 dst_sel:DWORD dst_unused:UNUSED_PAD src0_sel:BYTE_3 src1_sel:DWORD
	v_lshlrev_b32_e32 v76, 3, v76
	v_cndmask_b32_e32 v75, 7, v75, vcc_lo
	v_and_b32_e32 v76, 0xf8, v76
	v_and_b32_e32 v77, 7, v75
	v_or_b32_e32 v73, v73, v75
	v_or3_b32 v74, v76, v74, v77
	v_cmp_ne_u32_e32 vcc_lo, 0, v73
	v_cndmask_b32_e32 v73, 0, v74, vcc_lo
.LBB2_1096:                             ;   in Loop: Header=BB2_1061 Depth=4
	s_or_b32 exec_lo, exec_lo, s75
.LBB2_1097:                             ;   in Loop: Header=BB2_1061 Depth=4
	s_or_b32 exec_lo, exec_lo, s74
	v_and_b32_sdwa v74, v112, v8 dst_sel:DWORD dst_unused:UNUSED_PAD src0_sel:DWORD src1_sel:BYTE_1
	s_mov_b32 s17, -1
	v_and_b32_e32 v75, 7, v74
	v_bfe_u32 v78, v74, 3, 4
	v_ffbh_u32_e32 v76, v75
	v_cmp_eq_u32_e32 vcc_lo, 0, v78
	v_min_u32_e32 v76, 32, v76
	v_subrev_nc_u32_e32 v77, 28, v76
	v_sub_nc_u32_e32 v76, 29, v76
	v_lshlrev_b32_e32 v74, v77, v74
	v_lshlrev_b32_sdwa v77, v113, v8 dst_sel:DWORD dst_unused:UNUSED_PAD src0_sel:DWORD src1_sel:BYTE_1
	v_cndmask_b32_e32 v76, v78, v76, vcc_lo
	v_and_b32_e32 v74, 7, v74
	v_lshl_add_u32 v76, v76, 23, 0x3b800000
	v_cndmask_b32_e32 v74, v75, v74, vcc_lo
	v_and_b32_e32 v75, 0x80000000, v77
	s_and_b32 vcc_lo, exec_lo, s73
	v_lshlrev_b32_e32 v74, 20, v74
	v_or3_b32 v74, v75, v76, v74
                                        ; implicit-def: $vgpr75
	s_cbranch_vccz .LBB2_1111
; %bb.1098:                             ;   in Loop: Header=BB2_1061 Depth=4
	s_waitcnt vmcnt(0)
	v_cmp_gt_i16_sdwa s74, v12, v102 src0_sel:BYTE_1 src1_sel:DWORD
	s_mov_b32 s17, 0
	s_and_saveexec_b32 s75, s74
	s_xor_b32 s74, exec_lo, s75
	s_cbranch_execz .LBB2_1643
; %bb.1099:                             ;   in Loop: Header=BB2_1061 Depth=4
	v_cmp_eq_u16_sdwa s76, v12, v103 src0_sel:BYTE_1 src1_sel:DWORD
	s_mov_b32 s17, -1
	s_and_saveexec_b32 s75, s76
; %bb.1100:                             ;   in Loop: Header=BB2_1061 Depth=4
	s_xor_b32 s17, exec_lo, -1
; %bb.1101:                             ;   in Loop: Header=BB2_1061 Depth=4
	s_or_b32 exec_lo, exec_lo, s75
	s_and_b32 s17, s17, exec_lo
	s_or_saveexec_b32 s74, s74
	v_mov_b32_e32 v75, 0x7f800001
	s_xor_b32 exec_lo, exec_lo, s74
	s_cbranch_execnz .LBB2_1644
.LBB2_1102:                             ;   in Loop: Header=BB2_1061 Depth=4
	s_or_b32 exec_lo, exec_lo, s74
	s_and_saveexec_b32 s74, s17
	s_cbranch_execz .LBB2_1104
.LBB2_1103:                             ;   in Loop: Header=BB2_1061 Depth=4
	v_and_b32_sdwa v75, v112, v12 dst_sel:DWORD dst_unused:UNUSED_PAD src0_sel:DWORD src1_sel:BYTE_1
	v_and_b32_e32 v76, 7, v75
	v_bfe_u32 v79, v75, 3, 4
	v_ffbh_u32_e32 v77, v76
	v_cmp_eq_u32_e32 vcc_lo, 0, v79
	v_min_u32_e32 v77, 32, v77
	v_subrev_nc_u32_e32 v78, 28, v77
	v_sub_nc_u32_e32 v77, 29, v77
	v_lshlrev_b32_e32 v75, v78, v75
	v_lshlrev_b32_e32 v78, 16, v12
	v_cndmask_b32_e32 v77, v79, v77, vcc_lo
	v_and_b32_e32 v75, 7, v75
	v_lshl_add_u32 v77, v77, 23, 0x3b800000
	v_cndmask_b32_e32 v75, v76, v75, vcc_lo
	v_and_b32_e32 v76, 0x80000000, v78
	v_lshlrev_b32_e32 v75, 20, v75
	v_or3_b32 v75, v76, v77, v75
.LBB2_1104:                             ;   in Loop: Header=BB2_1061 Depth=4
	s_or_b32 exec_lo, exec_lo, s74
	v_cmp_gt_i16_sdwa s74, v8, v102 src0_sel:BYTE_1 src1_sel:DWORD
	s_mov_b32 s17, 0
	s_and_saveexec_b32 s75, s74
	s_xor_b32 s74, exec_lo, s75
	s_cbranch_execz .LBB2_1645
; %bb.1105:                             ;   in Loop: Header=BB2_1061 Depth=4
	v_cmp_eq_u16_sdwa s76, v8, v103 src0_sel:BYTE_1 src1_sel:DWORD
	s_mov_b32 s17, -1
	s_and_saveexec_b32 s75, s76
; %bb.1106:                             ;   in Loop: Header=BB2_1061 Depth=4
	s_xor_b32 s17, exec_lo, -1
; %bb.1107:                             ;   in Loop: Header=BB2_1061 Depth=4
	s_or_b32 exec_lo, exec_lo, s75
	s_and_b32 s17, s17, exec_lo
	s_or_saveexec_b32 s74, s74
	v_mov_b32_e32 v76, 0x7f800001
	s_xor_b32 exec_lo, exec_lo, s74
	s_cbranch_execnz .LBB2_1646
.LBB2_1108:                             ;   in Loop: Header=BB2_1061 Depth=4
	s_or_b32 exec_lo, exec_lo, s74
	s_and_saveexec_b32 s74, s17
.LBB2_1109:                             ;   in Loop: Header=BB2_1061 Depth=4
	v_mov_b32_e32 v76, v74
.LBB2_1110:                             ;   in Loop: Header=BB2_1061 Depth=4
	s_or_b32 exec_lo, exec_lo, s74
	v_max_f32_e32 v76, v76, v76
	v_max_f32_e32 v75, v75, v75
	s_mov_b32 s17, 0
	v_max_f32_e32 v75, v75, v76
.LBB2_1111:                             ;   in Loop: Header=BB2_1061 Depth=4
	s_and_b32 vcc_lo, exec_lo, s17
	s_cbranch_vccz .LBB2_1125
; %bb.1112:                             ;   in Loop: Header=BB2_1061 Depth=4
	s_waitcnt vmcnt(0)
	v_cmp_gt_i16_sdwa s74, v12, v102 src0_sel:BYTE_1 src1_sel:DWORD
	s_mov_b32 s17, 0
	s_and_saveexec_b32 s75, s74
	s_xor_b32 s74, exec_lo, s75
	s_cbranch_execz .LBB2_1647
; %bb.1113:                             ;   in Loop: Header=BB2_1061 Depth=4
	v_cmp_eq_u16_sdwa s76, v12, v103 src0_sel:BYTE_1 src1_sel:DWORD
	s_mov_b32 s17, -1
	s_and_saveexec_b32 s75, s76
; %bb.1114:                             ;   in Loop: Header=BB2_1061 Depth=4
	s_xor_b32 s17, exec_lo, -1
; %bb.1115:                             ;   in Loop: Header=BB2_1061 Depth=4
	s_or_b32 exec_lo, exec_lo, s75
	s_and_b32 s17, s17, exec_lo
	s_or_saveexec_b32 s74, s74
	v_mov_b32_e32 v75, 0x7f800001
	s_xor_b32 exec_lo, exec_lo, s74
	s_cbranch_execnz .LBB2_1648
.LBB2_1116:                             ;   in Loop: Header=BB2_1061 Depth=4
	s_or_b32 exec_lo, exec_lo, s74
	s_and_saveexec_b32 s74, s17
	s_cbranch_execz .LBB2_1118
.LBB2_1117:                             ;   in Loop: Header=BB2_1061 Depth=4
	v_and_b32_sdwa v75, v112, v12 dst_sel:DWORD dst_unused:UNUSED_PAD src0_sel:DWORD src1_sel:BYTE_1
	v_and_b32_e32 v76, 7, v75
	v_bfe_u32 v79, v75, 3, 4
	v_ffbh_u32_e32 v77, v76
	v_cmp_eq_u32_e32 vcc_lo, 0, v79
	v_min_u32_e32 v77, 32, v77
	v_subrev_nc_u32_e32 v78, 28, v77
	v_sub_nc_u32_e32 v77, 29, v77
	v_lshlrev_b32_e32 v75, v78, v75
	v_lshlrev_b32_e32 v78, 16, v12
	v_cndmask_b32_e32 v77, v79, v77, vcc_lo
	v_and_b32_e32 v75, 7, v75
	v_lshl_add_u32 v77, v77, 23, 0x3b800000
	v_cndmask_b32_e32 v75, v76, v75, vcc_lo
	v_and_b32_e32 v76, 0x80000000, v78
	v_lshlrev_b32_e32 v75, 20, v75
	v_or3_b32 v75, v76, v77, v75
.LBB2_1118:                             ;   in Loop: Header=BB2_1061 Depth=4
	s_or_b32 exec_lo, exec_lo, s74
	v_cmp_gt_i16_sdwa s74, v8, v102 src0_sel:BYTE_1 src1_sel:DWORD
	s_mov_b32 s17, 0
	s_and_saveexec_b32 s75, s74
	s_xor_b32 s74, exec_lo, s75
	s_cbranch_execz .LBB2_1649
; %bb.1119:                             ;   in Loop: Header=BB2_1061 Depth=4
	v_cmp_eq_u16_sdwa s76, v8, v103 src0_sel:BYTE_1 src1_sel:DWORD
	s_mov_b32 s17, -1
	s_and_saveexec_b32 s75, s76
; %bb.1120:                             ;   in Loop: Header=BB2_1061 Depth=4
	s_xor_b32 s17, exec_lo, -1
; %bb.1121:                             ;   in Loop: Header=BB2_1061 Depth=4
	s_or_b32 exec_lo, exec_lo, s75
	s_and_b32 s17, s17, exec_lo
	s_or_saveexec_b32 s74, s74
	v_mov_b32_e32 v76, 0x7f800001
	s_xor_b32 exec_lo, exec_lo, s74
	s_cbranch_execnz .LBB2_1650
.LBB2_1122:                             ;   in Loop: Header=BB2_1061 Depth=4
	s_or_b32 exec_lo, exec_lo, s74
	s_and_saveexec_b32 s74, s17
.LBB2_1123:                             ;   in Loop: Header=BB2_1061 Depth=4
	v_mov_b32_e32 v76, v74
.LBB2_1124:                             ;   in Loop: Header=BB2_1061 Depth=4
	s_or_b32 exec_lo, exec_lo, s74
	v_max_f32_e32 v74, v76, v76
	v_max_f32_e32 v75, v75, v75
	v_min_f32_e32 v75, v75, v74
.LBB2_1125:                             ;   in Loop: Header=BB2_1061 Depth=4
	v_and_b32_e32 v74, 0x7f800000, v75
	v_cmp_ne_u32_e32 vcc_lo, 0x7f800000, v74
	v_mov_b32_e32 v74, 0x8000
	s_and_saveexec_b32 s74, vcc_lo
	s_cbranch_execz .LBB2_1133
; %bb.1126:                             ;   in Loop: Header=BB2_1061 Depth=4
	v_mov_b32_e32 v74, 0
	s_mov_b32 s75, exec_lo
	v_cmpx_ne_u32_e32 0, v75
	s_cbranch_execz .LBB2_1132
; %bb.1127:                             ;   in Loop: Header=BB2_1061 Depth=4
	v_bfe_u32 v74, v75, 23, 8
	v_and_b32_e32 v76, 0x7fffff, v75
	v_sub_nc_u32_e32 v77, 0x78, v74
	v_cmp_gt_u32_e32 vcc_lo, 0x79, v74
	v_or_b32_e32 v78, 0x800000, v76
	v_cndmask_b32_e32 v77, 0, v77, vcc_lo
	v_cmp_eq_u32_e32 vcc_lo, 0, v74
	v_add_nc_u32_e32 v74, 0xffffff89, v74
	v_cndmask_b32_e64 v77, v77, 0x77, vcc_lo
	v_cndmask_b32_e32 v76, v78, v76, vcc_lo
	v_cndmask_b32_e64 v74, v74, 0xffffff8a, vcc_lo
	v_lshl_add_u32 v78, 0x100000, v77, -1
	v_lshrrev_b32_e32 v79, v77, v76
	v_lshlrev_b32_e64 v89, v77, 0x80000
	v_add_nc_u32_e32 v77, v77, v74
	v_and_b32_e32 v76, v78, v76
	v_bfe_u32 v88, v79, 20, 1
	v_cmp_eq_u32_e64 s17, v76, v89
	v_add_nc_u32_e32 v78, -1, v88
	v_cndmask_b32_e64 v76, 0, v78, s17
	v_lshrrev_b32_e32 v78, 23, v79
	s_mov_b32 s17, exec_lo
	v_add_nc_u32_e32 v76, v76, v79
	v_xor_b32_e32 v78, 1, v78
	v_and_b32_e32 v74, 0xfffff, v76
	v_add_nc_u32_e32 v76, v74, v79
                                        ; implicit-def: $vgpr74
	v_cmpx_ne_u32_e64 v77, v78
	s_xor_b32 s17, exec_lo, s17
; %bb.1128:                             ;   in Loop: Header=BB2_1061 Depth=4
	v_cmp_lt_u32_e32 vcc_lo, 0xffffff, v76
	v_sub_nc_u32_e32 v74, v77, v78
	v_cndmask_b32_e64 v77, 0, 1, vcc_lo
	v_add_co_ci_u32_e64 v74, null, 0, v74, vcc_lo
	v_lshrrev_b32_e32 v76, v77, v76
; %bb.1129:                             ;   in Loop: Header=BB2_1061 Depth=4
	s_andn2_saveexec_b32 s17, s17
; %bb.1130:                             ;   in Loop: Header=BB2_1061 Depth=4
	v_bfe_u32 v74, v76, 23, 1
; %bb.1131:                             ;   in Loop: Header=BB2_1061 Depth=4
	s_or_b32 exec_lo, exec_lo, s17
	v_lshrrev_b32_e32 v76, 20, v76
	v_min_i32_e32 v77, 15, v74
	v_cmp_gt_i32_e32 vcc_lo, 16, v74
	v_and_b32_sdwa v75, v75, v103 dst_sel:DWORD dst_unused:UNUSED_PAD src0_sel:BYTE_3 src1_sel:DWORD
	v_lshlrev_b32_e32 v77, 3, v77
	v_cndmask_b32_e32 v76, 7, v76, vcc_lo
	v_and_b32_e32 v77, 0xf8, v77
	v_and_b32_e32 v78, 7, v76
	v_or_b32_e32 v74, v74, v76
	v_or3_b32 v75, v75, v77, v78
	v_cmp_ne_u32_e32 vcc_lo, 0, v74
	v_lshlrev_b32_e32 v75, 8, v75
	v_cndmask_b32_e32 v74, 0, v75, vcc_lo
.LBB2_1132:                             ;   in Loop: Header=BB2_1061 Depth=4
	s_or_b32 exec_lo, exec_lo, s75
.LBB2_1133:                             ;   in Loop: Header=BB2_1061 Depth=4
	s_or_b32 exec_lo, exec_lo, s74
	v_bfe_u32 v75, v8, 16, 3
	v_bfe_u32 v78, v8, 19, 4
	v_lshlrev_b32_e32 v79, 8, v8
	s_mov_b32 s17, -1
	v_ffbh_u32_e32 v76, v75
	v_cmp_eq_u32_e32 vcc_lo, 0, v78
	v_min_u32_e32 v76, 32, v76
	v_subrev_nc_u32_e32 v77, 28, v76
	v_sub_nc_u32_e32 v76, 29, v76
	v_lshlrev_b32_sdwa v77, v77, v8 dst_sel:DWORD dst_unused:UNUSED_PAD src0_sel:DWORD src1_sel:WORD_1
	v_cndmask_b32_e32 v76, v78, v76, vcc_lo
	v_and_b32_e32 v77, 7, v77
	v_lshl_add_u32 v76, v76, 23, 0x3b800000
	v_cndmask_b32_e32 v75, v75, v77, vcc_lo
	v_and_b32_e32 v77, 0x80000000, v79
	s_and_b32 vcc_lo, exec_lo, s73
	v_lshlrev_b32_e32 v75, 20, v75
	v_or3_b32 v75, v77, v76, v75
                                        ; implicit-def: $vgpr76
	s_cbranch_vccz .LBB2_1147
; %bb.1134:                             ;   in Loop: Header=BB2_1061 Depth=4
	s_waitcnt vmcnt(0)
	v_and_b32_sdwa v77, v12, v114 dst_sel:DWORD dst_unused:UNUSED_PAD src0_sel:WORD_1 src1_sel:DWORD
	s_mov_b32 s17, 0
	s_mov_b32 s74, exec_lo
	v_cmpx_lt_i16_e32 0x7f, v77
	s_xor_b32 s74, exec_lo, s74
	s_cbranch_execz .LBB2_1651
; %bb.1135:                             ;   in Loop: Header=BB2_1061 Depth=4
	s_mov_b32 s17, -1
	s_mov_b32 s75, exec_lo
	v_cmpx_eq_u16_e32 0x80, v77
; %bb.1136:                             ;   in Loop: Header=BB2_1061 Depth=4
	s_xor_b32 s17, exec_lo, -1
; %bb.1137:                             ;   in Loop: Header=BB2_1061 Depth=4
	s_or_b32 exec_lo, exec_lo, s75
	s_and_b32 s17, s17, exec_lo
                                        ; implicit-def: $vgpr77
	s_or_saveexec_b32 s74, s74
	v_mov_b32_e32 v76, 0x7f800001
	s_xor_b32 exec_lo, exec_lo, s74
	s_cbranch_execnz .LBB2_1652
.LBB2_1138:                             ;   in Loop: Header=BB2_1061 Depth=4
	s_or_b32 exec_lo, exec_lo, s74
	s_and_saveexec_b32 s74, s17
	s_cbranch_execz .LBB2_1140
.LBB2_1139:                             ;   in Loop: Header=BB2_1061 Depth=4
	v_bfe_u32 v76, v12, 16, 3
	v_bfe_u32 v79, v12, 19, 4
	v_lshlrev_b32_sdwa v88, v113, v12 dst_sel:DWORD dst_unused:UNUSED_PAD src0_sel:DWORD src1_sel:WORD_1
	v_ffbh_u32_e32 v77, v76
	v_cmp_eq_u32_e32 vcc_lo, 0, v79
	v_min_u32_e32 v77, 32, v77
	v_subrev_nc_u32_e32 v78, 28, v77
	v_sub_nc_u32_e32 v77, 29, v77
	v_lshlrev_b32_sdwa v78, v78, v12 dst_sel:DWORD dst_unused:UNUSED_PAD src0_sel:DWORD src1_sel:WORD_1
	v_cndmask_b32_e32 v77, v79, v77, vcc_lo
	v_and_b32_e32 v78, 7, v78
	v_lshl_add_u32 v77, v77, 23, 0x3b800000
	v_cndmask_b32_e32 v76, v76, v78, vcc_lo
	v_and_b32_e32 v78, 0x80000000, v88
	v_lshlrev_b32_e32 v76, 20, v76
	v_or3_b32 v76, v78, v77, v76
.LBB2_1140:                             ;   in Loop: Header=BB2_1061 Depth=4
	s_or_b32 exec_lo, exec_lo, s74
	v_and_b32_sdwa v78, v8, v114 dst_sel:DWORD dst_unused:UNUSED_PAD src0_sel:WORD_1 src1_sel:DWORD
	s_mov_b32 s17, 0
	s_mov_b32 s74, exec_lo
	v_cmpx_lt_i16_e32 0x7f, v78
	s_xor_b32 s74, exec_lo, s74
	s_cbranch_execz .LBB2_1653
; %bb.1141:                             ;   in Loop: Header=BB2_1061 Depth=4
	s_mov_b32 s17, -1
	s_mov_b32 s75, exec_lo
	v_cmpx_eq_u16_e32 0x80, v78
; %bb.1142:                             ;   in Loop: Header=BB2_1061 Depth=4
	s_xor_b32 s17, exec_lo, -1
; %bb.1143:                             ;   in Loop: Header=BB2_1061 Depth=4
	s_or_b32 exec_lo, exec_lo, s75
	s_and_b32 s17, s17, exec_lo
                                        ; implicit-def: $vgpr78
	s_or_saveexec_b32 s74, s74
	v_mov_b32_e32 v77, 0x7f800001
	s_xor_b32 exec_lo, exec_lo, s74
	s_cbranch_execnz .LBB2_1654
.LBB2_1144:                             ;   in Loop: Header=BB2_1061 Depth=4
	s_or_b32 exec_lo, exec_lo, s74
	s_and_saveexec_b32 s74, s17
.LBB2_1145:                             ;   in Loop: Header=BB2_1061 Depth=4
	v_mov_b32_e32 v77, v75
.LBB2_1146:                             ;   in Loop: Header=BB2_1061 Depth=4
	s_or_b32 exec_lo, exec_lo, s74
	v_max_f32_e32 v77, v77, v77
	v_max_f32_e32 v76, v76, v76
	s_mov_b32 s17, 0
	v_max_f32_e32 v76, v76, v77
.LBB2_1147:                             ;   in Loop: Header=BB2_1061 Depth=4
	s_and_b32 vcc_lo, exec_lo, s17
	s_cbranch_vccz .LBB2_1161
; %bb.1148:                             ;   in Loop: Header=BB2_1061 Depth=4
	s_waitcnt vmcnt(0)
	v_and_b32_sdwa v77, v12, v114 dst_sel:DWORD dst_unused:UNUSED_PAD src0_sel:WORD_1 src1_sel:DWORD
	s_mov_b32 s17, 0
	s_mov_b32 s74, exec_lo
	v_cmpx_lt_i16_e32 0x7f, v77
	s_xor_b32 s74, exec_lo, s74
	s_cbranch_execz .LBB2_1655
; %bb.1149:                             ;   in Loop: Header=BB2_1061 Depth=4
	s_mov_b32 s17, -1
	s_mov_b32 s75, exec_lo
	v_cmpx_eq_u16_e32 0x80, v77
; %bb.1150:                             ;   in Loop: Header=BB2_1061 Depth=4
	s_xor_b32 s17, exec_lo, -1
; %bb.1151:                             ;   in Loop: Header=BB2_1061 Depth=4
	s_or_b32 exec_lo, exec_lo, s75
	s_and_b32 s17, s17, exec_lo
                                        ; implicit-def: $vgpr77
	s_or_saveexec_b32 s74, s74
	v_mov_b32_e32 v76, 0x7f800001
	s_xor_b32 exec_lo, exec_lo, s74
	s_cbranch_execnz .LBB2_1656
.LBB2_1152:                             ;   in Loop: Header=BB2_1061 Depth=4
	s_or_b32 exec_lo, exec_lo, s74
	s_and_saveexec_b32 s74, s17
	s_cbranch_execz .LBB2_1154
.LBB2_1153:                             ;   in Loop: Header=BB2_1061 Depth=4
	v_bfe_u32 v76, v12, 16, 3
	v_bfe_u32 v79, v12, 19, 4
	v_lshlrev_b32_sdwa v88, v113, v12 dst_sel:DWORD dst_unused:UNUSED_PAD src0_sel:DWORD src1_sel:WORD_1
	v_ffbh_u32_e32 v77, v76
	v_cmp_eq_u32_e32 vcc_lo, 0, v79
	v_min_u32_e32 v77, 32, v77
	v_subrev_nc_u32_e32 v78, 28, v77
	v_sub_nc_u32_e32 v77, 29, v77
	v_lshlrev_b32_sdwa v78, v78, v12 dst_sel:DWORD dst_unused:UNUSED_PAD src0_sel:DWORD src1_sel:WORD_1
	v_cndmask_b32_e32 v77, v79, v77, vcc_lo
	v_and_b32_e32 v78, 7, v78
	v_lshl_add_u32 v77, v77, 23, 0x3b800000
	v_cndmask_b32_e32 v76, v76, v78, vcc_lo
	v_and_b32_e32 v78, 0x80000000, v88
	v_lshlrev_b32_e32 v76, 20, v76
	v_or3_b32 v76, v78, v77, v76
.LBB2_1154:                             ;   in Loop: Header=BB2_1061 Depth=4
	s_or_b32 exec_lo, exec_lo, s74
	v_and_b32_sdwa v78, v8, v114 dst_sel:DWORD dst_unused:UNUSED_PAD src0_sel:WORD_1 src1_sel:DWORD
	s_mov_b32 s17, 0
	s_mov_b32 s74, exec_lo
	v_cmpx_lt_i16_e32 0x7f, v78
	s_xor_b32 s74, exec_lo, s74
	s_cbranch_execz .LBB2_1657
; %bb.1155:                             ;   in Loop: Header=BB2_1061 Depth=4
	s_mov_b32 s17, -1
	s_mov_b32 s75, exec_lo
	v_cmpx_eq_u16_e32 0x80, v78
; %bb.1156:                             ;   in Loop: Header=BB2_1061 Depth=4
	s_xor_b32 s17, exec_lo, -1
; %bb.1157:                             ;   in Loop: Header=BB2_1061 Depth=4
	s_or_b32 exec_lo, exec_lo, s75
	s_and_b32 s17, s17, exec_lo
                                        ; implicit-def: $vgpr78
	s_or_saveexec_b32 s74, s74
	v_mov_b32_e32 v77, 0x7f800001
	s_xor_b32 exec_lo, exec_lo, s74
	s_cbranch_execnz .LBB2_1658
.LBB2_1158:                             ;   in Loop: Header=BB2_1061 Depth=4
	s_or_b32 exec_lo, exec_lo, s74
	s_and_saveexec_b32 s74, s17
.LBB2_1159:                             ;   in Loop: Header=BB2_1061 Depth=4
	v_mov_b32_e32 v77, v75
.LBB2_1160:                             ;   in Loop: Header=BB2_1061 Depth=4
	s_or_b32 exec_lo, exec_lo, s74
	v_max_f32_e32 v75, v77, v77
	v_max_f32_e32 v76, v76, v76
	v_min_f32_e32 v76, v76, v75
.LBB2_1161:                             ;   in Loop: Header=BB2_1061 Depth=4
	v_and_b32_e32 v75, 0x7f800000, v76
	v_cmp_ne_u32_e32 vcc_lo, 0x7f800000, v75
	v_mov_b32_e32 v75, 0x80
	s_and_saveexec_b32 s74, vcc_lo
	s_cbranch_execz .LBB2_1169
; %bb.1162:                             ;   in Loop: Header=BB2_1061 Depth=4
	v_mov_b32_e32 v75, 0
	s_mov_b32 s75, exec_lo
	v_cmpx_ne_u32_e32 0, v76
	s_cbranch_execz .LBB2_1168
; %bb.1163:                             ;   in Loop: Header=BB2_1061 Depth=4
	v_bfe_u32 v75, v76, 23, 8
	v_and_b32_e32 v77, 0x7fffff, v76
	v_sub_nc_u32_e32 v78, 0x78, v75
	v_cmp_gt_u32_e32 vcc_lo, 0x79, v75
	v_or_b32_e32 v79, 0x800000, v77
	v_cndmask_b32_e32 v78, 0, v78, vcc_lo
	v_cmp_eq_u32_e32 vcc_lo, 0, v75
	v_add_nc_u32_e32 v75, 0xffffff89, v75
	v_cndmask_b32_e64 v78, v78, 0x77, vcc_lo
	v_cndmask_b32_e32 v77, v79, v77, vcc_lo
	v_cndmask_b32_e64 v75, v75, 0xffffff8a, vcc_lo
	v_lshl_add_u32 v79, 0x100000, v78, -1
	v_lshrrev_b32_e32 v88, v78, v77
	v_lshlrev_b32_e64 v90, v78, 0x80000
	v_add_nc_u32_e32 v78, v78, v75
	v_and_b32_e32 v77, v79, v77
	v_bfe_u32 v89, v88, 20, 1
	v_cmp_eq_u32_e64 s17, v77, v90
	v_add_nc_u32_e32 v79, -1, v89
	v_cndmask_b32_e64 v77, 0, v79, s17
	v_lshrrev_b32_e32 v79, 23, v88
	s_mov_b32 s17, exec_lo
	v_add_nc_u32_e32 v77, v77, v88
	v_xor_b32_e32 v79, 1, v79
	v_and_b32_e32 v75, 0xfffff, v77
	v_add_nc_u32_e32 v77, v75, v88
                                        ; implicit-def: $vgpr75
	v_cmpx_ne_u32_e64 v78, v79
	s_xor_b32 s17, exec_lo, s17
; %bb.1164:                             ;   in Loop: Header=BB2_1061 Depth=4
	v_cmp_lt_u32_e32 vcc_lo, 0xffffff, v77
	v_sub_nc_u32_e32 v75, v78, v79
	v_cndmask_b32_e64 v78, 0, 1, vcc_lo
	v_add_co_ci_u32_e64 v75, null, 0, v75, vcc_lo
	v_lshrrev_b32_e32 v77, v78, v77
; %bb.1165:                             ;   in Loop: Header=BB2_1061 Depth=4
	s_andn2_saveexec_b32 s17, s17
; %bb.1166:                             ;   in Loop: Header=BB2_1061 Depth=4
	v_bfe_u32 v75, v77, 23, 1
; %bb.1167:                             ;   in Loop: Header=BB2_1061 Depth=4
	s_or_b32 exec_lo, exec_lo, s17
	v_lshrrev_b32_e32 v77, 20, v77
	v_min_i32_e32 v78, 15, v75
	v_cmp_gt_i32_e32 vcc_lo, 16, v75
	v_and_b32_sdwa v76, v76, v103 dst_sel:DWORD dst_unused:UNUSED_PAD src0_sel:BYTE_3 src1_sel:DWORD
	v_lshlrev_b32_e32 v78, 3, v78
	v_cndmask_b32_e32 v77, 7, v77, vcc_lo
	v_and_b32_e32 v78, 0xf8, v78
	v_and_b32_e32 v79, 7, v77
	v_or_b32_e32 v75, v75, v77
	v_or3_b32 v76, v78, v76, v79
	v_cmp_ne_u32_e32 vcc_lo, 0, v75
	v_cndmask_b32_e32 v75, 0, v76, vcc_lo
.LBB2_1168:                             ;   in Loop: Header=BB2_1061 Depth=4
	s_or_b32 exec_lo, exec_lo, s75
.LBB2_1169:                             ;   in Loop: Header=BB2_1061 Depth=4
	s_or_b32 exec_lo, exec_lo, s74
	v_bfe_u32 v76, v8, 24, 3
	v_bfe_u32 v79, v8, 27, 4
	s_mov_b32 s17, -1
	v_ffbh_u32_e32 v77, v76
	v_cmp_eq_u32_e32 vcc_lo, 0, v79
	v_min_u32_e32 v77, 32, v77
	v_subrev_nc_u32_e32 v78, 28, v77
	v_sub_nc_u32_e32 v77, 29, v77
	v_lshlrev_b32_sdwa v78, v78, v8 dst_sel:DWORD dst_unused:UNUSED_PAD src0_sel:DWORD src1_sel:BYTE_3
	v_cndmask_b32_e32 v77, v79, v77, vcc_lo
	v_and_b32_e32 v78, 7, v78
	v_lshl_add_u32 v77, v77, 23, 0x3b800000
	v_cndmask_b32_e32 v76, v76, v78, vcc_lo
	v_and_b32_e32 v78, 0x80000000, v8
	s_and_b32 vcc_lo, exec_lo, s73
	v_lshlrev_b32_e32 v76, 20, v76
	v_or3_b32 v76, v78, v77, v76
                                        ; implicit-def: $vgpr77
	s_cbranch_vccz .LBB2_1183
; %bb.1170:                             ;   in Loop: Header=BB2_1061 Depth=4
	s_waitcnt vmcnt(0)
	v_cmp_gt_i16_sdwa s74, v12, v102 src0_sel:BYTE_3 src1_sel:DWORD
	s_mov_b32 s17, 0
	s_and_saveexec_b32 s75, s74
	s_xor_b32 s74, exec_lo, s75
	s_cbranch_execz .LBB2_1659
; %bb.1171:                             ;   in Loop: Header=BB2_1061 Depth=4
	v_cmp_eq_u16_sdwa s76, v12, v103 src0_sel:BYTE_3 src1_sel:DWORD
	s_mov_b32 s17, -1
	s_and_saveexec_b32 s75, s76
; %bb.1172:                             ;   in Loop: Header=BB2_1061 Depth=4
	s_xor_b32 s17, exec_lo, -1
; %bb.1173:                             ;   in Loop: Header=BB2_1061 Depth=4
	s_or_b32 exec_lo, exec_lo, s75
	s_and_b32 s17, s17, exec_lo
	s_or_saveexec_b32 s74, s74
	v_mov_b32_e32 v77, 0x7f800001
	s_xor_b32 exec_lo, exec_lo, s74
	s_cbranch_execnz .LBB2_1660
.LBB2_1174:                             ;   in Loop: Header=BB2_1061 Depth=4
	s_or_b32 exec_lo, exec_lo, s74
	s_and_saveexec_b32 s74, s17
	s_cbranch_execz .LBB2_1176
.LBB2_1175:                             ;   in Loop: Header=BB2_1061 Depth=4
	v_bfe_u32 v77, v12, 24, 3
	v_bfe_u32 v88, v12, 27, 4
	v_ffbh_u32_e32 v78, v77
	v_cmp_eq_u32_e32 vcc_lo, 0, v88
	v_min_u32_e32 v78, 32, v78
	v_subrev_nc_u32_e32 v79, 28, v78
	v_sub_nc_u32_e32 v78, 29, v78
	v_lshlrev_b32_sdwa v79, v79, v12 dst_sel:DWORD dst_unused:UNUSED_PAD src0_sel:DWORD src1_sel:BYTE_3
	v_cndmask_b32_e32 v78, v88, v78, vcc_lo
	v_and_b32_e32 v79, 7, v79
	v_lshl_add_u32 v78, v78, 23, 0x3b800000
	v_cndmask_b32_e32 v77, v77, v79, vcc_lo
	v_and_b32_e32 v79, 0x80000000, v12
	v_lshlrev_b32_e32 v77, 20, v77
	v_or3_b32 v77, v79, v78, v77
.LBB2_1176:                             ;   in Loop: Header=BB2_1061 Depth=4
	s_or_b32 exec_lo, exec_lo, s74
	v_cmp_gt_i16_sdwa s74, v8, v102 src0_sel:BYTE_3 src1_sel:DWORD
	s_mov_b32 s17, 0
	s_and_saveexec_b32 s75, s74
	s_xor_b32 s74, exec_lo, s75
	s_cbranch_execz .LBB2_1661
; %bb.1177:                             ;   in Loop: Header=BB2_1061 Depth=4
	v_cmp_eq_u16_sdwa s76, v8, v103 src0_sel:BYTE_3 src1_sel:DWORD
	s_mov_b32 s17, -1
	s_and_saveexec_b32 s75, s76
; %bb.1178:                             ;   in Loop: Header=BB2_1061 Depth=4
	s_xor_b32 s17, exec_lo, -1
; %bb.1179:                             ;   in Loop: Header=BB2_1061 Depth=4
	s_or_b32 exec_lo, exec_lo, s75
	s_and_b32 s17, s17, exec_lo
	s_or_saveexec_b32 s74, s74
	v_mov_b32_e32 v78, 0x7f800001
	s_xor_b32 exec_lo, exec_lo, s74
	s_cbranch_execnz .LBB2_1662
.LBB2_1180:                             ;   in Loop: Header=BB2_1061 Depth=4
	s_or_b32 exec_lo, exec_lo, s74
	s_and_saveexec_b32 s74, s17
.LBB2_1181:                             ;   in Loop: Header=BB2_1061 Depth=4
	v_mov_b32_e32 v78, v76
.LBB2_1182:                             ;   in Loop: Header=BB2_1061 Depth=4
	s_or_b32 exec_lo, exec_lo, s74
	v_max_f32_e32 v78, v78, v78
	v_max_f32_e32 v77, v77, v77
	s_mov_b32 s17, 0
	v_max_f32_e32 v77, v77, v78
.LBB2_1183:                             ;   in Loop: Header=BB2_1061 Depth=4
	s_and_b32 vcc_lo, exec_lo, s17
	s_cbranch_vccz .LBB2_1197
; %bb.1184:                             ;   in Loop: Header=BB2_1061 Depth=4
	s_waitcnt vmcnt(0)
	v_cmp_gt_i16_sdwa s74, v12, v102 src0_sel:BYTE_3 src1_sel:DWORD
	s_mov_b32 s17, 0
	s_and_saveexec_b32 s75, s74
	s_xor_b32 s74, exec_lo, s75
	s_cbranch_execz .LBB2_1663
; %bb.1185:                             ;   in Loop: Header=BB2_1061 Depth=4
	v_cmp_eq_u16_sdwa s76, v12, v103 src0_sel:BYTE_3 src1_sel:DWORD
	s_mov_b32 s17, -1
	s_and_saveexec_b32 s75, s76
; %bb.1186:                             ;   in Loop: Header=BB2_1061 Depth=4
	s_xor_b32 s17, exec_lo, -1
; %bb.1187:                             ;   in Loop: Header=BB2_1061 Depth=4
	s_or_b32 exec_lo, exec_lo, s75
	s_and_b32 s17, s17, exec_lo
	s_or_saveexec_b32 s74, s74
	v_mov_b32_e32 v77, 0x7f800001
	s_xor_b32 exec_lo, exec_lo, s74
	s_cbranch_execnz .LBB2_1664
.LBB2_1188:                             ;   in Loop: Header=BB2_1061 Depth=4
	s_or_b32 exec_lo, exec_lo, s74
	s_and_saveexec_b32 s74, s17
	s_cbranch_execz .LBB2_1190
.LBB2_1189:                             ;   in Loop: Header=BB2_1061 Depth=4
	v_bfe_u32 v77, v12, 24, 3
	v_bfe_u32 v88, v12, 27, 4
	v_ffbh_u32_e32 v78, v77
	v_cmp_eq_u32_e32 vcc_lo, 0, v88
	v_min_u32_e32 v78, 32, v78
	v_subrev_nc_u32_e32 v79, 28, v78
	v_sub_nc_u32_e32 v78, 29, v78
	v_lshlrev_b32_sdwa v79, v79, v12 dst_sel:DWORD dst_unused:UNUSED_PAD src0_sel:DWORD src1_sel:BYTE_3
	v_cndmask_b32_e32 v78, v88, v78, vcc_lo
	v_and_b32_e32 v12, 0x80000000, v12
	v_and_b32_e32 v79, 7, v79
	v_lshl_add_u32 v78, v78, 23, 0x3b800000
	v_cndmask_b32_e32 v77, v77, v79, vcc_lo
	v_lshlrev_b32_e32 v77, 20, v77
	v_or3_b32 v77, v12, v78, v77
.LBB2_1190:                             ;   in Loop: Header=BB2_1061 Depth=4
	s_or_b32 exec_lo, exec_lo, s74
	v_cmp_gt_i16_sdwa s74, v8, v102 src0_sel:BYTE_3 src1_sel:DWORD
	s_mov_b32 s17, 0
	s_and_saveexec_b32 s75, s74
	s_xor_b32 s74, exec_lo, s75
	s_cbranch_execz .LBB2_1665
; %bb.1191:                             ;   in Loop: Header=BB2_1061 Depth=4
	v_cmp_eq_u16_sdwa s76, v8, v103 src0_sel:BYTE_3 src1_sel:DWORD
	s_mov_b32 s17, -1
	s_and_saveexec_b32 s75, s76
; %bb.1192:                             ;   in Loop: Header=BB2_1061 Depth=4
	s_xor_b32 s17, exec_lo, -1
; %bb.1193:                             ;   in Loop: Header=BB2_1061 Depth=4
	s_or_b32 exec_lo, exec_lo, s75
	s_and_b32 s17, s17, exec_lo
	s_or_saveexec_b32 s74, s74
	v_mov_b32_e32 v12, 0x7f800001
	s_xor_b32 exec_lo, exec_lo, s74
	s_cbranch_execnz .LBB2_1666
.LBB2_1194:                             ;   in Loop: Header=BB2_1061 Depth=4
	s_or_b32 exec_lo, exec_lo, s74
	s_and_saveexec_b32 s74, s17
.LBB2_1195:                             ;   in Loop: Header=BB2_1061 Depth=4
	v_mov_b32_e32 v12, v76
.LBB2_1196:                             ;   in Loop: Header=BB2_1061 Depth=4
	s_or_b32 exec_lo, exec_lo, s74
	v_max_f32_e32 v8, v12, v12
	v_max_f32_e32 v12, v77, v77
	v_min_f32_e32 v77, v12, v8
.LBB2_1197:                             ;   in Loop: Header=BB2_1061 Depth=4
	v_and_b32_e32 v8, 0x7f800000, v77
	s_waitcnt vmcnt(0)
	v_mov_b32_e32 v12, 0x8000
	s_mov_b32 s74, exec_lo
	v_cmpx_ne_u32_e32 0x7f800000, v8
	s_cbranch_execz .LBB2_1205
; %bb.1198:                             ;   in Loop: Header=BB2_1061 Depth=4
	v_mov_b32_e32 v12, 0
	s_mov_b32 s75, exec_lo
	v_cmpx_ne_u32_e32 0, v77
	s_cbranch_execz .LBB2_1204
; %bb.1199:                             ;   in Loop: Header=BB2_1061 Depth=4
	v_bfe_u32 v8, v77, 23, 8
	v_and_b32_e32 v12, 0x7fffff, v77
	v_sub_nc_u32_e32 v76, 0x78, v8
	v_cmp_gt_u32_e32 vcc_lo, 0x79, v8
	v_or_b32_e32 v78, 0x800000, v12
	v_cndmask_b32_e32 v76, 0, v76, vcc_lo
	v_cmp_eq_u32_e32 vcc_lo, 0, v8
	v_add_nc_u32_e32 v8, 0xffffff89, v8
	v_cndmask_b32_e64 v76, v76, 0x77, vcc_lo
	v_cndmask_b32_e32 v12, v78, v12, vcc_lo
	v_cndmask_b32_e64 v8, v8, 0xffffff8a, vcc_lo
	v_lshl_add_u32 v78, 0x100000, v76, -1
	v_lshrrev_b32_e32 v79, v76, v12
	v_lshlrev_b32_e64 v89, v76, 0x80000
	v_add_nc_u32_e32 v76, v76, v8
	v_and_b32_e32 v12, v78, v12
	v_bfe_u32 v88, v79, 20, 1
	v_cmp_eq_u32_e64 s17, v12, v89
	v_add_nc_u32_e32 v78, -1, v88
	v_cndmask_b32_e64 v12, 0, v78, s17
	v_lshrrev_b32_e32 v78, 23, v79
	s_mov_b32 s17, exec_lo
	v_add_nc_u32_e32 v12, v12, v79
	v_xor_b32_e32 v78, 1, v78
	v_and_b32_e32 v8, 0xfffff, v12
	v_add_nc_u32_e32 v12, v8, v79
                                        ; implicit-def: $vgpr8
	v_cmpx_ne_u32_e64 v76, v78
	s_xor_b32 s17, exec_lo, s17
; %bb.1200:                             ;   in Loop: Header=BB2_1061 Depth=4
	v_cmp_lt_u32_e32 vcc_lo, 0xffffff, v12
	v_sub_nc_u32_e32 v8, v76, v78
	v_cndmask_b32_e64 v76, 0, 1, vcc_lo
	v_add_co_ci_u32_e64 v8, null, 0, v8, vcc_lo
	v_lshrrev_b32_e32 v12, v76, v12
; %bb.1201:                             ;   in Loop: Header=BB2_1061 Depth=4
	s_andn2_saveexec_b32 s17, s17
; %bb.1202:                             ;   in Loop: Header=BB2_1061 Depth=4
	v_bfe_u32 v8, v12, 23, 1
; %bb.1203:                             ;   in Loop: Header=BB2_1061 Depth=4
	s_or_b32 exec_lo, exec_lo, s17
	v_lshrrev_b32_e32 v12, 20, v12
	v_min_i32_e32 v76, 15, v8
	v_cmp_gt_i32_e32 vcc_lo, 16, v8
	v_and_b32_sdwa v77, v77, v103 dst_sel:DWORD dst_unused:UNUSED_PAD src0_sel:BYTE_3 src1_sel:DWORD
	v_lshlrev_b32_e32 v76, 3, v76
	v_cndmask_b32_e32 v12, 7, v12, vcc_lo
	v_and_b32_e32 v76, 0xf8, v76
	v_and_b32_e32 v78, 7, v12
	v_or_b32_e32 v8, v8, v12
	v_or3_b32 v76, v77, v76, v78
	v_cmp_ne_u32_e32 vcc_lo, 0, v8
	v_lshlrev_b32_e32 v12, 8, v76
	v_cndmask_b32_e32 v12, 0, v12, vcc_lo
.LBB2_1204:                             ;   in Loop: Header=BB2_1061 Depth=4
	s_or_b32 exec_lo, exec_lo, s75
.LBB2_1205:                             ;   in Loop: Header=BB2_1061 Depth=4
	s_or_b32 exec_lo, exec_lo, s74
	v_and_b32_e32 v8, 7, v9
	v_bfe_u32 v78, v9, 3, 4
	v_lshlrev_b32_e32 v79, 24, v9
	s_mov_b32 s17, -1
	v_ffbh_u32_e32 v76, v8
	v_cmp_eq_u32_e32 vcc_lo, 0, v78
	v_min_u32_e32 v76, 32, v76
	v_subrev_nc_u32_e32 v77, 28, v76
	v_sub_nc_u32_e32 v76, 29, v76
	v_lshlrev_b32_e32 v77, v77, v9
	v_cndmask_b32_e32 v76, v78, v76, vcc_lo
	v_and_b32_e32 v77, 7, v77
	v_lshl_add_u32 v76, v76, 23, 0x3b800000
	v_cndmask_b32_e32 v8, v8, v77, vcc_lo
	v_and_b32_e32 v77, 0x80000000, v79
	s_and_b32 vcc_lo, exec_lo, s73
	v_lshlrev_b32_e32 v8, 20, v8
	v_or3_b32 v8, v77, v76, v8
                                        ; implicit-def: $vgpr77
	s_cbranch_vccz .LBB2_1219
; %bb.1206:                             ;   in Loop: Header=BB2_1061 Depth=4
	v_cmp_gt_i16_sdwa s74, v13, v102 src0_sel:BYTE_0 src1_sel:DWORD
	s_mov_b32 s17, 0
	s_and_saveexec_b32 s75, s74
	s_xor_b32 s74, exec_lo, s75
	s_cbranch_execz .LBB2_1667
; %bb.1207:                             ;   in Loop: Header=BB2_1061 Depth=4
	v_cmp_eq_u16_sdwa s76, v13, v103 src0_sel:BYTE_0 src1_sel:DWORD
	s_mov_b32 s17, -1
	s_and_saveexec_b32 s75, s76
; %bb.1208:                             ;   in Loop: Header=BB2_1061 Depth=4
	s_xor_b32 s17, exec_lo, -1
; %bb.1209:                             ;   in Loop: Header=BB2_1061 Depth=4
	s_or_b32 exec_lo, exec_lo, s75
	s_and_b32 s17, s17, exec_lo
	s_or_saveexec_b32 s74, s74
	v_mov_b32_e32 v76, 0x7f800001
	s_xor_b32 exec_lo, exec_lo, s74
	s_cbranch_execnz .LBB2_1668
.LBB2_1210:                             ;   in Loop: Header=BB2_1061 Depth=4
	s_or_b32 exec_lo, exec_lo, s74
	s_and_saveexec_b32 s74, s17
	s_cbranch_execz .LBB2_1212
.LBB2_1211:                             ;   in Loop: Header=BB2_1061 Depth=4
	v_and_b32_e32 v76, 7, v13
	v_bfe_u32 v79, v13, 3, 4
	v_lshlrev_b32_e32 v88, 24, v13
	v_ffbh_u32_e32 v77, v76
	v_cmp_eq_u32_e32 vcc_lo, 0, v79
	v_min_u32_e32 v77, 32, v77
	v_subrev_nc_u32_e32 v78, 28, v77
	v_sub_nc_u32_e32 v77, 29, v77
	v_lshlrev_b32_e32 v78, v78, v13
	v_cndmask_b32_e32 v77, v79, v77, vcc_lo
	v_and_b32_e32 v78, 7, v78
	v_lshl_add_u32 v77, v77, 23, 0x3b800000
	v_cndmask_b32_e32 v76, v76, v78, vcc_lo
	v_and_b32_e32 v78, 0x80000000, v88
	v_lshlrev_b32_e32 v76, 20, v76
	v_or3_b32 v76, v78, v77, v76
.LBB2_1212:                             ;   in Loop: Header=BB2_1061 Depth=4
	s_or_b32 exec_lo, exec_lo, s74
	v_cmp_gt_i16_sdwa s74, v9, v102 src0_sel:BYTE_0 src1_sel:DWORD
	s_mov_b32 s17, 0
	s_and_saveexec_b32 s75, s74
	s_xor_b32 s74, exec_lo, s75
	s_cbranch_execz .LBB2_1669
; %bb.1213:                             ;   in Loop: Header=BB2_1061 Depth=4
	v_cmp_eq_u16_sdwa s76, v9, v103 src0_sel:BYTE_0 src1_sel:DWORD
	s_mov_b32 s17, -1
	s_and_saveexec_b32 s75, s76
; %bb.1214:                             ;   in Loop: Header=BB2_1061 Depth=4
	s_xor_b32 s17, exec_lo, -1
; %bb.1215:                             ;   in Loop: Header=BB2_1061 Depth=4
	s_or_b32 exec_lo, exec_lo, s75
	s_and_b32 s17, s17, exec_lo
	s_or_saveexec_b32 s74, s74
	v_mov_b32_e32 v77, 0x7f800001
	s_xor_b32 exec_lo, exec_lo, s74
	s_cbranch_execnz .LBB2_1670
.LBB2_1216:                             ;   in Loop: Header=BB2_1061 Depth=4
	s_or_b32 exec_lo, exec_lo, s74
	s_and_saveexec_b32 s74, s17
.LBB2_1217:                             ;   in Loop: Header=BB2_1061 Depth=4
	v_mov_b32_e32 v77, v8
.LBB2_1218:                             ;   in Loop: Header=BB2_1061 Depth=4
	s_or_b32 exec_lo, exec_lo, s74
	v_max_f32_e32 v77, v77, v77
	v_max_f32_e32 v76, v76, v76
	s_mov_b32 s17, 0
	v_max_f32_e32 v77, v76, v77
.LBB2_1219:                             ;   in Loop: Header=BB2_1061 Depth=4
	s_and_b32 vcc_lo, exec_lo, s17
	s_cbranch_vccz .LBB2_1233
; %bb.1220:                             ;   in Loop: Header=BB2_1061 Depth=4
	v_cmp_gt_i16_sdwa s74, v13, v102 src0_sel:BYTE_0 src1_sel:DWORD
	s_mov_b32 s17, 0
	s_and_saveexec_b32 s75, s74
	s_xor_b32 s74, exec_lo, s75
	s_cbranch_execz .LBB2_1671
; %bb.1221:                             ;   in Loop: Header=BB2_1061 Depth=4
	v_cmp_eq_u16_sdwa s76, v13, v103 src0_sel:BYTE_0 src1_sel:DWORD
	s_mov_b32 s17, -1
	s_and_saveexec_b32 s75, s76
; %bb.1222:                             ;   in Loop: Header=BB2_1061 Depth=4
	s_xor_b32 s17, exec_lo, -1
; %bb.1223:                             ;   in Loop: Header=BB2_1061 Depth=4
	s_or_b32 exec_lo, exec_lo, s75
	s_and_b32 s17, s17, exec_lo
	s_or_saveexec_b32 s74, s74
	v_mov_b32_e32 v76, 0x7f800001
	s_xor_b32 exec_lo, exec_lo, s74
	s_cbranch_execnz .LBB2_1672
.LBB2_1224:                             ;   in Loop: Header=BB2_1061 Depth=4
	s_or_b32 exec_lo, exec_lo, s74
	s_and_saveexec_b32 s74, s17
	s_cbranch_execz .LBB2_1226
.LBB2_1225:                             ;   in Loop: Header=BB2_1061 Depth=4
	v_and_b32_e32 v76, 7, v13
	v_bfe_u32 v79, v13, 3, 4
	v_lshlrev_b32_e32 v88, 24, v13
	v_ffbh_u32_e32 v77, v76
	v_cmp_eq_u32_e32 vcc_lo, 0, v79
	v_min_u32_e32 v77, 32, v77
	v_subrev_nc_u32_e32 v78, 28, v77
	v_sub_nc_u32_e32 v77, 29, v77
	v_lshlrev_b32_e32 v78, v78, v13
	v_cndmask_b32_e32 v77, v79, v77, vcc_lo
	v_and_b32_e32 v78, 7, v78
	v_lshl_add_u32 v77, v77, 23, 0x3b800000
	v_cndmask_b32_e32 v76, v76, v78, vcc_lo
	v_and_b32_e32 v78, 0x80000000, v88
	v_lshlrev_b32_e32 v76, 20, v76
	v_or3_b32 v76, v78, v77, v76
.LBB2_1226:                             ;   in Loop: Header=BB2_1061 Depth=4
	s_or_b32 exec_lo, exec_lo, s74
	v_cmp_gt_i16_sdwa s74, v9, v102 src0_sel:BYTE_0 src1_sel:DWORD
	s_mov_b32 s17, 0
	s_and_saveexec_b32 s75, s74
	s_xor_b32 s74, exec_lo, s75
	s_cbranch_execz .LBB2_1673
; %bb.1227:                             ;   in Loop: Header=BB2_1061 Depth=4
	v_cmp_eq_u16_sdwa s76, v9, v103 src0_sel:BYTE_0 src1_sel:DWORD
	s_mov_b32 s17, -1
	s_and_saveexec_b32 s75, s76
; %bb.1228:                             ;   in Loop: Header=BB2_1061 Depth=4
	s_xor_b32 s17, exec_lo, -1
; %bb.1229:                             ;   in Loop: Header=BB2_1061 Depth=4
	s_or_b32 exec_lo, exec_lo, s75
	s_and_b32 s17, s17, exec_lo
	s_or_saveexec_b32 s74, s74
	v_mov_b32_e32 v77, 0x7f800001
	s_xor_b32 exec_lo, exec_lo, s74
	s_cbranch_execnz .LBB2_1674
.LBB2_1230:                             ;   in Loop: Header=BB2_1061 Depth=4
	s_or_b32 exec_lo, exec_lo, s74
	s_and_saveexec_b32 s74, s17
.LBB2_1231:                             ;   in Loop: Header=BB2_1061 Depth=4
	v_mov_b32_e32 v77, v8
.LBB2_1232:                             ;   in Loop: Header=BB2_1061 Depth=4
	s_or_b32 exec_lo, exec_lo, s74
	v_max_f32_e32 v8, v77, v77
	v_max_f32_e32 v76, v76, v76
	v_min_f32_e32 v77, v76, v8
.LBB2_1233:                             ;   in Loop: Header=BB2_1061 Depth=4
	v_and_b32_e32 v8, 0x7f800000, v77
	v_mov_b32_e32 v76, 0x80
	s_mov_b32 s74, exec_lo
	v_cmpx_ne_u32_e32 0x7f800000, v8
	s_cbranch_execz .LBB2_1241
; %bb.1234:                             ;   in Loop: Header=BB2_1061 Depth=4
	v_mov_b32_e32 v76, 0
	s_mov_b32 s75, exec_lo
	v_cmpx_ne_u32_e32 0, v77
	s_cbranch_execz .LBB2_1240
; %bb.1235:                             ;   in Loop: Header=BB2_1061 Depth=4
	v_bfe_u32 v8, v77, 23, 8
	v_and_b32_e32 v76, 0x7fffff, v77
	v_sub_nc_u32_e32 v78, 0x78, v8
	v_cmp_gt_u32_e32 vcc_lo, 0x79, v8
	v_or_b32_e32 v79, 0x800000, v76
	v_cndmask_b32_e32 v78, 0, v78, vcc_lo
	v_cmp_eq_u32_e32 vcc_lo, 0, v8
	v_add_nc_u32_e32 v8, 0xffffff89, v8
	v_cndmask_b32_e64 v78, v78, 0x77, vcc_lo
	v_cndmask_b32_e32 v76, v79, v76, vcc_lo
	v_cndmask_b32_e64 v8, v8, 0xffffff8a, vcc_lo
	v_lshl_add_u32 v79, 0x100000, v78, -1
	v_lshrrev_b32_e32 v88, v78, v76
	v_lshlrev_b32_e64 v90, v78, 0x80000
	v_add_nc_u32_e32 v78, v78, v8
	v_and_b32_e32 v76, v79, v76
	v_bfe_u32 v89, v88, 20, 1
	v_cmp_eq_u32_e64 s17, v76, v90
	v_add_nc_u32_e32 v79, -1, v89
	v_cndmask_b32_e64 v76, 0, v79, s17
	v_lshrrev_b32_e32 v79, 23, v88
	s_mov_b32 s17, exec_lo
	v_add_nc_u32_e32 v76, v76, v88
	v_xor_b32_e32 v79, 1, v79
	v_and_b32_e32 v8, 0xfffff, v76
	v_add_nc_u32_e32 v76, v8, v88
                                        ; implicit-def: $vgpr8
	v_cmpx_ne_u32_e64 v78, v79
	s_xor_b32 s17, exec_lo, s17
; %bb.1236:                             ;   in Loop: Header=BB2_1061 Depth=4
	v_cmp_lt_u32_e32 vcc_lo, 0xffffff, v76
	v_sub_nc_u32_e32 v8, v78, v79
	v_cndmask_b32_e64 v78, 0, 1, vcc_lo
	v_add_co_ci_u32_e64 v8, null, 0, v8, vcc_lo
	v_lshrrev_b32_e32 v76, v78, v76
; %bb.1237:                             ;   in Loop: Header=BB2_1061 Depth=4
	s_andn2_saveexec_b32 s17, s17
; %bb.1238:                             ;   in Loop: Header=BB2_1061 Depth=4
	v_bfe_u32 v8, v76, 23, 1
; %bb.1239:                             ;   in Loop: Header=BB2_1061 Depth=4
	s_or_b32 exec_lo, exec_lo, s17
	v_lshrrev_b32_e32 v76, 20, v76
	v_min_i32_e32 v78, 15, v8
	v_cmp_gt_i32_e32 vcc_lo, 16, v8
	v_and_b32_sdwa v77, v77, v103 dst_sel:DWORD dst_unused:UNUSED_PAD src0_sel:BYTE_3 src1_sel:DWORD
	v_lshlrev_b32_e32 v78, 3, v78
	v_cndmask_b32_e32 v76, 7, v76, vcc_lo
	v_and_b32_e32 v78, 0xf8, v78
	v_and_b32_e32 v79, 7, v76
	v_or_b32_e32 v8, v8, v76
	v_or3_b32 v76, v78, v77, v79
	v_cmp_ne_u32_e32 vcc_lo, 0, v8
	v_cndmask_b32_e32 v76, 0, v76, vcc_lo
.LBB2_1240:                             ;   in Loop: Header=BB2_1061 Depth=4
	s_or_b32 exec_lo, exec_lo, s75
.LBB2_1241:                             ;   in Loop: Header=BB2_1061 Depth=4
	s_or_b32 exec_lo, exec_lo, s74
	v_and_b32_sdwa v8, v112, v9 dst_sel:DWORD dst_unused:UNUSED_PAD src0_sel:DWORD src1_sel:BYTE_1
	s_mov_b32 s17, -1
	v_and_b32_e32 v77, 7, v8
	v_bfe_u32 v88, v8, 3, 4
	v_ffbh_u32_e32 v78, v77
	v_cmp_eq_u32_e32 vcc_lo, 0, v88
	v_min_u32_e32 v78, 32, v78
	v_subrev_nc_u32_e32 v79, 28, v78
	v_sub_nc_u32_e32 v78, 29, v78
	v_lshlrev_b32_e32 v8, v79, v8
	v_lshlrev_b32_sdwa v79, v113, v9 dst_sel:DWORD dst_unused:UNUSED_PAD src0_sel:DWORD src1_sel:BYTE_1
	v_cndmask_b32_e32 v78, v88, v78, vcc_lo
	v_and_b32_e32 v8, 7, v8
	v_lshl_add_u32 v78, v78, 23, 0x3b800000
	v_cndmask_b32_e32 v8, v77, v8, vcc_lo
	v_and_b32_e32 v77, 0x80000000, v79
	s_and_b32 vcc_lo, exec_lo, s73
	v_lshlrev_b32_e32 v8, 20, v8
	v_or3_b32 v8, v77, v78, v8
                                        ; implicit-def: $vgpr78
	s_cbranch_vccz .LBB2_1255
; %bb.1242:                             ;   in Loop: Header=BB2_1061 Depth=4
	v_cmp_gt_i16_sdwa s74, v13, v102 src0_sel:BYTE_1 src1_sel:DWORD
	s_mov_b32 s17, 0
	s_and_saveexec_b32 s75, s74
	s_xor_b32 s74, exec_lo, s75
	s_cbranch_execz .LBB2_1675
; %bb.1243:                             ;   in Loop: Header=BB2_1061 Depth=4
	v_cmp_eq_u16_sdwa s76, v13, v103 src0_sel:BYTE_1 src1_sel:DWORD
	s_mov_b32 s17, -1
	s_and_saveexec_b32 s75, s76
; %bb.1244:                             ;   in Loop: Header=BB2_1061 Depth=4
	s_xor_b32 s17, exec_lo, -1
; %bb.1245:                             ;   in Loop: Header=BB2_1061 Depth=4
	s_or_b32 exec_lo, exec_lo, s75
	s_and_b32 s17, s17, exec_lo
	s_or_saveexec_b32 s74, s74
	v_mov_b32_e32 v77, 0x7f800001
	s_xor_b32 exec_lo, exec_lo, s74
	s_cbranch_execnz .LBB2_1676
.LBB2_1246:                             ;   in Loop: Header=BB2_1061 Depth=4
	s_or_b32 exec_lo, exec_lo, s74
	s_and_saveexec_b32 s74, s17
	s_cbranch_execz .LBB2_1248
.LBB2_1247:                             ;   in Loop: Header=BB2_1061 Depth=4
	v_and_b32_sdwa v77, v112, v13 dst_sel:DWORD dst_unused:UNUSED_PAD src0_sel:DWORD src1_sel:BYTE_1
	v_and_b32_e32 v78, 7, v77
	v_bfe_u32 v89, v77, 3, 4
	v_ffbh_u32_e32 v79, v78
	v_cmp_eq_u32_e32 vcc_lo, 0, v89
	v_min_u32_e32 v79, 32, v79
	v_subrev_nc_u32_e32 v88, 28, v79
	v_sub_nc_u32_e32 v79, 29, v79
	v_lshlrev_b32_e32 v77, v88, v77
	v_lshlrev_b32_e32 v88, 16, v13
	v_cndmask_b32_e32 v79, v89, v79, vcc_lo
	v_and_b32_e32 v77, 7, v77
	v_lshl_add_u32 v79, v79, 23, 0x3b800000
	v_cndmask_b32_e32 v77, v78, v77, vcc_lo
	v_and_b32_e32 v78, 0x80000000, v88
	v_lshlrev_b32_e32 v77, 20, v77
	v_or3_b32 v77, v78, v79, v77
.LBB2_1248:                             ;   in Loop: Header=BB2_1061 Depth=4
	s_or_b32 exec_lo, exec_lo, s74
	v_cmp_gt_i16_sdwa s74, v9, v102 src0_sel:BYTE_1 src1_sel:DWORD
	s_mov_b32 s17, 0
	s_and_saveexec_b32 s75, s74
	s_xor_b32 s74, exec_lo, s75
	s_cbranch_execz .LBB2_1677
; %bb.1249:                             ;   in Loop: Header=BB2_1061 Depth=4
	v_cmp_eq_u16_sdwa s76, v9, v103 src0_sel:BYTE_1 src1_sel:DWORD
	s_mov_b32 s17, -1
	s_and_saveexec_b32 s75, s76
; %bb.1250:                             ;   in Loop: Header=BB2_1061 Depth=4
	s_xor_b32 s17, exec_lo, -1
; %bb.1251:                             ;   in Loop: Header=BB2_1061 Depth=4
	s_or_b32 exec_lo, exec_lo, s75
	s_and_b32 s17, s17, exec_lo
	s_or_saveexec_b32 s74, s74
	v_mov_b32_e32 v78, 0x7f800001
	s_xor_b32 exec_lo, exec_lo, s74
	s_cbranch_execnz .LBB2_1678
.LBB2_1252:                             ;   in Loop: Header=BB2_1061 Depth=4
	s_or_b32 exec_lo, exec_lo, s74
	s_and_saveexec_b32 s74, s17
.LBB2_1253:                             ;   in Loop: Header=BB2_1061 Depth=4
	v_mov_b32_e32 v78, v8
.LBB2_1254:                             ;   in Loop: Header=BB2_1061 Depth=4
	s_or_b32 exec_lo, exec_lo, s74
	v_max_f32_e32 v78, v78, v78
	v_max_f32_e32 v77, v77, v77
	s_mov_b32 s17, 0
	v_max_f32_e32 v78, v77, v78
.LBB2_1255:                             ;   in Loop: Header=BB2_1061 Depth=4
	s_and_b32 vcc_lo, exec_lo, s17
	s_cbranch_vccz .LBB2_1269
; %bb.1256:                             ;   in Loop: Header=BB2_1061 Depth=4
	v_cmp_gt_i16_sdwa s74, v13, v102 src0_sel:BYTE_1 src1_sel:DWORD
	s_mov_b32 s17, 0
	s_and_saveexec_b32 s75, s74
	s_xor_b32 s74, exec_lo, s75
	s_cbranch_execz .LBB2_1679
; %bb.1257:                             ;   in Loop: Header=BB2_1061 Depth=4
	v_cmp_eq_u16_sdwa s76, v13, v103 src0_sel:BYTE_1 src1_sel:DWORD
	s_mov_b32 s17, -1
	s_and_saveexec_b32 s75, s76
; %bb.1258:                             ;   in Loop: Header=BB2_1061 Depth=4
	s_xor_b32 s17, exec_lo, -1
; %bb.1259:                             ;   in Loop: Header=BB2_1061 Depth=4
	s_or_b32 exec_lo, exec_lo, s75
	s_and_b32 s17, s17, exec_lo
	s_or_saveexec_b32 s74, s74
	v_mov_b32_e32 v77, 0x7f800001
	s_xor_b32 exec_lo, exec_lo, s74
	s_cbranch_execnz .LBB2_1680
.LBB2_1260:                             ;   in Loop: Header=BB2_1061 Depth=4
	s_or_b32 exec_lo, exec_lo, s74
	s_and_saveexec_b32 s74, s17
	s_cbranch_execz .LBB2_1262
.LBB2_1261:                             ;   in Loop: Header=BB2_1061 Depth=4
	v_and_b32_sdwa v77, v112, v13 dst_sel:DWORD dst_unused:UNUSED_PAD src0_sel:DWORD src1_sel:BYTE_1
	v_and_b32_e32 v78, 7, v77
	v_bfe_u32 v89, v77, 3, 4
	v_ffbh_u32_e32 v79, v78
	v_cmp_eq_u32_e32 vcc_lo, 0, v89
	v_min_u32_e32 v79, 32, v79
	v_subrev_nc_u32_e32 v88, 28, v79
	v_sub_nc_u32_e32 v79, 29, v79
	v_lshlrev_b32_e32 v77, v88, v77
	v_lshlrev_b32_e32 v88, 16, v13
	v_cndmask_b32_e32 v79, v89, v79, vcc_lo
	v_and_b32_e32 v77, 7, v77
	v_lshl_add_u32 v79, v79, 23, 0x3b800000
	v_cndmask_b32_e32 v77, v78, v77, vcc_lo
	v_and_b32_e32 v78, 0x80000000, v88
	v_lshlrev_b32_e32 v77, 20, v77
	v_or3_b32 v77, v78, v79, v77
.LBB2_1262:                             ;   in Loop: Header=BB2_1061 Depth=4
	s_or_b32 exec_lo, exec_lo, s74
	v_cmp_gt_i16_sdwa s74, v9, v102 src0_sel:BYTE_1 src1_sel:DWORD
	s_mov_b32 s17, 0
	s_and_saveexec_b32 s75, s74
	s_xor_b32 s74, exec_lo, s75
	s_cbranch_execz .LBB2_1681
; %bb.1263:                             ;   in Loop: Header=BB2_1061 Depth=4
	v_cmp_eq_u16_sdwa s76, v9, v103 src0_sel:BYTE_1 src1_sel:DWORD
	s_mov_b32 s17, -1
	s_and_saveexec_b32 s75, s76
; %bb.1264:                             ;   in Loop: Header=BB2_1061 Depth=4
	s_xor_b32 s17, exec_lo, -1
; %bb.1265:                             ;   in Loop: Header=BB2_1061 Depth=4
	s_or_b32 exec_lo, exec_lo, s75
	s_and_b32 s17, s17, exec_lo
	s_or_saveexec_b32 s74, s74
	v_mov_b32_e32 v78, 0x7f800001
	s_xor_b32 exec_lo, exec_lo, s74
	s_cbranch_execnz .LBB2_1682
.LBB2_1266:                             ;   in Loop: Header=BB2_1061 Depth=4
	s_or_b32 exec_lo, exec_lo, s74
	s_and_saveexec_b32 s74, s17
.LBB2_1267:                             ;   in Loop: Header=BB2_1061 Depth=4
	v_mov_b32_e32 v78, v8
.LBB2_1268:                             ;   in Loop: Header=BB2_1061 Depth=4
	s_or_b32 exec_lo, exec_lo, s74
	v_max_f32_e32 v8, v78, v78
	v_max_f32_e32 v77, v77, v77
	v_min_f32_e32 v78, v77, v8
.LBB2_1269:                             ;   in Loop: Header=BB2_1061 Depth=4
	v_and_b32_e32 v8, 0x7f800000, v78
	v_mov_b32_e32 v77, 0x8000
	s_mov_b32 s74, exec_lo
	v_cmpx_ne_u32_e32 0x7f800000, v8
	s_cbranch_execz .LBB2_1277
; %bb.1270:                             ;   in Loop: Header=BB2_1061 Depth=4
	v_mov_b32_e32 v77, 0
	s_mov_b32 s75, exec_lo
	v_cmpx_ne_u32_e32 0, v78
	s_cbranch_execz .LBB2_1276
; %bb.1271:                             ;   in Loop: Header=BB2_1061 Depth=4
	v_bfe_u32 v8, v78, 23, 8
	v_and_b32_e32 v77, 0x7fffff, v78
	v_sub_nc_u32_e32 v79, 0x78, v8
	v_cmp_gt_u32_e32 vcc_lo, 0x79, v8
	v_or_b32_e32 v88, 0x800000, v77
	v_cndmask_b32_e32 v79, 0, v79, vcc_lo
	v_cmp_eq_u32_e32 vcc_lo, 0, v8
	v_add_nc_u32_e32 v8, 0xffffff89, v8
	v_cndmask_b32_e64 v79, v79, 0x77, vcc_lo
	v_cndmask_b32_e32 v77, v88, v77, vcc_lo
	v_cndmask_b32_e64 v8, v8, 0xffffff8a, vcc_lo
	v_lshl_add_u32 v88, 0x100000, v79, -1
	v_lshrrev_b32_e32 v89, v79, v77
	v_lshlrev_b32_e64 v91, v79, 0x80000
	v_add_nc_u32_e32 v79, v79, v8
	v_and_b32_e32 v77, v88, v77
	v_bfe_u32 v90, v89, 20, 1
	v_cmp_eq_u32_e64 s17, v77, v91
	v_add_nc_u32_e32 v88, -1, v90
	v_cndmask_b32_e64 v77, 0, v88, s17
	v_lshrrev_b32_e32 v88, 23, v89
	s_mov_b32 s17, exec_lo
	v_add_nc_u32_e32 v77, v77, v89
	v_xor_b32_e32 v88, 1, v88
	v_and_b32_e32 v8, 0xfffff, v77
	v_add_nc_u32_e32 v77, v8, v89
                                        ; implicit-def: $vgpr8
	v_cmpx_ne_u32_e64 v79, v88
	s_xor_b32 s17, exec_lo, s17
; %bb.1272:                             ;   in Loop: Header=BB2_1061 Depth=4
	v_cmp_lt_u32_e32 vcc_lo, 0xffffff, v77
	v_sub_nc_u32_e32 v8, v79, v88
	v_cndmask_b32_e64 v79, 0, 1, vcc_lo
	v_add_co_ci_u32_e64 v8, null, 0, v8, vcc_lo
	v_lshrrev_b32_e32 v77, v79, v77
; %bb.1273:                             ;   in Loop: Header=BB2_1061 Depth=4
	s_andn2_saveexec_b32 s17, s17
; %bb.1274:                             ;   in Loop: Header=BB2_1061 Depth=4
	v_bfe_u32 v8, v77, 23, 1
; %bb.1275:                             ;   in Loop: Header=BB2_1061 Depth=4
	s_or_b32 exec_lo, exec_lo, s17
	v_lshrrev_b32_e32 v77, 20, v77
	v_min_i32_e32 v79, 15, v8
	v_cmp_gt_i32_e32 vcc_lo, 16, v8
	v_and_b32_sdwa v78, v78, v103 dst_sel:DWORD dst_unused:UNUSED_PAD src0_sel:BYTE_3 src1_sel:DWORD
	v_lshlrev_b32_e32 v79, 3, v79
	v_cndmask_b32_e32 v77, 7, v77, vcc_lo
	v_and_b32_e32 v79, 0xf8, v79
	v_and_b32_e32 v88, 7, v77
	v_or_b32_e32 v8, v8, v77
	v_or3_b32 v78, v78, v79, v88
	v_cmp_ne_u32_e32 vcc_lo, 0, v8
	v_lshlrev_b32_e32 v77, 8, v78
	v_cndmask_b32_e32 v77, 0, v77, vcc_lo
.LBB2_1276:                             ;   in Loop: Header=BB2_1061 Depth=4
	s_or_b32 exec_lo, exec_lo, s75
.LBB2_1277:                             ;   in Loop: Header=BB2_1061 Depth=4
	s_or_b32 exec_lo, exec_lo, s74
	v_bfe_u32 v8, v9, 16, 3
	v_bfe_u32 v88, v9, 19, 4
	v_lshlrev_b32_e32 v89, 8, v9
	s_mov_b32 s17, -1
	v_ffbh_u32_e32 v78, v8
	v_cmp_eq_u32_e32 vcc_lo, 0, v88
	v_min_u32_e32 v78, 32, v78
	v_subrev_nc_u32_e32 v79, 28, v78
	v_sub_nc_u32_e32 v78, 29, v78
	v_lshlrev_b32_sdwa v79, v79, v9 dst_sel:DWORD dst_unused:UNUSED_PAD src0_sel:DWORD src1_sel:WORD_1
	v_cndmask_b32_e32 v78, v88, v78, vcc_lo
	v_and_b32_e32 v79, 7, v79
	v_lshl_add_u32 v78, v78, 23, 0x3b800000
	v_cndmask_b32_e32 v8, v8, v79, vcc_lo
	v_and_b32_e32 v79, 0x80000000, v89
	s_and_b32 vcc_lo, exec_lo, s73
	v_lshlrev_b32_e32 v8, 20, v8
	v_or3_b32 v8, v79, v78, v8
                                        ; implicit-def: $vgpr79
	s_cbranch_vccz .LBB2_1291
; %bb.1278:                             ;   in Loop: Header=BB2_1061 Depth=4
	v_and_b32_sdwa v79, v13, v114 dst_sel:DWORD dst_unused:UNUSED_PAD src0_sel:WORD_1 src1_sel:DWORD
	s_mov_b32 s17, 0
	s_mov_b32 s74, exec_lo
	v_cmpx_lt_i16_e32 0x7f, v79
	s_xor_b32 s74, exec_lo, s74
	s_cbranch_execz .LBB2_1683
; %bb.1279:                             ;   in Loop: Header=BB2_1061 Depth=4
	s_mov_b32 s17, -1
	s_mov_b32 s75, exec_lo
	v_cmpx_eq_u16_e32 0x80, v79
; %bb.1280:                             ;   in Loop: Header=BB2_1061 Depth=4
	s_xor_b32 s17, exec_lo, -1
; %bb.1281:                             ;   in Loop: Header=BB2_1061 Depth=4
	s_or_b32 exec_lo, exec_lo, s75
	s_and_b32 s17, s17, exec_lo
                                        ; implicit-def: $vgpr79
	s_or_saveexec_b32 s74, s74
	v_mov_b32_e32 v78, 0x7f800001
	s_xor_b32 exec_lo, exec_lo, s74
	s_cbranch_execnz .LBB2_1684
.LBB2_1282:                             ;   in Loop: Header=BB2_1061 Depth=4
	s_or_b32 exec_lo, exec_lo, s74
	s_and_saveexec_b32 s74, s17
	s_cbranch_execz .LBB2_1284
.LBB2_1283:                             ;   in Loop: Header=BB2_1061 Depth=4
	v_bfe_u32 v78, v13, 16, 3
	v_bfe_u32 v89, v13, 19, 4
	v_lshlrev_b32_sdwa v90, v113, v13 dst_sel:DWORD dst_unused:UNUSED_PAD src0_sel:DWORD src1_sel:WORD_1
	v_ffbh_u32_e32 v79, v78
	v_cmp_eq_u32_e32 vcc_lo, 0, v89
	v_min_u32_e32 v79, 32, v79
	v_subrev_nc_u32_e32 v88, 28, v79
	v_sub_nc_u32_e32 v79, 29, v79
	v_lshlrev_b32_sdwa v88, v88, v13 dst_sel:DWORD dst_unused:UNUSED_PAD src0_sel:DWORD src1_sel:WORD_1
	v_cndmask_b32_e32 v79, v89, v79, vcc_lo
	v_and_b32_e32 v88, 7, v88
	v_lshl_add_u32 v79, v79, 23, 0x3b800000
	v_cndmask_b32_e32 v78, v78, v88, vcc_lo
	v_and_b32_e32 v88, 0x80000000, v90
	v_lshlrev_b32_e32 v78, 20, v78
	v_or3_b32 v78, v88, v79, v78
.LBB2_1284:                             ;   in Loop: Header=BB2_1061 Depth=4
	s_or_b32 exec_lo, exec_lo, s74
	v_and_b32_sdwa v88, v9, v114 dst_sel:DWORD dst_unused:UNUSED_PAD src0_sel:WORD_1 src1_sel:DWORD
	s_mov_b32 s17, 0
	s_mov_b32 s74, exec_lo
	v_cmpx_lt_i16_e32 0x7f, v88
	s_xor_b32 s74, exec_lo, s74
	s_cbranch_execz .LBB2_1685
; %bb.1285:                             ;   in Loop: Header=BB2_1061 Depth=4
	s_mov_b32 s17, -1
	s_mov_b32 s75, exec_lo
	v_cmpx_eq_u16_e32 0x80, v88
; %bb.1286:                             ;   in Loop: Header=BB2_1061 Depth=4
	s_xor_b32 s17, exec_lo, -1
; %bb.1287:                             ;   in Loop: Header=BB2_1061 Depth=4
	s_or_b32 exec_lo, exec_lo, s75
	s_and_b32 s17, s17, exec_lo
                                        ; implicit-def: $vgpr88
	s_or_saveexec_b32 s74, s74
	v_mov_b32_e32 v79, 0x7f800001
	s_xor_b32 exec_lo, exec_lo, s74
	s_cbranch_execnz .LBB2_1686
.LBB2_1288:                             ;   in Loop: Header=BB2_1061 Depth=4
	s_or_b32 exec_lo, exec_lo, s74
	s_and_saveexec_b32 s74, s17
.LBB2_1289:                             ;   in Loop: Header=BB2_1061 Depth=4
	v_mov_b32_e32 v79, v8
.LBB2_1290:                             ;   in Loop: Header=BB2_1061 Depth=4
	s_or_b32 exec_lo, exec_lo, s74
	v_max_f32_e32 v79, v79, v79
	v_max_f32_e32 v78, v78, v78
	s_mov_b32 s17, 0
	v_max_f32_e32 v79, v78, v79
.LBB2_1291:                             ;   in Loop: Header=BB2_1061 Depth=4
	s_and_b32 vcc_lo, exec_lo, s17
	s_cbranch_vccz .LBB2_1305
; %bb.1292:                             ;   in Loop: Header=BB2_1061 Depth=4
	v_and_b32_sdwa v79, v13, v114 dst_sel:DWORD dst_unused:UNUSED_PAD src0_sel:WORD_1 src1_sel:DWORD
	s_mov_b32 s17, 0
	s_mov_b32 s74, exec_lo
	v_cmpx_lt_i16_e32 0x7f, v79
	s_xor_b32 s74, exec_lo, s74
	s_cbranch_execz .LBB2_1687
; %bb.1293:                             ;   in Loop: Header=BB2_1061 Depth=4
	s_mov_b32 s17, -1
	s_mov_b32 s75, exec_lo
	v_cmpx_eq_u16_e32 0x80, v79
; %bb.1294:                             ;   in Loop: Header=BB2_1061 Depth=4
	s_xor_b32 s17, exec_lo, -1
; %bb.1295:                             ;   in Loop: Header=BB2_1061 Depth=4
	s_or_b32 exec_lo, exec_lo, s75
	s_and_b32 s17, s17, exec_lo
                                        ; implicit-def: $vgpr79
	s_or_saveexec_b32 s74, s74
	v_mov_b32_e32 v78, 0x7f800001
	s_xor_b32 exec_lo, exec_lo, s74
	s_cbranch_execnz .LBB2_1688
.LBB2_1296:                             ;   in Loop: Header=BB2_1061 Depth=4
	s_or_b32 exec_lo, exec_lo, s74
	s_and_saveexec_b32 s74, s17
	s_cbranch_execz .LBB2_1298
.LBB2_1297:                             ;   in Loop: Header=BB2_1061 Depth=4
	v_bfe_u32 v78, v13, 16, 3
	v_bfe_u32 v89, v13, 19, 4
	v_lshlrev_b32_sdwa v90, v113, v13 dst_sel:DWORD dst_unused:UNUSED_PAD src0_sel:DWORD src1_sel:WORD_1
	v_ffbh_u32_e32 v79, v78
	v_cmp_eq_u32_e32 vcc_lo, 0, v89
	v_min_u32_e32 v79, 32, v79
	v_subrev_nc_u32_e32 v88, 28, v79
	v_sub_nc_u32_e32 v79, 29, v79
	v_lshlrev_b32_sdwa v88, v88, v13 dst_sel:DWORD dst_unused:UNUSED_PAD src0_sel:DWORD src1_sel:WORD_1
	v_cndmask_b32_e32 v79, v89, v79, vcc_lo
	v_and_b32_e32 v88, 7, v88
	v_lshl_add_u32 v79, v79, 23, 0x3b800000
	v_cndmask_b32_e32 v78, v78, v88, vcc_lo
	v_and_b32_e32 v88, 0x80000000, v90
	v_lshlrev_b32_e32 v78, 20, v78
	v_or3_b32 v78, v88, v79, v78
.LBB2_1298:                             ;   in Loop: Header=BB2_1061 Depth=4
	s_or_b32 exec_lo, exec_lo, s74
	v_and_b32_sdwa v88, v9, v114 dst_sel:DWORD dst_unused:UNUSED_PAD src0_sel:WORD_1 src1_sel:DWORD
	s_mov_b32 s17, 0
	s_mov_b32 s74, exec_lo
	v_cmpx_lt_i16_e32 0x7f, v88
	s_xor_b32 s74, exec_lo, s74
	s_cbranch_execz .LBB2_1689
; %bb.1299:                             ;   in Loop: Header=BB2_1061 Depth=4
	s_mov_b32 s17, -1
	s_mov_b32 s75, exec_lo
	v_cmpx_eq_u16_e32 0x80, v88
; %bb.1300:                             ;   in Loop: Header=BB2_1061 Depth=4
	s_xor_b32 s17, exec_lo, -1
; %bb.1301:                             ;   in Loop: Header=BB2_1061 Depth=4
	s_or_b32 exec_lo, exec_lo, s75
	s_and_b32 s17, s17, exec_lo
                                        ; implicit-def: $vgpr88
	s_or_saveexec_b32 s74, s74
	v_mov_b32_e32 v79, 0x7f800001
	s_xor_b32 exec_lo, exec_lo, s74
	s_cbranch_execnz .LBB2_1690
.LBB2_1302:                             ;   in Loop: Header=BB2_1061 Depth=4
	s_or_b32 exec_lo, exec_lo, s74
	s_and_saveexec_b32 s74, s17
.LBB2_1303:                             ;   in Loop: Header=BB2_1061 Depth=4
	v_mov_b32_e32 v79, v8
.LBB2_1304:                             ;   in Loop: Header=BB2_1061 Depth=4
	s_or_b32 exec_lo, exec_lo, s74
	v_max_f32_e32 v8, v79, v79
	v_max_f32_e32 v78, v78, v78
	v_min_f32_e32 v79, v78, v8
.LBB2_1305:                             ;   in Loop: Header=BB2_1061 Depth=4
	v_and_b32_e32 v8, 0x7f800000, v79
	v_mov_b32_e32 v78, 0x80
	s_mov_b32 s74, exec_lo
	v_cmpx_ne_u32_e32 0x7f800000, v8
	s_cbranch_execz .LBB2_1313
; %bb.1306:                             ;   in Loop: Header=BB2_1061 Depth=4
	v_mov_b32_e32 v78, 0
	s_mov_b32 s75, exec_lo
	v_cmpx_ne_u32_e32 0, v79
	s_cbranch_execz .LBB2_1312
; %bb.1307:                             ;   in Loop: Header=BB2_1061 Depth=4
	v_bfe_u32 v8, v79, 23, 8
	v_and_b32_e32 v78, 0x7fffff, v79
	v_sub_nc_u32_e32 v88, 0x78, v8
	v_cmp_gt_u32_e32 vcc_lo, 0x79, v8
	v_or_b32_e32 v89, 0x800000, v78
	v_cndmask_b32_e32 v88, 0, v88, vcc_lo
	v_cmp_eq_u32_e32 vcc_lo, 0, v8
	v_add_nc_u32_e32 v8, 0xffffff89, v8
	v_cndmask_b32_e64 v88, v88, 0x77, vcc_lo
	v_cndmask_b32_e32 v78, v89, v78, vcc_lo
	v_cndmask_b32_e64 v8, v8, 0xffffff8a, vcc_lo
	v_lshl_add_u32 v89, 0x100000, v88, -1
	v_lshrrev_b32_e32 v90, v88, v78
	v_lshlrev_b32_e64 v92, v88, 0x80000
	v_add_nc_u32_e32 v88, v88, v8
	v_and_b32_e32 v78, v89, v78
	v_bfe_u32 v91, v90, 20, 1
	v_cmp_eq_u32_e64 s17, v78, v92
	v_add_nc_u32_e32 v89, -1, v91
	v_cndmask_b32_e64 v78, 0, v89, s17
	v_lshrrev_b32_e32 v89, 23, v90
	s_mov_b32 s17, exec_lo
	v_add_nc_u32_e32 v78, v78, v90
	v_xor_b32_e32 v89, 1, v89
	v_and_b32_e32 v8, 0xfffff, v78
	v_add_nc_u32_e32 v78, v8, v90
                                        ; implicit-def: $vgpr8
	v_cmpx_ne_u32_e64 v88, v89
	s_xor_b32 s17, exec_lo, s17
; %bb.1308:                             ;   in Loop: Header=BB2_1061 Depth=4
	v_cmp_lt_u32_e32 vcc_lo, 0xffffff, v78
	v_sub_nc_u32_e32 v8, v88, v89
	v_cndmask_b32_e64 v88, 0, 1, vcc_lo
	v_add_co_ci_u32_e64 v8, null, 0, v8, vcc_lo
	v_lshrrev_b32_e32 v78, v88, v78
; %bb.1309:                             ;   in Loop: Header=BB2_1061 Depth=4
	s_andn2_saveexec_b32 s17, s17
; %bb.1310:                             ;   in Loop: Header=BB2_1061 Depth=4
	v_bfe_u32 v8, v78, 23, 1
; %bb.1311:                             ;   in Loop: Header=BB2_1061 Depth=4
	s_or_b32 exec_lo, exec_lo, s17
	v_lshrrev_b32_e32 v78, 20, v78
	v_min_i32_e32 v88, 15, v8
	v_cmp_gt_i32_e32 vcc_lo, 16, v8
	v_and_b32_sdwa v79, v79, v103 dst_sel:DWORD dst_unused:UNUSED_PAD src0_sel:BYTE_3 src1_sel:DWORD
	v_lshlrev_b32_e32 v88, 3, v88
	v_cndmask_b32_e32 v78, 7, v78, vcc_lo
	v_and_b32_e32 v88, 0xf8, v88
	v_and_b32_e32 v89, 7, v78
	v_or_b32_e32 v8, v8, v78
	v_or3_b32 v78, v88, v79, v89
	v_cmp_ne_u32_e32 vcc_lo, 0, v8
	v_cndmask_b32_e32 v78, 0, v78, vcc_lo
.LBB2_1312:                             ;   in Loop: Header=BB2_1061 Depth=4
	s_or_b32 exec_lo, exec_lo, s75
.LBB2_1313:                             ;   in Loop: Header=BB2_1061 Depth=4
	s_or_b32 exec_lo, exec_lo, s74
	v_bfe_u32 v8, v9, 24, 3
	v_bfe_u32 v89, v9, 27, 4
	s_mov_b32 s17, -1
	v_ffbh_u32_e32 v79, v8
	v_cmp_eq_u32_e32 vcc_lo, 0, v89
	v_min_u32_e32 v79, 32, v79
	v_subrev_nc_u32_e32 v88, 28, v79
	v_sub_nc_u32_e32 v79, 29, v79
	v_lshlrev_b32_sdwa v88, v88, v9 dst_sel:DWORD dst_unused:UNUSED_PAD src0_sel:DWORD src1_sel:BYTE_3
	v_cndmask_b32_e32 v79, v89, v79, vcc_lo
	v_and_b32_e32 v88, 7, v88
	v_lshl_add_u32 v79, v79, 23, 0x3b800000
	v_cndmask_b32_e32 v8, v8, v88, vcc_lo
	v_and_b32_e32 v88, 0x80000000, v9
	s_and_b32 vcc_lo, exec_lo, s73
	v_lshlrev_b32_e32 v8, 20, v8
	v_or3_b32 v8, v88, v79, v8
                                        ; implicit-def: $vgpr79
	s_cbranch_vccz .LBB2_1327
; %bb.1314:                             ;   in Loop: Header=BB2_1061 Depth=4
	v_cmp_gt_i16_sdwa s74, v13, v102 src0_sel:BYTE_3 src1_sel:DWORD
	s_mov_b32 s17, 0
	s_and_saveexec_b32 s75, s74
	s_xor_b32 s74, exec_lo, s75
	s_cbranch_execz .LBB2_1691
; %bb.1315:                             ;   in Loop: Header=BB2_1061 Depth=4
	v_cmp_eq_u16_sdwa s76, v13, v103 src0_sel:BYTE_3 src1_sel:DWORD
	s_mov_b32 s17, -1
	s_and_saveexec_b32 s75, s76
; %bb.1316:                             ;   in Loop: Header=BB2_1061 Depth=4
	s_xor_b32 s17, exec_lo, -1
; %bb.1317:                             ;   in Loop: Header=BB2_1061 Depth=4
	s_or_b32 exec_lo, exec_lo, s75
	s_and_b32 s17, s17, exec_lo
	s_or_saveexec_b32 s74, s74
	v_mov_b32_e32 v79, 0x7f800001
	s_xor_b32 exec_lo, exec_lo, s74
	s_cbranch_execnz .LBB2_1692
.LBB2_1318:                             ;   in Loop: Header=BB2_1061 Depth=4
	s_or_b32 exec_lo, exec_lo, s74
	s_and_saveexec_b32 s74, s17
	s_cbranch_execz .LBB2_1320
.LBB2_1319:                             ;   in Loop: Header=BB2_1061 Depth=4
	v_bfe_u32 v79, v13, 24, 3
	v_bfe_u32 v90, v13, 27, 4
	v_ffbh_u32_e32 v88, v79
	v_cmp_eq_u32_e32 vcc_lo, 0, v90
	v_min_u32_e32 v88, 32, v88
	v_subrev_nc_u32_e32 v89, 28, v88
	v_sub_nc_u32_e32 v88, 29, v88
	v_lshlrev_b32_sdwa v89, v89, v13 dst_sel:DWORD dst_unused:UNUSED_PAD src0_sel:DWORD src1_sel:BYTE_3
	v_cndmask_b32_e32 v88, v90, v88, vcc_lo
	v_and_b32_e32 v89, 7, v89
	v_lshl_add_u32 v88, v88, 23, 0x3b800000
	v_cndmask_b32_e32 v79, v79, v89, vcc_lo
	v_and_b32_e32 v89, 0x80000000, v13
	v_lshlrev_b32_e32 v79, 20, v79
	v_or3_b32 v79, v89, v88, v79
.LBB2_1320:                             ;   in Loop: Header=BB2_1061 Depth=4
	s_or_b32 exec_lo, exec_lo, s74
	v_cmp_gt_i16_sdwa s74, v9, v102 src0_sel:BYTE_3 src1_sel:DWORD
	s_mov_b32 s17, 0
	s_and_saveexec_b32 s75, s74
	s_xor_b32 s74, exec_lo, s75
	s_cbranch_execz .LBB2_1693
; %bb.1321:                             ;   in Loop: Header=BB2_1061 Depth=4
	v_cmp_eq_u16_sdwa s76, v9, v103 src0_sel:BYTE_3 src1_sel:DWORD
	s_mov_b32 s17, -1
	s_and_saveexec_b32 s75, s76
; %bb.1322:                             ;   in Loop: Header=BB2_1061 Depth=4
	s_xor_b32 s17, exec_lo, -1
; %bb.1323:                             ;   in Loop: Header=BB2_1061 Depth=4
	s_or_b32 exec_lo, exec_lo, s75
	s_and_b32 s17, s17, exec_lo
	s_or_saveexec_b32 s74, s74
	v_mov_b32_e32 v88, 0x7f800001
	s_xor_b32 exec_lo, exec_lo, s74
	s_cbranch_execnz .LBB2_1694
.LBB2_1324:                             ;   in Loop: Header=BB2_1061 Depth=4
	s_or_b32 exec_lo, exec_lo, s74
	s_and_saveexec_b32 s74, s17
.LBB2_1325:                             ;   in Loop: Header=BB2_1061 Depth=4
	v_mov_b32_e32 v88, v8
.LBB2_1326:                             ;   in Loop: Header=BB2_1061 Depth=4
	s_or_b32 exec_lo, exec_lo, s74
	v_max_f32_e32 v88, v88, v88
	v_max_f32_e32 v79, v79, v79
	s_mov_b32 s17, 0
	v_max_f32_e32 v79, v79, v88
.LBB2_1327:                             ;   in Loop: Header=BB2_1061 Depth=4
	s_and_b32 vcc_lo, exec_lo, s17
	s_cbranch_vccz .LBB2_1341
; %bb.1328:                             ;   in Loop: Header=BB2_1061 Depth=4
	v_cmp_gt_i16_sdwa s74, v13, v102 src0_sel:BYTE_3 src1_sel:DWORD
	s_mov_b32 s17, 0
	s_and_saveexec_b32 s75, s74
	s_xor_b32 s74, exec_lo, s75
	s_cbranch_execz .LBB2_1695
; %bb.1329:                             ;   in Loop: Header=BB2_1061 Depth=4
	v_cmp_eq_u16_sdwa s76, v13, v103 src0_sel:BYTE_3 src1_sel:DWORD
	s_mov_b32 s17, -1
	s_and_saveexec_b32 s75, s76
; %bb.1330:                             ;   in Loop: Header=BB2_1061 Depth=4
	s_xor_b32 s17, exec_lo, -1
; %bb.1331:                             ;   in Loop: Header=BB2_1061 Depth=4
	s_or_b32 exec_lo, exec_lo, s75
	s_and_b32 s17, s17, exec_lo
	s_or_saveexec_b32 s74, s74
	v_mov_b32_e32 v79, 0x7f800001
	s_xor_b32 exec_lo, exec_lo, s74
	s_cbranch_execnz .LBB2_1696
.LBB2_1332:                             ;   in Loop: Header=BB2_1061 Depth=4
	s_or_b32 exec_lo, exec_lo, s74
	s_and_saveexec_b32 s74, s17
	s_cbranch_execz .LBB2_1334
.LBB2_1333:                             ;   in Loop: Header=BB2_1061 Depth=4
	v_bfe_u32 v79, v13, 24, 3
	v_bfe_u32 v90, v13, 27, 4
	v_ffbh_u32_e32 v88, v79
	v_cmp_eq_u32_e32 vcc_lo, 0, v90
	v_min_u32_e32 v88, 32, v88
	v_subrev_nc_u32_e32 v89, 28, v88
	v_sub_nc_u32_e32 v88, 29, v88
	v_lshlrev_b32_sdwa v89, v89, v13 dst_sel:DWORD dst_unused:UNUSED_PAD src0_sel:DWORD src1_sel:BYTE_3
	v_cndmask_b32_e32 v88, v90, v88, vcc_lo
	v_and_b32_e32 v13, 0x80000000, v13
	v_and_b32_e32 v89, 7, v89
	v_lshl_add_u32 v88, v88, 23, 0x3b800000
	v_cndmask_b32_e32 v79, v79, v89, vcc_lo
	v_lshlrev_b32_e32 v79, 20, v79
	v_or3_b32 v79, v13, v88, v79
.LBB2_1334:                             ;   in Loop: Header=BB2_1061 Depth=4
	s_or_b32 exec_lo, exec_lo, s74
	v_cmp_gt_i16_sdwa s74, v9, v102 src0_sel:BYTE_3 src1_sel:DWORD
	s_mov_b32 s17, 0
	s_and_saveexec_b32 s75, s74
	s_xor_b32 s74, exec_lo, s75
	s_cbranch_execz .LBB2_1697
; %bb.1335:                             ;   in Loop: Header=BB2_1061 Depth=4
	v_cmp_eq_u16_sdwa s76, v9, v103 src0_sel:BYTE_3 src1_sel:DWORD
	s_mov_b32 s17, -1
	s_and_saveexec_b32 s75, s76
; %bb.1336:                             ;   in Loop: Header=BB2_1061 Depth=4
	s_xor_b32 s17, exec_lo, -1
; %bb.1337:                             ;   in Loop: Header=BB2_1061 Depth=4
	s_or_b32 exec_lo, exec_lo, s75
	s_and_b32 s17, s17, exec_lo
	s_or_saveexec_b32 s74, s74
	v_mov_b32_e32 v13, 0x7f800001
	s_xor_b32 exec_lo, exec_lo, s74
	s_cbranch_execnz .LBB2_1698
.LBB2_1338:                             ;   in Loop: Header=BB2_1061 Depth=4
	s_or_b32 exec_lo, exec_lo, s74
	s_and_saveexec_b32 s74, s17
.LBB2_1339:                             ;   in Loop: Header=BB2_1061 Depth=4
	v_mov_b32_e32 v13, v8
.LBB2_1340:                             ;   in Loop: Header=BB2_1061 Depth=4
	s_or_b32 exec_lo, exec_lo, s74
	v_max_f32_e32 v8, v13, v13
	v_max_f32_e32 v9, v79, v79
	v_min_f32_e32 v79, v9, v8
.LBB2_1341:                             ;   in Loop: Header=BB2_1061 Depth=4
	v_and_b32_e32 v8, 0x7f800000, v79
	v_mov_b32_e32 v13, 0x8000
	s_mov_b32 s74, exec_lo
	v_cmpx_ne_u32_e32 0x7f800000, v8
	s_cbranch_execz .LBB2_1349
; %bb.1342:                             ;   in Loop: Header=BB2_1061 Depth=4
	v_mov_b32_e32 v13, 0
	s_mov_b32 s75, exec_lo
	v_cmpx_ne_u32_e32 0, v79
	s_cbranch_execz .LBB2_1348
; %bb.1343:                             ;   in Loop: Header=BB2_1061 Depth=4
	v_bfe_u32 v8, v79, 23, 8
	v_and_b32_e32 v9, 0x7fffff, v79
	v_sub_nc_u32_e32 v13, 0x78, v8
	v_cmp_gt_u32_e32 vcc_lo, 0x79, v8
	v_or_b32_e32 v88, 0x800000, v9
	v_cndmask_b32_e32 v13, 0, v13, vcc_lo
	v_cmp_eq_u32_e32 vcc_lo, 0, v8
	v_add_nc_u32_e32 v8, 0xffffff89, v8
	v_cndmask_b32_e64 v13, v13, 0x77, vcc_lo
	v_cndmask_b32_e32 v9, v88, v9, vcc_lo
	v_cndmask_b32_e64 v8, v8, 0xffffff8a, vcc_lo
	v_lshl_add_u32 v88, 0x100000, v13, -1
	v_lshrrev_b32_e32 v89, v13, v9
	v_lshlrev_b32_e64 v91, v13, 0x80000
	v_add_nc_u32_e32 v13, v13, v8
	v_and_b32_e32 v9, v88, v9
	v_bfe_u32 v90, v89, 20, 1
	v_cmp_eq_u32_e64 s17, v9, v91
	v_add_nc_u32_e32 v88, -1, v90
	v_cndmask_b32_e64 v9, 0, v88, s17
	v_lshrrev_b32_e32 v88, 23, v89
	s_mov_b32 s17, exec_lo
	v_add_nc_u32_e32 v9, v9, v89
	v_xor_b32_e32 v88, 1, v88
	v_and_b32_e32 v8, 0xfffff, v9
	v_add_nc_u32_e32 v9, v8, v89
                                        ; implicit-def: $vgpr8
	v_cmpx_ne_u32_e64 v13, v88
	s_xor_b32 s17, exec_lo, s17
; %bb.1344:                             ;   in Loop: Header=BB2_1061 Depth=4
	v_cmp_lt_u32_e32 vcc_lo, 0xffffff, v9
	v_sub_nc_u32_e32 v8, v13, v88
	v_cndmask_b32_e64 v13, 0, 1, vcc_lo
	v_add_co_ci_u32_e64 v8, null, 0, v8, vcc_lo
	v_lshrrev_b32_e32 v9, v13, v9
; %bb.1345:                             ;   in Loop: Header=BB2_1061 Depth=4
	s_andn2_saveexec_b32 s17, s17
; %bb.1346:                             ;   in Loop: Header=BB2_1061 Depth=4
	v_bfe_u32 v8, v9, 23, 1
; %bb.1347:                             ;   in Loop: Header=BB2_1061 Depth=4
	s_or_b32 exec_lo, exec_lo, s17
	v_lshrrev_b32_e32 v9, 20, v9
	v_min_i32_e32 v13, 15, v8
	v_cmp_gt_i32_e32 vcc_lo, 16, v8
	v_and_b32_sdwa v79, v79, v103 dst_sel:DWORD dst_unused:UNUSED_PAD src0_sel:BYTE_3 src1_sel:DWORD
	v_lshlrev_b32_e32 v13, 3, v13
	v_cndmask_b32_e32 v9, 7, v9, vcc_lo
	v_and_b32_e32 v13, 0xf8, v13
	v_and_b32_e32 v88, 7, v9
	v_or_b32_e32 v8, v8, v9
	v_or3_b32 v13, v79, v13, v88
	v_cmp_ne_u32_e32 vcc_lo, 0, v8
	v_lshlrev_b32_e32 v9, 8, v13
	v_cndmask_b32_e32 v13, 0, v9, vcc_lo
.LBB2_1348:                             ;   in Loop: Header=BB2_1061 Depth=4
	s_or_b32 exec_lo, exec_lo, s75
.LBB2_1349:                             ;   in Loop: Header=BB2_1061 Depth=4
	s_or_b32 exec_lo, exec_lo, s74
	v_and_b32_e32 v8, 7, v10
	v_bfe_u32 v88, v10, 3, 4
	v_lshlrev_b32_e32 v89, 24, v10
	s_mov_b32 s17, -1
	v_ffbh_u32_e32 v9, v8
	v_cmp_eq_u32_e32 vcc_lo, 0, v88
	v_min_u32_e32 v9, 32, v9
	v_subrev_nc_u32_e32 v79, 28, v9
	v_sub_nc_u32_e32 v9, 29, v9
	v_lshlrev_b32_e32 v79, v79, v10
	v_cndmask_b32_e32 v9, v88, v9, vcc_lo
	v_and_b32_e32 v79, 7, v79
	v_lshl_add_u32 v9, v9, 23, 0x3b800000
	v_cndmask_b32_e32 v8, v8, v79, vcc_lo
	v_and_b32_e32 v79, 0x80000000, v89
	s_and_b32 vcc_lo, exec_lo, s73
	v_lshlrev_b32_e32 v8, 20, v8
	v_or3_b32 v8, v79, v9, v8
                                        ; implicit-def: $vgpr9
	s_cbranch_vccz .LBB2_1363
; %bb.1350:                             ;   in Loop: Header=BB2_1061 Depth=4
	v_cmp_gt_i16_sdwa s74, v14, v102 src0_sel:BYTE_0 src1_sel:DWORD
	s_mov_b32 s17, 0
	s_and_saveexec_b32 s75, s74
	s_xor_b32 s74, exec_lo, s75
	s_cbranch_execz .LBB2_1699
; %bb.1351:                             ;   in Loop: Header=BB2_1061 Depth=4
	v_cmp_eq_u16_sdwa s76, v14, v103 src0_sel:BYTE_0 src1_sel:DWORD
	s_mov_b32 s17, -1
	s_and_saveexec_b32 s75, s76
; %bb.1352:                             ;   in Loop: Header=BB2_1061 Depth=4
	s_xor_b32 s17, exec_lo, -1
; %bb.1353:                             ;   in Loop: Header=BB2_1061 Depth=4
	s_or_b32 exec_lo, exec_lo, s75
	s_and_b32 s17, s17, exec_lo
	s_or_saveexec_b32 s74, s74
	v_mov_b32_e32 v9, 0x7f800001
	s_xor_b32 exec_lo, exec_lo, s74
	s_cbranch_execnz .LBB2_1700
.LBB2_1354:                             ;   in Loop: Header=BB2_1061 Depth=4
	s_or_b32 exec_lo, exec_lo, s74
	s_and_saveexec_b32 s74, s17
	s_cbranch_execz .LBB2_1356
.LBB2_1355:                             ;   in Loop: Header=BB2_1061 Depth=4
	v_and_b32_e32 v9, 7, v14
	v_bfe_u32 v89, v14, 3, 4
	v_lshlrev_b32_e32 v90, 24, v14
	v_ffbh_u32_e32 v79, v9
	v_cmp_eq_u32_e32 vcc_lo, 0, v89
	v_min_u32_e32 v79, 32, v79
	v_subrev_nc_u32_e32 v88, 28, v79
	v_sub_nc_u32_e32 v79, 29, v79
	v_lshlrev_b32_e32 v88, v88, v14
	v_cndmask_b32_e32 v79, v89, v79, vcc_lo
	v_and_b32_e32 v88, 7, v88
	v_lshl_add_u32 v79, v79, 23, 0x3b800000
	v_cndmask_b32_e32 v9, v9, v88, vcc_lo
	v_and_b32_e32 v88, 0x80000000, v90
	v_lshlrev_b32_e32 v9, 20, v9
	v_or3_b32 v9, v88, v79, v9
.LBB2_1356:                             ;   in Loop: Header=BB2_1061 Depth=4
	s_or_b32 exec_lo, exec_lo, s74
	v_cmp_gt_i16_sdwa s74, v10, v102 src0_sel:BYTE_0 src1_sel:DWORD
	s_mov_b32 s17, 0
	s_and_saveexec_b32 s75, s74
	s_xor_b32 s74, exec_lo, s75
	s_cbranch_execz .LBB2_1701
; %bb.1357:                             ;   in Loop: Header=BB2_1061 Depth=4
	v_cmp_eq_u16_sdwa s76, v10, v103 src0_sel:BYTE_0 src1_sel:DWORD
	s_mov_b32 s17, -1
	s_and_saveexec_b32 s75, s76
; %bb.1358:                             ;   in Loop: Header=BB2_1061 Depth=4
	s_xor_b32 s17, exec_lo, -1
; %bb.1359:                             ;   in Loop: Header=BB2_1061 Depth=4
	s_or_b32 exec_lo, exec_lo, s75
	s_and_b32 s17, s17, exec_lo
	s_or_saveexec_b32 s74, s74
	v_mov_b32_e32 v79, 0x7f800001
	s_xor_b32 exec_lo, exec_lo, s74
	s_cbranch_execnz .LBB2_1702
.LBB2_1360:                             ;   in Loop: Header=BB2_1061 Depth=4
	s_or_b32 exec_lo, exec_lo, s74
	s_and_saveexec_b32 s74, s17
.LBB2_1361:                             ;   in Loop: Header=BB2_1061 Depth=4
	v_mov_b32_e32 v79, v8
.LBB2_1362:                             ;   in Loop: Header=BB2_1061 Depth=4
	s_or_b32 exec_lo, exec_lo, s74
	v_max_f32_e32 v79, v79, v79
	v_max_f32_e32 v9, v9, v9
	s_mov_b32 s17, 0
	v_max_f32_e32 v9, v9, v79
.LBB2_1363:                             ;   in Loop: Header=BB2_1061 Depth=4
	s_and_b32 vcc_lo, exec_lo, s17
	s_cbranch_vccz .LBB2_1377
; %bb.1364:                             ;   in Loop: Header=BB2_1061 Depth=4
	v_cmp_gt_i16_sdwa s74, v14, v102 src0_sel:BYTE_0 src1_sel:DWORD
	s_mov_b32 s17, 0
	s_and_saveexec_b32 s75, s74
	s_xor_b32 s74, exec_lo, s75
	s_cbranch_execz .LBB2_1703
; %bb.1365:                             ;   in Loop: Header=BB2_1061 Depth=4
	v_cmp_eq_u16_sdwa s76, v14, v103 src0_sel:BYTE_0 src1_sel:DWORD
	s_mov_b32 s17, -1
	s_and_saveexec_b32 s75, s76
; %bb.1366:                             ;   in Loop: Header=BB2_1061 Depth=4
	s_xor_b32 s17, exec_lo, -1
; %bb.1367:                             ;   in Loop: Header=BB2_1061 Depth=4
	s_or_b32 exec_lo, exec_lo, s75
	s_and_b32 s17, s17, exec_lo
	s_or_saveexec_b32 s74, s74
	v_mov_b32_e32 v9, 0x7f800001
	s_xor_b32 exec_lo, exec_lo, s74
	s_cbranch_execnz .LBB2_1704
.LBB2_1368:                             ;   in Loop: Header=BB2_1061 Depth=4
	s_or_b32 exec_lo, exec_lo, s74
	s_and_saveexec_b32 s74, s17
	s_cbranch_execz .LBB2_1370
.LBB2_1369:                             ;   in Loop: Header=BB2_1061 Depth=4
	v_and_b32_e32 v9, 7, v14
	v_bfe_u32 v89, v14, 3, 4
	v_lshlrev_b32_e32 v90, 24, v14
	v_ffbh_u32_e32 v79, v9
	v_cmp_eq_u32_e32 vcc_lo, 0, v89
	v_min_u32_e32 v79, 32, v79
	v_subrev_nc_u32_e32 v88, 28, v79
	v_sub_nc_u32_e32 v79, 29, v79
	v_lshlrev_b32_e32 v88, v88, v14
	v_cndmask_b32_e32 v79, v89, v79, vcc_lo
	v_and_b32_e32 v88, 7, v88
	v_lshl_add_u32 v79, v79, 23, 0x3b800000
	v_cndmask_b32_e32 v9, v9, v88, vcc_lo
	v_and_b32_e32 v88, 0x80000000, v90
	v_lshlrev_b32_e32 v9, 20, v9
	v_or3_b32 v9, v88, v79, v9
.LBB2_1370:                             ;   in Loop: Header=BB2_1061 Depth=4
	s_or_b32 exec_lo, exec_lo, s74
	v_cmp_gt_i16_sdwa s74, v10, v102 src0_sel:BYTE_0 src1_sel:DWORD
	s_mov_b32 s17, 0
	s_and_saveexec_b32 s75, s74
	s_xor_b32 s74, exec_lo, s75
	s_cbranch_execz .LBB2_1705
; %bb.1371:                             ;   in Loop: Header=BB2_1061 Depth=4
	v_cmp_eq_u16_sdwa s76, v10, v103 src0_sel:BYTE_0 src1_sel:DWORD
	s_mov_b32 s17, -1
	s_and_saveexec_b32 s75, s76
; %bb.1372:                             ;   in Loop: Header=BB2_1061 Depth=4
	s_xor_b32 s17, exec_lo, -1
; %bb.1373:                             ;   in Loop: Header=BB2_1061 Depth=4
	s_or_b32 exec_lo, exec_lo, s75
	s_and_b32 s17, s17, exec_lo
	s_or_saveexec_b32 s74, s74
	v_mov_b32_e32 v79, 0x7f800001
	s_xor_b32 exec_lo, exec_lo, s74
	s_cbranch_execnz .LBB2_1706
.LBB2_1374:                             ;   in Loop: Header=BB2_1061 Depth=4
	s_or_b32 exec_lo, exec_lo, s74
	s_and_saveexec_b32 s74, s17
.LBB2_1375:                             ;   in Loop: Header=BB2_1061 Depth=4
	v_mov_b32_e32 v79, v8
.LBB2_1376:                             ;   in Loop: Header=BB2_1061 Depth=4
	s_or_b32 exec_lo, exec_lo, s74
	v_max_f32_e32 v8, v79, v79
	v_max_f32_e32 v9, v9, v9
	v_min_f32_e32 v9, v9, v8
.LBB2_1377:                             ;   in Loop: Header=BB2_1061 Depth=4
	v_and_b32_e32 v8, 0x7f800000, v9
	v_mov_b32_e32 v79, 0x80
	s_mov_b32 s74, exec_lo
	v_cmpx_ne_u32_e32 0x7f800000, v8
	s_cbranch_execz .LBB2_1385
; %bb.1378:                             ;   in Loop: Header=BB2_1061 Depth=4
	v_mov_b32_e32 v79, 0
	s_mov_b32 s75, exec_lo
	v_cmpx_ne_u32_e32 0, v9
	s_cbranch_execz .LBB2_1384
; %bb.1379:                             ;   in Loop: Header=BB2_1061 Depth=4
	v_bfe_u32 v8, v9, 23, 8
	v_and_b32_e32 v79, 0x7fffff, v9
	v_sub_nc_u32_e32 v88, 0x78, v8
	v_cmp_gt_u32_e32 vcc_lo, 0x79, v8
	v_or_b32_e32 v89, 0x800000, v79
	v_cndmask_b32_e32 v88, 0, v88, vcc_lo
	v_cmp_eq_u32_e32 vcc_lo, 0, v8
	v_add_nc_u32_e32 v8, 0xffffff89, v8
	v_cndmask_b32_e64 v88, v88, 0x77, vcc_lo
	v_cndmask_b32_e32 v79, v89, v79, vcc_lo
	v_cndmask_b32_e64 v8, v8, 0xffffff8a, vcc_lo
	v_lshl_add_u32 v89, 0x100000, v88, -1
	v_lshrrev_b32_e32 v90, v88, v79
	v_lshlrev_b32_e64 v92, v88, 0x80000
	v_add_nc_u32_e32 v88, v88, v8
	v_and_b32_e32 v79, v89, v79
	v_bfe_u32 v91, v90, 20, 1
	v_cmp_eq_u32_e64 s17, v79, v92
	v_add_nc_u32_e32 v89, -1, v91
	v_cndmask_b32_e64 v79, 0, v89, s17
	v_lshrrev_b32_e32 v89, 23, v90
	s_mov_b32 s17, exec_lo
	v_add_nc_u32_e32 v79, v79, v90
	v_xor_b32_e32 v89, 1, v89
	v_and_b32_e32 v8, 0xfffff, v79
	v_add_nc_u32_e32 v79, v8, v90
                                        ; implicit-def: $vgpr8
	v_cmpx_ne_u32_e64 v88, v89
	s_xor_b32 s17, exec_lo, s17
; %bb.1380:                             ;   in Loop: Header=BB2_1061 Depth=4
	v_cmp_lt_u32_e32 vcc_lo, 0xffffff, v79
	v_sub_nc_u32_e32 v8, v88, v89
	v_cndmask_b32_e64 v88, 0, 1, vcc_lo
	v_add_co_ci_u32_e64 v8, null, 0, v8, vcc_lo
	v_lshrrev_b32_e32 v79, v88, v79
; %bb.1381:                             ;   in Loop: Header=BB2_1061 Depth=4
	s_andn2_saveexec_b32 s17, s17
; %bb.1382:                             ;   in Loop: Header=BB2_1061 Depth=4
	v_bfe_u32 v8, v79, 23, 1
; %bb.1383:                             ;   in Loop: Header=BB2_1061 Depth=4
	s_or_b32 exec_lo, exec_lo, s17
	v_lshrrev_b32_e32 v79, 20, v79
	v_min_i32_e32 v88, 15, v8
	v_cmp_gt_i32_e32 vcc_lo, 16, v8
	v_and_b32_sdwa v9, v9, v103 dst_sel:DWORD dst_unused:UNUSED_PAD src0_sel:BYTE_3 src1_sel:DWORD
	v_lshlrev_b32_e32 v88, 3, v88
	v_cndmask_b32_e32 v79, 7, v79, vcc_lo
	v_and_b32_e32 v88, 0xf8, v88
	v_and_b32_e32 v89, 7, v79
	v_or_b32_e32 v8, v8, v79
	v_or3_b32 v9, v88, v9, v89
	v_cmp_ne_u32_e32 vcc_lo, 0, v8
	v_cndmask_b32_e32 v79, 0, v9, vcc_lo
.LBB2_1384:                             ;   in Loop: Header=BB2_1061 Depth=4
	s_or_b32 exec_lo, exec_lo, s75
.LBB2_1385:                             ;   in Loop: Header=BB2_1061 Depth=4
	s_or_b32 exec_lo, exec_lo, s74
	v_and_b32_sdwa v8, v112, v10 dst_sel:DWORD dst_unused:UNUSED_PAD src0_sel:DWORD src1_sel:BYTE_1
	s_mov_b32 s17, -1
	v_and_b32_e32 v9, 7, v8
	v_bfe_u32 v90, v8, 3, 4
	v_ffbh_u32_e32 v88, v9
	v_cmp_eq_u32_e32 vcc_lo, 0, v90
	v_min_u32_e32 v88, 32, v88
	v_subrev_nc_u32_e32 v89, 28, v88
	v_sub_nc_u32_e32 v88, 29, v88
	v_lshlrev_b32_e32 v8, v89, v8
	v_lshlrev_b32_sdwa v89, v113, v10 dst_sel:DWORD dst_unused:UNUSED_PAD src0_sel:DWORD src1_sel:BYTE_1
	v_cndmask_b32_e32 v88, v90, v88, vcc_lo
	v_and_b32_e32 v8, 7, v8
	v_lshl_add_u32 v88, v88, 23, 0x3b800000
	v_cndmask_b32_e32 v8, v9, v8, vcc_lo
	v_and_b32_e32 v9, 0x80000000, v89
	s_and_b32 vcc_lo, exec_lo, s73
	v_lshlrev_b32_e32 v8, 20, v8
	v_or3_b32 v8, v9, v88, v8
                                        ; implicit-def: $vgpr9
	s_cbranch_vccz .LBB2_1399
; %bb.1386:                             ;   in Loop: Header=BB2_1061 Depth=4
	v_cmp_gt_i16_sdwa s74, v14, v102 src0_sel:BYTE_1 src1_sel:DWORD
	s_mov_b32 s17, 0
	s_and_saveexec_b32 s75, s74
	s_xor_b32 s74, exec_lo, s75
	s_cbranch_execz .LBB2_1707
; %bb.1387:                             ;   in Loop: Header=BB2_1061 Depth=4
	v_cmp_eq_u16_sdwa s76, v14, v103 src0_sel:BYTE_1 src1_sel:DWORD
	s_mov_b32 s17, -1
	s_and_saveexec_b32 s75, s76
; %bb.1388:                             ;   in Loop: Header=BB2_1061 Depth=4
	s_xor_b32 s17, exec_lo, -1
; %bb.1389:                             ;   in Loop: Header=BB2_1061 Depth=4
	s_or_b32 exec_lo, exec_lo, s75
	s_and_b32 s17, s17, exec_lo
	s_or_saveexec_b32 s74, s74
	v_mov_b32_e32 v9, 0x7f800001
	s_xor_b32 exec_lo, exec_lo, s74
	s_cbranch_execnz .LBB2_1708
.LBB2_1390:                             ;   in Loop: Header=BB2_1061 Depth=4
	s_or_b32 exec_lo, exec_lo, s74
	s_and_saveexec_b32 s74, s17
	s_cbranch_execz .LBB2_1392
.LBB2_1391:                             ;   in Loop: Header=BB2_1061 Depth=4
	v_and_b32_sdwa v9, v112, v14 dst_sel:DWORD dst_unused:UNUSED_PAD src0_sel:DWORD src1_sel:BYTE_1
	v_and_b32_e32 v88, 7, v9
	v_bfe_u32 v91, v9, 3, 4
	v_ffbh_u32_e32 v89, v88
	v_cmp_eq_u32_e32 vcc_lo, 0, v91
	v_min_u32_e32 v89, 32, v89
	v_subrev_nc_u32_e32 v90, 28, v89
	v_sub_nc_u32_e32 v89, 29, v89
	v_lshlrev_b32_e32 v9, v90, v9
	v_lshlrev_b32_e32 v90, 16, v14
	v_cndmask_b32_e32 v89, v91, v89, vcc_lo
	v_and_b32_e32 v9, 7, v9
	v_lshl_add_u32 v89, v89, 23, 0x3b800000
	v_cndmask_b32_e32 v9, v88, v9, vcc_lo
	v_and_b32_e32 v88, 0x80000000, v90
	v_lshlrev_b32_e32 v9, 20, v9
	v_or3_b32 v9, v88, v89, v9
.LBB2_1392:                             ;   in Loop: Header=BB2_1061 Depth=4
	s_or_b32 exec_lo, exec_lo, s74
	v_cmp_gt_i16_sdwa s74, v10, v102 src0_sel:BYTE_1 src1_sel:DWORD
	s_mov_b32 s17, 0
	s_and_saveexec_b32 s75, s74
	s_xor_b32 s74, exec_lo, s75
	s_cbranch_execz .LBB2_1709
; %bb.1393:                             ;   in Loop: Header=BB2_1061 Depth=4
	v_cmp_eq_u16_sdwa s76, v10, v103 src0_sel:BYTE_1 src1_sel:DWORD
	s_mov_b32 s17, -1
	s_and_saveexec_b32 s75, s76
; %bb.1394:                             ;   in Loop: Header=BB2_1061 Depth=4
	s_xor_b32 s17, exec_lo, -1
; %bb.1395:                             ;   in Loop: Header=BB2_1061 Depth=4
	s_or_b32 exec_lo, exec_lo, s75
	s_and_b32 s17, s17, exec_lo
	s_or_saveexec_b32 s74, s74
	v_mov_b32_e32 v88, 0x7f800001
	s_xor_b32 exec_lo, exec_lo, s74
	s_cbranch_execnz .LBB2_1710
.LBB2_1396:                             ;   in Loop: Header=BB2_1061 Depth=4
	s_or_b32 exec_lo, exec_lo, s74
	s_and_saveexec_b32 s74, s17
.LBB2_1397:                             ;   in Loop: Header=BB2_1061 Depth=4
	v_mov_b32_e32 v88, v8
.LBB2_1398:                             ;   in Loop: Header=BB2_1061 Depth=4
	s_or_b32 exec_lo, exec_lo, s74
	v_max_f32_e32 v88, v88, v88
	v_max_f32_e32 v9, v9, v9
	s_mov_b32 s17, 0
	v_max_f32_e32 v9, v9, v88
.LBB2_1399:                             ;   in Loop: Header=BB2_1061 Depth=4
	s_and_b32 vcc_lo, exec_lo, s17
	s_cbranch_vccz .LBB2_1413
; %bb.1400:                             ;   in Loop: Header=BB2_1061 Depth=4
	v_cmp_gt_i16_sdwa s74, v14, v102 src0_sel:BYTE_1 src1_sel:DWORD
	s_mov_b32 s17, 0
	s_and_saveexec_b32 s75, s74
	s_xor_b32 s74, exec_lo, s75
	s_cbranch_execz .LBB2_1711
; %bb.1401:                             ;   in Loop: Header=BB2_1061 Depth=4
	v_cmp_eq_u16_sdwa s76, v14, v103 src0_sel:BYTE_1 src1_sel:DWORD
	s_mov_b32 s17, -1
	s_and_saveexec_b32 s75, s76
; %bb.1402:                             ;   in Loop: Header=BB2_1061 Depth=4
	s_xor_b32 s17, exec_lo, -1
; %bb.1403:                             ;   in Loop: Header=BB2_1061 Depth=4
	s_or_b32 exec_lo, exec_lo, s75
	s_and_b32 s17, s17, exec_lo
	s_or_saveexec_b32 s74, s74
	v_mov_b32_e32 v9, 0x7f800001
	s_xor_b32 exec_lo, exec_lo, s74
	s_cbranch_execnz .LBB2_1712
.LBB2_1404:                             ;   in Loop: Header=BB2_1061 Depth=4
	s_or_b32 exec_lo, exec_lo, s74
	s_and_saveexec_b32 s74, s17
	s_cbranch_execz .LBB2_1406
.LBB2_1405:                             ;   in Loop: Header=BB2_1061 Depth=4
	v_and_b32_sdwa v9, v112, v14 dst_sel:DWORD dst_unused:UNUSED_PAD src0_sel:DWORD src1_sel:BYTE_1
	v_and_b32_e32 v88, 7, v9
	v_bfe_u32 v91, v9, 3, 4
	v_ffbh_u32_e32 v89, v88
	v_cmp_eq_u32_e32 vcc_lo, 0, v91
	v_min_u32_e32 v89, 32, v89
	v_subrev_nc_u32_e32 v90, 28, v89
	v_sub_nc_u32_e32 v89, 29, v89
	v_lshlrev_b32_e32 v9, v90, v9
	v_lshlrev_b32_e32 v90, 16, v14
	v_cndmask_b32_e32 v89, v91, v89, vcc_lo
	v_and_b32_e32 v9, 7, v9
	v_lshl_add_u32 v89, v89, 23, 0x3b800000
	v_cndmask_b32_e32 v9, v88, v9, vcc_lo
	v_and_b32_e32 v88, 0x80000000, v90
	v_lshlrev_b32_e32 v9, 20, v9
	v_or3_b32 v9, v88, v89, v9
.LBB2_1406:                             ;   in Loop: Header=BB2_1061 Depth=4
	s_or_b32 exec_lo, exec_lo, s74
	v_cmp_gt_i16_sdwa s74, v10, v102 src0_sel:BYTE_1 src1_sel:DWORD
	s_mov_b32 s17, 0
	s_and_saveexec_b32 s75, s74
	s_xor_b32 s74, exec_lo, s75
	s_cbranch_execz .LBB2_1713
; %bb.1407:                             ;   in Loop: Header=BB2_1061 Depth=4
	v_cmp_eq_u16_sdwa s76, v10, v103 src0_sel:BYTE_1 src1_sel:DWORD
	s_mov_b32 s17, -1
	s_and_saveexec_b32 s75, s76
; %bb.1408:                             ;   in Loop: Header=BB2_1061 Depth=4
	s_xor_b32 s17, exec_lo, -1
; %bb.1409:                             ;   in Loop: Header=BB2_1061 Depth=4
	s_or_b32 exec_lo, exec_lo, s75
	s_and_b32 s17, s17, exec_lo
	s_or_saveexec_b32 s74, s74
	v_mov_b32_e32 v88, 0x7f800001
	s_xor_b32 exec_lo, exec_lo, s74
	s_cbranch_execnz .LBB2_1714
.LBB2_1410:                             ;   in Loop: Header=BB2_1061 Depth=4
	s_or_b32 exec_lo, exec_lo, s74
	s_and_saveexec_b32 s74, s17
.LBB2_1411:                             ;   in Loop: Header=BB2_1061 Depth=4
	v_mov_b32_e32 v88, v8
.LBB2_1412:                             ;   in Loop: Header=BB2_1061 Depth=4
	s_or_b32 exec_lo, exec_lo, s74
	v_max_f32_e32 v8, v88, v88
	v_max_f32_e32 v9, v9, v9
	v_min_f32_e32 v9, v9, v8
.LBB2_1413:                             ;   in Loop: Header=BB2_1061 Depth=4
	v_and_b32_e32 v8, 0x7f800000, v9
	v_mov_b32_e32 v88, 0x8000
	s_mov_b32 s74, exec_lo
	v_cmpx_ne_u32_e32 0x7f800000, v8
	s_cbranch_execz .LBB2_1421
; %bb.1414:                             ;   in Loop: Header=BB2_1061 Depth=4
	v_mov_b32_e32 v88, 0
	s_mov_b32 s75, exec_lo
	v_cmpx_ne_u32_e32 0, v9
	s_cbranch_execz .LBB2_1420
; %bb.1415:                             ;   in Loop: Header=BB2_1061 Depth=4
	v_bfe_u32 v8, v9, 23, 8
	v_and_b32_e32 v88, 0x7fffff, v9
	v_sub_nc_u32_e32 v89, 0x78, v8
	v_cmp_gt_u32_e32 vcc_lo, 0x79, v8
	v_or_b32_e32 v90, 0x800000, v88
	v_cndmask_b32_e32 v89, 0, v89, vcc_lo
	v_cmp_eq_u32_e32 vcc_lo, 0, v8
	v_add_nc_u32_e32 v8, 0xffffff89, v8
	v_cndmask_b32_e64 v89, v89, 0x77, vcc_lo
	v_cndmask_b32_e32 v88, v90, v88, vcc_lo
	v_cndmask_b32_e64 v8, v8, 0xffffff8a, vcc_lo
	v_lshl_add_u32 v90, 0x100000, v89, -1
	v_lshrrev_b32_e32 v91, v89, v88
	v_lshlrev_b32_e64 v93, v89, 0x80000
	v_add_nc_u32_e32 v89, v89, v8
	v_and_b32_e32 v88, v90, v88
	v_bfe_u32 v92, v91, 20, 1
	v_cmp_eq_u32_e64 s17, v88, v93
	v_add_nc_u32_e32 v90, -1, v92
	v_cndmask_b32_e64 v88, 0, v90, s17
	v_lshrrev_b32_e32 v90, 23, v91
	s_mov_b32 s17, exec_lo
	v_add_nc_u32_e32 v88, v88, v91
	v_xor_b32_e32 v90, 1, v90
	v_and_b32_e32 v8, 0xfffff, v88
	v_add_nc_u32_e32 v88, v8, v91
                                        ; implicit-def: $vgpr8
	v_cmpx_ne_u32_e64 v89, v90
	s_xor_b32 s17, exec_lo, s17
; %bb.1416:                             ;   in Loop: Header=BB2_1061 Depth=4
	v_cmp_lt_u32_e32 vcc_lo, 0xffffff, v88
	v_sub_nc_u32_e32 v8, v89, v90
	v_cndmask_b32_e64 v89, 0, 1, vcc_lo
	v_add_co_ci_u32_e64 v8, null, 0, v8, vcc_lo
	v_lshrrev_b32_e32 v88, v89, v88
; %bb.1417:                             ;   in Loop: Header=BB2_1061 Depth=4
	s_andn2_saveexec_b32 s17, s17
; %bb.1418:                             ;   in Loop: Header=BB2_1061 Depth=4
	v_bfe_u32 v8, v88, 23, 1
; %bb.1419:                             ;   in Loop: Header=BB2_1061 Depth=4
	s_or_b32 exec_lo, exec_lo, s17
	v_lshrrev_b32_e32 v88, 20, v88
	v_min_i32_e32 v89, 15, v8
	v_cmp_gt_i32_e32 vcc_lo, 16, v8
	v_and_b32_sdwa v9, v9, v103 dst_sel:DWORD dst_unused:UNUSED_PAD src0_sel:BYTE_3 src1_sel:DWORD
	v_lshlrev_b32_e32 v89, 3, v89
	v_cndmask_b32_e32 v88, 7, v88, vcc_lo
	v_and_b32_e32 v89, 0xf8, v89
	v_and_b32_e32 v90, 7, v88
	v_or_b32_e32 v8, v8, v88
	v_or3_b32 v9, v9, v89, v90
	v_cmp_ne_u32_e32 vcc_lo, 0, v8
	v_lshlrev_b32_e32 v9, 8, v9
	v_cndmask_b32_e32 v88, 0, v9, vcc_lo
.LBB2_1420:                             ;   in Loop: Header=BB2_1061 Depth=4
	s_or_b32 exec_lo, exec_lo, s75
.LBB2_1421:                             ;   in Loop: Header=BB2_1061 Depth=4
	s_or_b32 exec_lo, exec_lo, s74
	v_bfe_u32 v8, v10, 16, 3
	v_bfe_u32 v90, v10, 19, 4
	v_lshlrev_b32_e32 v91, 8, v10
	s_mov_b32 s17, -1
	v_ffbh_u32_e32 v9, v8
	v_cmp_eq_u32_e32 vcc_lo, 0, v90
	v_min_u32_e32 v9, 32, v9
	v_subrev_nc_u32_e32 v89, 28, v9
	v_sub_nc_u32_e32 v9, 29, v9
	v_lshlrev_b32_sdwa v89, v89, v10 dst_sel:DWORD dst_unused:UNUSED_PAD src0_sel:DWORD src1_sel:WORD_1
	v_cndmask_b32_e32 v9, v90, v9, vcc_lo
	v_and_b32_e32 v89, 7, v89
	v_lshl_add_u32 v9, v9, 23, 0x3b800000
	v_cndmask_b32_e32 v8, v8, v89, vcc_lo
	v_and_b32_e32 v89, 0x80000000, v91
	s_and_b32 vcc_lo, exec_lo, s73
	v_lshlrev_b32_e32 v8, 20, v8
	v_or3_b32 v8, v89, v9, v8
                                        ; implicit-def: $vgpr9
	s_cbranch_vccz .LBB2_1435
; %bb.1422:                             ;   in Loop: Header=BB2_1061 Depth=4
	v_and_b32_sdwa v89, v14, v114 dst_sel:DWORD dst_unused:UNUSED_PAD src0_sel:WORD_1 src1_sel:DWORD
	s_mov_b32 s17, 0
	s_mov_b32 s74, exec_lo
	v_cmpx_lt_i16_e32 0x7f, v89
	s_xor_b32 s74, exec_lo, s74
	s_cbranch_execz .LBB2_1715
; %bb.1423:                             ;   in Loop: Header=BB2_1061 Depth=4
	s_mov_b32 s17, -1
	s_mov_b32 s75, exec_lo
	v_cmpx_eq_u16_e32 0x80, v89
; %bb.1424:                             ;   in Loop: Header=BB2_1061 Depth=4
	s_xor_b32 s17, exec_lo, -1
; %bb.1425:                             ;   in Loop: Header=BB2_1061 Depth=4
	s_or_b32 exec_lo, exec_lo, s75
	s_and_b32 s17, s17, exec_lo
                                        ; implicit-def: $vgpr89
	s_or_saveexec_b32 s74, s74
	v_mov_b32_e32 v9, 0x7f800001
	s_xor_b32 exec_lo, exec_lo, s74
	s_cbranch_execnz .LBB2_1716
.LBB2_1426:                             ;   in Loop: Header=BB2_1061 Depth=4
	s_or_b32 exec_lo, exec_lo, s74
	s_and_saveexec_b32 s74, s17
	s_cbranch_execz .LBB2_1428
.LBB2_1427:                             ;   in Loop: Header=BB2_1061 Depth=4
	v_bfe_u32 v9, v14, 16, 3
	v_bfe_u32 v91, v14, 19, 4
	v_lshlrev_b32_sdwa v92, v113, v14 dst_sel:DWORD dst_unused:UNUSED_PAD src0_sel:DWORD src1_sel:WORD_1
	v_ffbh_u32_e32 v89, v9
	v_cmp_eq_u32_e32 vcc_lo, 0, v91
	v_min_u32_e32 v89, 32, v89
	v_subrev_nc_u32_e32 v90, 28, v89
	v_sub_nc_u32_e32 v89, 29, v89
	v_lshlrev_b32_sdwa v90, v90, v14 dst_sel:DWORD dst_unused:UNUSED_PAD src0_sel:DWORD src1_sel:WORD_1
	v_cndmask_b32_e32 v89, v91, v89, vcc_lo
	v_and_b32_e32 v90, 7, v90
	v_lshl_add_u32 v89, v89, 23, 0x3b800000
	v_cndmask_b32_e32 v9, v9, v90, vcc_lo
	v_and_b32_e32 v90, 0x80000000, v92
	v_lshlrev_b32_e32 v9, 20, v9
	v_or3_b32 v9, v90, v89, v9
.LBB2_1428:                             ;   in Loop: Header=BB2_1061 Depth=4
	s_or_b32 exec_lo, exec_lo, s74
	v_and_b32_sdwa v90, v10, v114 dst_sel:DWORD dst_unused:UNUSED_PAD src0_sel:WORD_1 src1_sel:DWORD
	s_mov_b32 s17, 0
	s_mov_b32 s74, exec_lo
	v_cmpx_lt_i16_e32 0x7f, v90
	s_xor_b32 s74, exec_lo, s74
	s_cbranch_execz .LBB2_1717
; %bb.1429:                             ;   in Loop: Header=BB2_1061 Depth=4
	s_mov_b32 s17, -1
	s_mov_b32 s75, exec_lo
	v_cmpx_eq_u16_e32 0x80, v90
; %bb.1430:                             ;   in Loop: Header=BB2_1061 Depth=4
	s_xor_b32 s17, exec_lo, -1
; %bb.1431:                             ;   in Loop: Header=BB2_1061 Depth=4
	s_or_b32 exec_lo, exec_lo, s75
	s_and_b32 s17, s17, exec_lo
                                        ; implicit-def: $vgpr90
	s_or_saveexec_b32 s74, s74
	v_mov_b32_e32 v89, 0x7f800001
	s_xor_b32 exec_lo, exec_lo, s74
	s_cbranch_execnz .LBB2_1718
.LBB2_1432:                             ;   in Loop: Header=BB2_1061 Depth=4
	s_or_b32 exec_lo, exec_lo, s74
	s_and_saveexec_b32 s74, s17
.LBB2_1433:                             ;   in Loop: Header=BB2_1061 Depth=4
	v_mov_b32_e32 v89, v8
.LBB2_1434:                             ;   in Loop: Header=BB2_1061 Depth=4
	s_or_b32 exec_lo, exec_lo, s74
	v_max_f32_e32 v89, v89, v89
	v_max_f32_e32 v9, v9, v9
	s_mov_b32 s17, 0
	v_max_f32_e32 v9, v9, v89
.LBB2_1435:                             ;   in Loop: Header=BB2_1061 Depth=4
	s_and_b32 vcc_lo, exec_lo, s17
	s_cbranch_vccz .LBB2_1449
; %bb.1436:                             ;   in Loop: Header=BB2_1061 Depth=4
	v_and_b32_sdwa v89, v14, v114 dst_sel:DWORD dst_unused:UNUSED_PAD src0_sel:WORD_1 src1_sel:DWORD
	s_mov_b32 s17, 0
	s_mov_b32 s74, exec_lo
	v_cmpx_lt_i16_e32 0x7f, v89
	s_xor_b32 s74, exec_lo, s74
	s_cbranch_execz .LBB2_1719
; %bb.1437:                             ;   in Loop: Header=BB2_1061 Depth=4
	s_mov_b32 s17, -1
	s_mov_b32 s75, exec_lo
	v_cmpx_eq_u16_e32 0x80, v89
; %bb.1438:                             ;   in Loop: Header=BB2_1061 Depth=4
	s_xor_b32 s17, exec_lo, -1
; %bb.1439:                             ;   in Loop: Header=BB2_1061 Depth=4
	s_or_b32 exec_lo, exec_lo, s75
	s_and_b32 s17, s17, exec_lo
                                        ; implicit-def: $vgpr89
	s_or_saveexec_b32 s74, s74
	v_mov_b32_e32 v9, 0x7f800001
	s_xor_b32 exec_lo, exec_lo, s74
	s_cbranch_execnz .LBB2_1720
.LBB2_1440:                             ;   in Loop: Header=BB2_1061 Depth=4
	s_or_b32 exec_lo, exec_lo, s74
	s_and_saveexec_b32 s74, s17
	s_cbranch_execz .LBB2_1442
.LBB2_1441:                             ;   in Loop: Header=BB2_1061 Depth=4
	v_bfe_u32 v9, v14, 16, 3
	v_bfe_u32 v91, v14, 19, 4
	v_lshlrev_b32_sdwa v92, v113, v14 dst_sel:DWORD dst_unused:UNUSED_PAD src0_sel:DWORD src1_sel:WORD_1
	v_ffbh_u32_e32 v89, v9
	v_cmp_eq_u32_e32 vcc_lo, 0, v91
	v_min_u32_e32 v89, 32, v89
	v_subrev_nc_u32_e32 v90, 28, v89
	v_sub_nc_u32_e32 v89, 29, v89
	v_lshlrev_b32_sdwa v90, v90, v14 dst_sel:DWORD dst_unused:UNUSED_PAD src0_sel:DWORD src1_sel:WORD_1
	v_cndmask_b32_e32 v89, v91, v89, vcc_lo
	v_and_b32_e32 v90, 7, v90
	v_lshl_add_u32 v89, v89, 23, 0x3b800000
	v_cndmask_b32_e32 v9, v9, v90, vcc_lo
	v_and_b32_e32 v90, 0x80000000, v92
	v_lshlrev_b32_e32 v9, 20, v9
	v_or3_b32 v9, v90, v89, v9
.LBB2_1442:                             ;   in Loop: Header=BB2_1061 Depth=4
	s_or_b32 exec_lo, exec_lo, s74
	v_and_b32_sdwa v90, v10, v114 dst_sel:DWORD dst_unused:UNUSED_PAD src0_sel:WORD_1 src1_sel:DWORD
	s_mov_b32 s17, 0
	s_mov_b32 s74, exec_lo
	v_cmpx_lt_i16_e32 0x7f, v90
	s_xor_b32 s74, exec_lo, s74
	s_cbranch_execz .LBB2_1721
; %bb.1443:                             ;   in Loop: Header=BB2_1061 Depth=4
	s_mov_b32 s17, -1
	s_mov_b32 s75, exec_lo
	v_cmpx_eq_u16_e32 0x80, v90
; %bb.1444:                             ;   in Loop: Header=BB2_1061 Depth=4
	s_xor_b32 s17, exec_lo, -1
; %bb.1445:                             ;   in Loop: Header=BB2_1061 Depth=4
	s_or_b32 exec_lo, exec_lo, s75
	s_and_b32 s17, s17, exec_lo
                                        ; implicit-def: $vgpr90
	s_or_saveexec_b32 s74, s74
	v_mov_b32_e32 v89, 0x7f800001
	s_xor_b32 exec_lo, exec_lo, s74
	s_cbranch_execnz .LBB2_1722
.LBB2_1446:                             ;   in Loop: Header=BB2_1061 Depth=4
	s_or_b32 exec_lo, exec_lo, s74
	s_and_saveexec_b32 s74, s17
.LBB2_1447:                             ;   in Loop: Header=BB2_1061 Depth=4
	v_mov_b32_e32 v89, v8
.LBB2_1448:                             ;   in Loop: Header=BB2_1061 Depth=4
	s_or_b32 exec_lo, exec_lo, s74
	v_max_f32_e32 v8, v89, v89
	v_max_f32_e32 v9, v9, v9
	v_min_f32_e32 v9, v9, v8
.LBB2_1449:                             ;   in Loop: Header=BB2_1061 Depth=4
	v_and_b32_e32 v8, 0x7f800000, v9
	v_mov_b32_e32 v89, 0x80
	s_mov_b32 s74, exec_lo
	v_cmpx_ne_u32_e32 0x7f800000, v8
	s_cbranch_execz .LBB2_1457
; %bb.1450:                             ;   in Loop: Header=BB2_1061 Depth=4
	v_mov_b32_e32 v89, 0
	s_mov_b32 s75, exec_lo
	v_cmpx_ne_u32_e32 0, v9
	s_cbranch_execz .LBB2_1456
; %bb.1451:                             ;   in Loop: Header=BB2_1061 Depth=4
	v_bfe_u32 v8, v9, 23, 8
	v_and_b32_e32 v89, 0x7fffff, v9
	v_sub_nc_u32_e32 v90, 0x78, v8
	v_cmp_gt_u32_e32 vcc_lo, 0x79, v8
	v_or_b32_e32 v91, 0x800000, v89
	v_cndmask_b32_e32 v90, 0, v90, vcc_lo
	v_cmp_eq_u32_e32 vcc_lo, 0, v8
	v_add_nc_u32_e32 v8, 0xffffff89, v8
	v_cndmask_b32_e64 v90, v90, 0x77, vcc_lo
	v_cndmask_b32_e32 v89, v91, v89, vcc_lo
	v_cndmask_b32_e64 v8, v8, 0xffffff8a, vcc_lo
	v_lshl_add_u32 v91, 0x100000, v90, -1
	v_lshrrev_b32_e32 v92, v90, v89
	v_lshlrev_b32_e64 v94, v90, 0x80000
	v_add_nc_u32_e32 v90, v90, v8
	v_and_b32_e32 v89, v91, v89
	v_bfe_u32 v93, v92, 20, 1
	v_cmp_eq_u32_e64 s17, v89, v94
	v_add_nc_u32_e32 v91, -1, v93
	v_cndmask_b32_e64 v89, 0, v91, s17
	v_lshrrev_b32_e32 v91, 23, v92
	s_mov_b32 s17, exec_lo
	v_add_nc_u32_e32 v89, v89, v92
	v_xor_b32_e32 v91, 1, v91
	v_and_b32_e32 v8, 0xfffff, v89
	v_add_nc_u32_e32 v89, v8, v92
                                        ; implicit-def: $vgpr8
	v_cmpx_ne_u32_e64 v90, v91
	s_xor_b32 s17, exec_lo, s17
; %bb.1452:                             ;   in Loop: Header=BB2_1061 Depth=4
	v_cmp_lt_u32_e32 vcc_lo, 0xffffff, v89
	v_sub_nc_u32_e32 v8, v90, v91
	v_cndmask_b32_e64 v90, 0, 1, vcc_lo
	v_add_co_ci_u32_e64 v8, null, 0, v8, vcc_lo
	v_lshrrev_b32_e32 v89, v90, v89
; %bb.1453:                             ;   in Loop: Header=BB2_1061 Depth=4
	s_andn2_saveexec_b32 s17, s17
; %bb.1454:                             ;   in Loop: Header=BB2_1061 Depth=4
	v_bfe_u32 v8, v89, 23, 1
; %bb.1455:                             ;   in Loop: Header=BB2_1061 Depth=4
	s_or_b32 exec_lo, exec_lo, s17
	v_lshrrev_b32_e32 v89, 20, v89
	v_min_i32_e32 v90, 15, v8
	v_cmp_gt_i32_e32 vcc_lo, 16, v8
	v_and_b32_sdwa v9, v9, v103 dst_sel:DWORD dst_unused:UNUSED_PAD src0_sel:BYTE_3 src1_sel:DWORD
	v_lshlrev_b32_e32 v90, 3, v90
	v_cndmask_b32_e32 v89, 7, v89, vcc_lo
	v_and_b32_e32 v90, 0xf8, v90
	v_and_b32_e32 v91, 7, v89
	v_or_b32_e32 v8, v8, v89
	v_or3_b32 v9, v90, v9, v91
	v_cmp_ne_u32_e32 vcc_lo, 0, v8
	v_cndmask_b32_e32 v89, 0, v9, vcc_lo
.LBB2_1456:                             ;   in Loop: Header=BB2_1061 Depth=4
	s_or_b32 exec_lo, exec_lo, s75
.LBB2_1457:                             ;   in Loop: Header=BB2_1061 Depth=4
	s_or_b32 exec_lo, exec_lo, s74
	v_bfe_u32 v8, v10, 24, 3
	v_bfe_u32 v91, v10, 27, 4
	s_mov_b32 s17, -1
	v_ffbh_u32_e32 v9, v8
	v_cmp_eq_u32_e32 vcc_lo, 0, v91
	v_min_u32_e32 v9, 32, v9
	v_subrev_nc_u32_e32 v90, 28, v9
	v_sub_nc_u32_e32 v9, 29, v9
	v_lshlrev_b32_sdwa v90, v90, v10 dst_sel:DWORD dst_unused:UNUSED_PAD src0_sel:DWORD src1_sel:BYTE_3
	v_cndmask_b32_e32 v9, v91, v9, vcc_lo
	v_and_b32_e32 v90, 7, v90
	v_lshl_add_u32 v9, v9, 23, 0x3b800000
	v_cndmask_b32_e32 v8, v8, v90, vcc_lo
	v_and_b32_e32 v90, 0x80000000, v10
	s_and_b32 vcc_lo, exec_lo, s73
	v_lshlrev_b32_e32 v8, 20, v8
	v_or3_b32 v8, v90, v9, v8
                                        ; implicit-def: $vgpr9
	s_cbranch_vccz .LBB2_1471
; %bb.1458:                             ;   in Loop: Header=BB2_1061 Depth=4
	v_cmp_gt_i16_sdwa s74, v14, v102 src0_sel:BYTE_3 src1_sel:DWORD
	s_mov_b32 s17, 0
	s_and_saveexec_b32 s75, s74
	s_xor_b32 s74, exec_lo, s75
	s_cbranch_execz .LBB2_1723
; %bb.1459:                             ;   in Loop: Header=BB2_1061 Depth=4
	v_cmp_eq_u16_sdwa s76, v14, v103 src0_sel:BYTE_3 src1_sel:DWORD
	s_mov_b32 s17, -1
	s_and_saveexec_b32 s75, s76
; %bb.1460:                             ;   in Loop: Header=BB2_1061 Depth=4
	s_xor_b32 s17, exec_lo, -1
; %bb.1461:                             ;   in Loop: Header=BB2_1061 Depth=4
	s_or_b32 exec_lo, exec_lo, s75
	s_and_b32 s17, s17, exec_lo
	s_or_saveexec_b32 s74, s74
	v_mov_b32_e32 v9, 0x7f800001
	s_xor_b32 exec_lo, exec_lo, s74
	s_cbranch_execnz .LBB2_1724
.LBB2_1462:                             ;   in Loop: Header=BB2_1061 Depth=4
	s_or_b32 exec_lo, exec_lo, s74
	s_and_saveexec_b32 s74, s17
	s_cbranch_execz .LBB2_1464
.LBB2_1463:                             ;   in Loop: Header=BB2_1061 Depth=4
	v_bfe_u32 v9, v14, 24, 3
	v_bfe_u32 v92, v14, 27, 4
	v_ffbh_u32_e32 v90, v9
	v_cmp_eq_u32_e32 vcc_lo, 0, v92
	v_min_u32_e32 v90, 32, v90
	v_subrev_nc_u32_e32 v91, 28, v90
	v_sub_nc_u32_e32 v90, 29, v90
	v_lshlrev_b32_sdwa v91, v91, v14 dst_sel:DWORD dst_unused:UNUSED_PAD src0_sel:DWORD src1_sel:BYTE_3
	v_cndmask_b32_e32 v90, v92, v90, vcc_lo
	v_and_b32_e32 v91, 7, v91
	v_lshl_add_u32 v90, v90, 23, 0x3b800000
	v_cndmask_b32_e32 v9, v9, v91, vcc_lo
	v_and_b32_e32 v91, 0x80000000, v14
	v_lshlrev_b32_e32 v9, 20, v9
	v_or3_b32 v9, v91, v90, v9
.LBB2_1464:                             ;   in Loop: Header=BB2_1061 Depth=4
	s_or_b32 exec_lo, exec_lo, s74
	v_cmp_gt_i16_sdwa s74, v10, v102 src0_sel:BYTE_3 src1_sel:DWORD
	s_mov_b32 s17, 0
	s_and_saveexec_b32 s75, s74
	s_xor_b32 s74, exec_lo, s75
	s_cbranch_execz .LBB2_1725
; %bb.1465:                             ;   in Loop: Header=BB2_1061 Depth=4
	v_cmp_eq_u16_sdwa s76, v10, v103 src0_sel:BYTE_3 src1_sel:DWORD
	s_mov_b32 s17, -1
	s_and_saveexec_b32 s75, s76
; %bb.1466:                             ;   in Loop: Header=BB2_1061 Depth=4
	s_xor_b32 s17, exec_lo, -1
; %bb.1467:                             ;   in Loop: Header=BB2_1061 Depth=4
	s_or_b32 exec_lo, exec_lo, s75
	s_and_b32 s17, s17, exec_lo
	s_or_saveexec_b32 s74, s74
	v_mov_b32_e32 v90, 0x7f800001
	s_xor_b32 exec_lo, exec_lo, s74
	s_cbranch_execnz .LBB2_1726
.LBB2_1468:                             ;   in Loop: Header=BB2_1061 Depth=4
	s_or_b32 exec_lo, exec_lo, s74
	s_and_saveexec_b32 s74, s17
.LBB2_1469:                             ;   in Loop: Header=BB2_1061 Depth=4
	v_mov_b32_e32 v90, v8
.LBB2_1470:                             ;   in Loop: Header=BB2_1061 Depth=4
	s_or_b32 exec_lo, exec_lo, s74
	v_max_f32_e32 v90, v90, v90
	v_max_f32_e32 v9, v9, v9
	s_mov_b32 s17, 0
	v_max_f32_e32 v9, v9, v90
.LBB2_1471:                             ;   in Loop: Header=BB2_1061 Depth=4
	s_and_b32 vcc_lo, exec_lo, s17
	s_cbranch_vccz .LBB2_1485
; %bb.1472:                             ;   in Loop: Header=BB2_1061 Depth=4
	v_cmp_gt_i16_sdwa s74, v14, v102 src0_sel:BYTE_3 src1_sel:DWORD
	s_mov_b32 s17, 0
	s_and_saveexec_b32 s75, s74
	s_xor_b32 s74, exec_lo, s75
	s_cbranch_execz .LBB2_1727
; %bb.1473:                             ;   in Loop: Header=BB2_1061 Depth=4
	v_cmp_eq_u16_sdwa s76, v14, v103 src0_sel:BYTE_3 src1_sel:DWORD
	s_mov_b32 s17, -1
	s_and_saveexec_b32 s75, s76
; %bb.1474:                             ;   in Loop: Header=BB2_1061 Depth=4
	s_xor_b32 s17, exec_lo, -1
; %bb.1475:                             ;   in Loop: Header=BB2_1061 Depth=4
	s_or_b32 exec_lo, exec_lo, s75
	s_and_b32 s17, s17, exec_lo
	s_or_saveexec_b32 s74, s74
	v_mov_b32_e32 v9, 0x7f800001
	s_xor_b32 exec_lo, exec_lo, s74
	s_cbranch_execnz .LBB2_1728
.LBB2_1476:                             ;   in Loop: Header=BB2_1061 Depth=4
	s_or_b32 exec_lo, exec_lo, s74
	s_and_saveexec_b32 s74, s17
	s_cbranch_execz .LBB2_1478
.LBB2_1477:                             ;   in Loop: Header=BB2_1061 Depth=4
	v_bfe_u32 v9, v14, 24, 3
	v_bfe_u32 v92, v14, 27, 4
	v_ffbh_u32_e32 v90, v9
	v_cmp_eq_u32_e32 vcc_lo, 0, v92
	v_min_u32_e32 v90, 32, v90
	v_subrev_nc_u32_e32 v91, 28, v90
	v_sub_nc_u32_e32 v90, 29, v90
	v_lshlrev_b32_sdwa v91, v91, v14 dst_sel:DWORD dst_unused:UNUSED_PAD src0_sel:DWORD src1_sel:BYTE_3
	v_cndmask_b32_e32 v90, v92, v90, vcc_lo
	v_and_b32_e32 v14, 0x80000000, v14
	v_and_b32_e32 v91, 7, v91
	v_lshl_add_u32 v90, v90, 23, 0x3b800000
	v_cndmask_b32_e32 v9, v9, v91, vcc_lo
	v_lshlrev_b32_e32 v9, 20, v9
	v_or3_b32 v9, v14, v90, v9
.LBB2_1478:                             ;   in Loop: Header=BB2_1061 Depth=4
	s_or_b32 exec_lo, exec_lo, s74
	v_cmp_gt_i16_sdwa s74, v10, v102 src0_sel:BYTE_3 src1_sel:DWORD
	s_mov_b32 s17, 0
	s_and_saveexec_b32 s75, s74
	s_xor_b32 s74, exec_lo, s75
	s_cbranch_execz .LBB2_1729
; %bb.1479:                             ;   in Loop: Header=BB2_1061 Depth=4
	v_cmp_eq_u16_sdwa s76, v10, v103 src0_sel:BYTE_3 src1_sel:DWORD
	s_mov_b32 s17, -1
	s_and_saveexec_b32 s75, s76
; %bb.1480:                             ;   in Loop: Header=BB2_1061 Depth=4
	s_xor_b32 s17, exec_lo, -1
; %bb.1481:                             ;   in Loop: Header=BB2_1061 Depth=4
	s_or_b32 exec_lo, exec_lo, s75
	s_and_b32 s17, s17, exec_lo
	s_or_saveexec_b32 s74, s74
	v_mov_b32_e32 v14, 0x7f800001
	s_xor_b32 exec_lo, exec_lo, s74
	s_cbranch_execnz .LBB2_1730
.LBB2_1482:                             ;   in Loop: Header=BB2_1061 Depth=4
	s_or_b32 exec_lo, exec_lo, s74
	s_and_saveexec_b32 s74, s17
.LBB2_1483:                             ;   in Loop: Header=BB2_1061 Depth=4
	v_mov_b32_e32 v14, v8
.LBB2_1484:                             ;   in Loop: Header=BB2_1061 Depth=4
	s_or_b32 exec_lo, exec_lo, s74
	v_max_f32_e32 v8, v14, v14
	v_max_f32_e32 v9, v9, v9
	v_min_f32_e32 v9, v9, v8
.LBB2_1485:                             ;   in Loop: Header=BB2_1061 Depth=4
	v_and_b32_e32 v8, 0x7f800000, v9
	v_mov_b32_e32 v14, 0x8000
	s_mov_b32 s74, exec_lo
	v_cmpx_ne_u32_e32 0x7f800000, v8
	s_cbranch_execz .LBB2_1493
; %bb.1486:                             ;   in Loop: Header=BB2_1061 Depth=4
	v_mov_b32_e32 v14, 0
	s_mov_b32 s75, exec_lo
	v_cmpx_ne_u32_e32 0, v9
	s_cbranch_execz .LBB2_1492
; %bb.1487:                             ;   in Loop: Header=BB2_1061 Depth=4
	v_bfe_u32 v8, v9, 23, 8
	v_and_b32_e32 v10, 0x7fffff, v9
	v_sub_nc_u32_e32 v14, 0x78, v8
	v_cmp_gt_u32_e32 vcc_lo, 0x79, v8
	v_or_b32_e32 v90, 0x800000, v10
	v_cndmask_b32_e32 v14, 0, v14, vcc_lo
	v_cmp_eq_u32_e32 vcc_lo, 0, v8
	v_add_nc_u32_e32 v8, 0xffffff89, v8
	v_cndmask_b32_e64 v14, v14, 0x77, vcc_lo
	v_cndmask_b32_e32 v10, v90, v10, vcc_lo
	v_cndmask_b32_e64 v8, v8, 0xffffff8a, vcc_lo
	v_lshl_add_u32 v90, 0x100000, v14, -1
	v_lshrrev_b32_e32 v91, v14, v10
	v_lshlrev_b32_e64 v93, v14, 0x80000
	v_add_nc_u32_e32 v14, v14, v8
	v_and_b32_e32 v10, v90, v10
	v_bfe_u32 v92, v91, 20, 1
	v_cmp_eq_u32_e64 s17, v10, v93
	v_add_nc_u32_e32 v90, -1, v92
	v_cndmask_b32_e64 v10, 0, v90, s17
	v_lshrrev_b32_e32 v90, 23, v91
	s_mov_b32 s17, exec_lo
	v_add_nc_u32_e32 v10, v10, v91
	v_xor_b32_e32 v90, 1, v90
	v_and_b32_e32 v8, 0xfffff, v10
	v_add_nc_u32_e32 v10, v8, v91
                                        ; implicit-def: $vgpr8
	v_cmpx_ne_u32_e64 v14, v90
	s_xor_b32 s17, exec_lo, s17
; %bb.1488:                             ;   in Loop: Header=BB2_1061 Depth=4
	v_cmp_lt_u32_e32 vcc_lo, 0xffffff, v10
	v_sub_nc_u32_e32 v8, v14, v90
	v_cndmask_b32_e64 v14, 0, 1, vcc_lo
	v_add_co_ci_u32_e64 v8, null, 0, v8, vcc_lo
	v_lshrrev_b32_e32 v10, v14, v10
; %bb.1489:                             ;   in Loop: Header=BB2_1061 Depth=4
	s_andn2_saveexec_b32 s17, s17
; %bb.1490:                             ;   in Loop: Header=BB2_1061 Depth=4
	v_bfe_u32 v8, v10, 23, 1
; %bb.1491:                             ;   in Loop: Header=BB2_1061 Depth=4
	s_or_b32 exec_lo, exec_lo, s17
	v_lshrrev_b32_e32 v10, 20, v10
	v_min_i32_e32 v14, 15, v8
	v_cmp_gt_i32_e32 vcc_lo, 16, v8
	v_and_b32_sdwa v9, v9, v103 dst_sel:DWORD dst_unused:UNUSED_PAD src0_sel:BYTE_3 src1_sel:DWORD
	v_lshlrev_b32_e32 v14, 3, v14
	v_cndmask_b32_e32 v10, 7, v10, vcc_lo
	v_and_b32_e32 v14, 0xf8, v14
	v_and_b32_e32 v90, 7, v10
	v_or_b32_e32 v8, v8, v10
	v_or3_b32 v9, v9, v14, v90
	v_cmp_ne_u32_e32 vcc_lo, 0, v8
	v_lshlrev_b32_e32 v9, 8, v9
	v_cndmask_b32_e32 v14, 0, v9, vcc_lo
.LBB2_1492:                             ;   in Loop: Header=BB2_1061 Depth=4
	s_or_b32 exec_lo, exec_lo, s75
.LBB2_1493:                             ;   in Loop: Header=BB2_1061 Depth=4
	s_or_b32 exec_lo, exec_lo, s74
	v_and_b32_e32 v8, 7, v11
	v_bfe_u32 v90, v11, 3, 4
	v_lshlrev_b32_e32 v91, 24, v11
	s_mov_b32 s17, -1
	v_ffbh_u32_e32 v9, v8
	v_cmp_eq_u32_e32 vcc_lo, 0, v90
	v_min_u32_e32 v9, 32, v9
	v_subrev_nc_u32_e32 v10, 28, v9
	v_sub_nc_u32_e32 v9, 29, v9
	v_lshlrev_b32_e32 v10, v10, v11
	v_cndmask_b32_e32 v9, v90, v9, vcc_lo
	v_and_b32_e32 v10, 7, v10
	v_lshl_add_u32 v9, v9, 23, 0x3b800000
	v_cndmask_b32_e32 v8, v8, v10, vcc_lo
	v_and_b32_e32 v10, 0x80000000, v91
	s_and_b32 vcc_lo, exec_lo, s73
	v_lshlrev_b32_e32 v8, 20, v8
	v_or3_b32 v8, v10, v9, v8
                                        ; implicit-def: $vgpr9
	s_cbranch_vccz .LBB2_1507
; %bb.1494:                             ;   in Loop: Header=BB2_1061 Depth=4
	v_cmp_gt_i16_sdwa s74, v15, v102 src0_sel:BYTE_0 src1_sel:DWORD
	s_mov_b32 s17, 0
	s_and_saveexec_b32 s75, s74
	s_xor_b32 s74, exec_lo, s75
	s_cbranch_execz .LBB2_1731
; %bb.1495:                             ;   in Loop: Header=BB2_1061 Depth=4
	v_cmp_eq_u16_sdwa s76, v15, v103 src0_sel:BYTE_0 src1_sel:DWORD
	s_mov_b32 s17, -1
	s_and_saveexec_b32 s75, s76
; %bb.1496:                             ;   in Loop: Header=BB2_1061 Depth=4
	s_xor_b32 s17, exec_lo, -1
; %bb.1497:                             ;   in Loop: Header=BB2_1061 Depth=4
	s_or_b32 exec_lo, exec_lo, s75
	s_and_b32 s17, s17, exec_lo
	s_or_saveexec_b32 s74, s74
	v_mov_b32_e32 v9, 0x7f800001
	s_xor_b32 exec_lo, exec_lo, s74
	s_cbranch_execnz .LBB2_1732
.LBB2_1498:                             ;   in Loop: Header=BB2_1061 Depth=4
	s_or_b32 exec_lo, exec_lo, s74
	s_and_saveexec_b32 s74, s17
	s_cbranch_execz .LBB2_1500
.LBB2_1499:                             ;   in Loop: Header=BB2_1061 Depth=4
	v_and_b32_e32 v9, 7, v15
	v_bfe_u32 v91, v15, 3, 4
	v_lshlrev_b32_e32 v92, 24, v15
	v_ffbh_u32_e32 v10, v9
	v_cmp_eq_u32_e32 vcc_lo, 0, v91
	v_min_u32_e32 v10, 32, v10
	v_subrev_nc_u32_e32 v90, 28, v10
	v_sub_nc_u32_e32 v10, 29, v10
	v_lshlrev_b32_e32 v90, v90, v15
	v_cndmask_b32_e32 v10, v91, v10, vcc_lo
	v_and_b32_e32 v90, 7, v90
	v_lshl_add_u32 v10, v10, 23, 0x3b800000
	v_cndmask_b32_e32 v9, v9, v90, vcc_lo
	v_and_b32_e32 v90, 0x80000000, v92
	v_lshlrev_b32_e32 v9, 20, v9
	v_or3_b32 v9, v90, v10, v9
.LBB2_1500:                             ;   in Loop: Header=BB2_1061 Depth=4
	s_or_b32 exec_lo, exec_lo, s74
	v_cmp_gt_i16_sdwa s74, v11, v102 src0_sel:BYTE_0 src1_sel:DWORD
	s_mov_b32 s17, 0
	s_and_saveexec_b32 s75, s74
	s_xor_b32 s74, exec_lo, s75
	s_cbranch_execz .LBB2_1733
; %bb.1501:                             ;   in Loop: Header=BB2_1061 Depth=4
	v_cmp_eq_u16_sdwa s76, v11, v103 src0_sel:BYTE_0 src1_sel:DWORD
	s_mov_b32 s17, -1
	s_and_saveexec_b32 s75, s76
; %bb.1502:                             ;   in Loop: Header=BB2_1061 Depth=4
	s_xor_b32 s17, exec_lo, -1
; %bb.1503:                             ;   in Loop: Header=BB2_1061 Depth=4
	s_or_b32 exec_lo, exec_lo, s75
	s_and_b32 s17, s17, exec_lo
	s_or_saveexec_b32 s74, s74
	v_mov_b32_e32 v10, 0x7f800001
	s_xor_b32 exec_lo, exec_lo, s74
	s_cbranch_execnz .LBB2_1734
.LBB2_1504:                             ;   in Loop: Header=BB2_1061 Depth=4
	s_or_b32 exec_lo, exec_lo, s74
	s_and_saveexec_b32 s74, s17
.LBB2_1505:                             ;   in Loop: Header=BB2_1061 Depth=4
	v_mov_b32_e32 v10, v8
.LBB2_1506:                             ;   in Loop: Header=BB2_1061 Depth=4
	s_or_b32 exec_lo, exec_lo, s74
	v_max_f32_e32 v10, v10, v10
	v_max_f32_e32 v9, v9, v9
	s_mov_b32 s17, 0
	v_max_f32_e32 v9, v9, v10
.LBB2_1507:                             ;   in Loop: Header=BB2_1061 Depth=4
	s_and_b32 vcc_lo, exec_lo, s17
	s_cbranch_vccz .LBB2_1521
; %bb.1508:                             ;   in Loop: Header=BB2_1061 Depth=4
	v_cmp_gt_i16_sdwa s74, v15, v102 src0_sel:BYTE_0 src1_sel:DWORD
	s_mov_b32 s17, 0
	s_and_saveexec_b32 s75, s74
	s_xor_b32 s74, exec_lo, s75
	s_cbranch_execz .LBB2_1735
; %bb.1509:                             ;   in Loop: Header=BB2_1061 Depth=4
	v_cmp_eq_u16_sdwa s76, v15, v103 src0_sel:BYTE_0 src1_sel:DWORD
	s_mov_b32 s17, -1
	s_and_saveexec_b32 s75, s76
; %bb.1510:                             ;   in Loop: Header=BB2_1061 Depth=4
	s_xor_b32 s17, exec_lo, -1
; %bb.1511:                             ;   in Loop: Header=BB2_1061 Depth=4
	s_or_b32 exec_lo, exec_lo, s75
	s_and_b32 s17, s17, exec_lo
	s_or_saveexec_b32 s74, s74
	v_mov_b32_e32 v9, 0x7f800001
	s_xor_b32 exec_lo, exec_lo, s74
	s_cbranch_execnz .LBB2_1736
.LBB2_1512:                             ;   in Loop: Header=BB2_1061 Depth=4
	s_or_b32 exec_lo, exec_lo, s74
	s_and_saveexec_b32 s74, s17
	s_cbranch_execz .LBB2_1514
.LBB2_1513:                             ;   in Loop: Header=BB2_1061 Depth=4
	v_and_b32_e32 v9, 7, v15
	v_bfe_u32 v91, v15, 3, 4
	v_lshlrev_b32_e32 v92, 24, v15
	v_ffbh_u32_e32 v10, v9
	v_cmp_eq_u32_e32 vcc_lo, 0, v91
	v_min_u32_e32 v10, 32, v10
	v_subrev_nc_u32_e32 v90, 28, v10
	v_sub_nc_u32_e32 v10, 29, v10
	v_lshlrev_b32_e32 v90, v90, v15
	v_cndmask_b32_e32 v10, v91, v10, vcc_lo
	v_and_b32_e32 v90, 7, v90
	v_lshl_add_u32 v10, v10, 23, 0x3b800000
	v_cndmask_b32_e32 v9, v9, v90, vcc_lo
	v_and_b32_e32 v90, 0x80000000, v92
	v_lshlrev_b32_e32 v9, 20, v9
	v_or3_b32 v9, v90, v10, v9
.LBB2_1514:                             ;   in Loop: Header=BB2_1061 Depth=4
	s_or_b32 exec_lo, exec_lo, s74
	v_cmp_gt_i16_sdwa s74, v11, v102 src0_sel:BYTE_0 src1_sel:DWORD
	s_mov_b32 s17, 0
	s_and_saveexec_b32 s75, s74
	s_xor_b32 s74, exec_lo, s75
	s_cbranch_execz .LBB2_1737
; %bb.1515:                             ;   in Loop: Header=BB2_1061 Depth=4
	v_cmp_eq_u16_sdwa s76, v11, v103 src0_sel:BYTE_0 src1_sel:DWORD
	s_mov_b32 s17, -1
	s_and_saveexec_b32 s75, s76
; %bb.1516:                             ;   in Loop: Header=BB2_1061 Depth=4
	s_xor_b32 s17, exec_lo, -1
; %bb.1517:                             ;   in Loop: Header=BB2_1061 Depth=4
	s_or_b32 exec_lo, exec_lo, s75
	s_and_b32 s17, s17, exec_lo
	s_or_saveexec_b32 s74, s74
	v_mov_b32_e32 v10, 0x7f800001
	s_xor_b32 exec_lo, exec_lo, s74
	s_cbranch_execnz .LBB2_1738
.LBB2_1518:                             ;   in Loop: Header=BB2_1061 Depth=4
	s_or_b32 exec_lo, exec_lo, s74
	s_and_saveexec_b32 s74, s17
.LBB2_1519:                             ;   in Loop: Header=BB2_1061 Depth=4
	v_mov_b32_e32 v10, v8
.LBB2_1520:                             ;   in Loop: Header=BB2_1061 Depth=4
	s_or_b32 exec_lo, exec_lo, s74
	v_max_f32_e32 v8, v10, v10
	v_max_f32_e32 v9, v9, v9
	v_min_f32_e32 v9, v9, v8
.LBB2_1521:                             ;   in Loop: Header=BB2_1061 Depth=4
	v_and_b32_e32 v8, 0x7f800000, v9
	v_mov_b32_e32 v90, 0x80
	s_mov_b32 s74, exec_lo
	v_cmpx_ne_u32_e32 0x7f800000, v8
	s_cbranch_execz .LBB2_1529
; %bb.1522:                             ;   in Loop: Header=BB2_1061 Depth=4
	v_mov_b32_e32 v90, 0
	s_mov_b32 s75, exec_lo
	v_cmpx_ne_u32_e32 0, v9
	s_cbranch_execz .LBB2_1528
; %bb.1523:                             ;   in Loop: Header=BB2_1061 Depth=4
	v_bfe_u32 v8, v9, 23, 8
	v_and_b32_e32 v10, 0x7fffff, v9
	v_sub_nc_u32_e32 v90, 0x78, v8
	v_cmp_gt_u32_e32 vcc_lo, 0x79, v8
	v_or_b32_e32 v91, 0x800000, v10
	v_cndmask_b32_e32 v90, 0, v90, vcc_lo
	v_cmp_eq_u32_e32 vcc_lo, 0, v8
	v_add_nc_u32_e32 v8, 0xffffff89, v8
	v_cndmask_b32_e64 v90, v90, 0x77, vcc_lo
	v_cndmask_b32_e32 v10, v91, v10, vcc_lo
	v_cndmask_b32_e64 v8, v8, 0xffffff8a, vcc_lo
	v_lshl_add_u32 v91, 0x100000, v90, -1
	v_lshrrev_b32_e32 v92, v90, v10
	v_lshlrev_b32_e64 v94, v90, 0x80000
	v_add_nc_u32_e32 v90, v90, v8
	v_and_b32_e32 v10, v91, v10
	v_bfe_u32 v93, v92, 20, 1
	v_cmp_eq_u32_e64 s17, v10, v94
	v_add_nc_u32_e32 v91, -1, v93
	v_cndmask_b32_e64 v10, 0, v91, s17
	v_lshrrev_b32_e32 v91, 23, v92
	s_mov_b32 s17, exec_lo
	v_add_nc_u32_e32 v10, v10, v92
	v_xor_b32_e32 v91, 1, v91
	v_and_b32_e32 v8, 0xfffff, v10
	v_add_nc_u32_e32 v10, v8, v92
                                        ; implicit-def: $vgpr8
	v_cmpx_ne_u32_e64 v90, v91
	s_xor_b32 s17, exec_lo, s17
; %bb.1524:                             ;   in Loop: Header=BB2_1061 Depth=4
	v_cmp_lt_u32_e32 vcc_lo, 0xffffff, v10
	v_sub_nc_u32_e32 v8, v90, v91
	v_cndmask_b32_e64 v90, 0, 1, vcc_lo
	v_add_co_ci_u32_e64 v8, null, 0, v8, vcc_lo
	v_lshrrev_b32_e32 v10, v90, v10
; %bb.1525:                             ;   in Loop: Header=BB2_1061 Depth=4
	s_andn2_saveexec_b32 s17, s17
; %bb.1526:                             ;   in Loop: Header=BB2_1061 Depth=4
	v_bfe_u32 v8, v10, 23, 1
; %bb.1527:                             ;   in Loop: Header=BB2_1061 Depth=4
	s_or_b32 exec_lo, exec_lo, s17
	v_lshrrev_b32_e32 v10, 20, v10
	v_min_i32_e32 v90, 15, v8
	v_cmp_gt_i32_e32 vcc_lo, 16, v8
	v_and_b32_sdwa v9, v9, v103 dst_sel:DWORD dst_unused:UNUSED_PAD src0_sel:BYTE_3 src1_sel:DWORD
	v_lshlrev_b32_e32 v90, 3, v90
	v_cndmask_b32_e32 v10, 7, v10, vcc_lo
	v_and_b32_e32 v90, 0xf8, v90
	v_and_b32_e32 v91, 7, v10
	v_or_b32_e32 v8, v8, v10
	v_or3_b32 v9, v90, v9, v91
	v_cmp_ne_u32_e32 vcc_lo, 0, v8
	v_cndmask_b32_e32 v90, 0, v9, vcc_lo
.LBB2_1528:                             ;   in Loop: Header=BB2_1061 Depth=4
	s_or_b32 exec_lo, exec_lo, s75
.LBB2_1529:                             ;   in Loop: Header=BB2_1061 Depth=4
	s_or_b32 exec_lo, exec_lo, s74
	v_and_b32_sdwa v8, v112, v11 dst_sel:DWORD dst_unused:UNUSED_PAD src0_sel:DWORD src1_sel:BYTE_1
	s_mov_b32 s17, -1
	v_and_b32_e32 v9, 7, v8
	v_bfe_u32 v92, v8, 3, 4
	v_ffbh_u32_e32 v10, v9
	v_cmp_eq_u32_e32 vcc_lo, 0, v92
	v_min_u32_e32 v10, 32, v10
	v_subrev_nc_u32_e32 v91, 28, v10
	v_sub_nc_u32_e32 v10, 29, v10
	v_lshlrev_b32_e32 v8, v91, v8
	v_lshlrev_b32_sdwa v91, v113, v11 dst_sel:DWORD dst_unused:UNUSED_PAD src0_sel:DWORD src1_sel:BYTE_1
	v_cndmask_b32_e32 v10, v92, v10, vcc_lo
	v_and_b32_e32 v8, 7, v8
	v_lshl_add_u32 v10, v10, 23, 0x3b800000
	v_cndmask_b32_e32 v8, v9, v8, vcc_lo
	v_and_b32_e32 v9, 0x80000000, v91
	s_and_b32 vcc_lo, exec_lo, s73
	v_lshlrev_b32_e32 v8, 20, v8
	v_or3_b32 v8, v9, v10, v8
                                        ; implicit-def: $vgpr9
	s_cbranch_vccz .LBB2_1543
; %bb.1530:                             ;   in Loop: Header=BB2_1061 Depth=4
	v_cmp_gt_i16_sdwa s74, v15, v102 src0_sel:BYTE_1 src1_sel:DWORD
	s_mov_b32 s17, 0
	s_and_saveexec_b32 s75, s74
	s_xor_b32 s74, exec_lo, s75
	s_cbranch_execz .LBB2_1739
; %bb.1531:                             ;   in Loop: Header=BB2_1061 Depth=4
	v_cmp_eq_u16_sdwa s76, v15, v103 src0_sel:BYTE_1 src1_sel:DWORD
	s_mov_b32 s17, -1
	s_and_saveexec_b32 s75, s76
; %bb.1532:                             ;   in Loop: Header=BB2_1061 Depth=4
	s_xor_b32 s17, exec_lo, -1
; %bb.1533:                             ;   in Loop: Header=BB2_1061 Depth=4
	s_or_b32 exec_lo, exec_lo, s75
	s_and_b32 s17, s17, exec_lo
	s_or_saveexec_b32 s74, s74
	v_mov_b32_e32 v9, 0x7f800001
	s_xor_b32 exec_lo, exec_lo, s74
	s_cbranch_execnz .LBB2_1740
.LBB2_1534:                             ;   in Loop: Header=BB2_1061 Depth=4
	s_or_b32 exec_lo, exec_lo, s74
	s_and_saveexec_b32 s74, s17
	s_cbranch_execz .LBB2_1536
.LBB2_1535:                             ;   in Loop: Header=BB2_1061 Depth=4
	v_and_b32_sdwa v9, v112, v15 dst_sel:DWORD dst_unused:UNUSED_PAD src0_sel:DWORD src1_sel:BYTE_1
	v_and_b32_e32 v10, 7, v9
	v_bfe_u32 v93, v9, 3, 4
	v_ffbh_u32_e32 v91, v10
	v_cmp_eq_u32_e32 vcc_lo, 0, v93
	v_min_u32_e32 v91, 32, v91
	v_subrev_nc_u32_e32 v92, 28, v91
	v_sub_nc_u32_e32 v91, 29, v91
	v_lshlrev_b32_e32 v9, v92, v9
	v_lshlrev_b32_e32 v92, 16, v15
	v_cndmask_b32_e32 v91, v93, v91, vcc_lo
	v_and_b32_e32 v9, 7, v9
	v_lshl_add_u32 v91, v91, 23, 0x3b800000
	v_cndmask_b32_e32 v9, v10, v9, vcc_lo
	v_and_b32_e32 v10, 0x80000000, v92
	v_lshlrev_b32_e32 v9, 20, v9
	v_or3_b32 v9, v10, v91, v9
.LBB2_1536:                             ;   in Loop: Header=BB2_1061 Depth=4
	s_or_b32 exec_lo, exec_lo, s74
	v_cmp_gt_i16_sdwa s74, v11, v102 src0_sel:BYTE_1 src1_sel:DWORD
	s_mov_b32 s17, 0
	s_and_saveexec_b32 s75, s74
	s_xor_b32 s74, exec_lo, s75
	s_cbranch_execz .LBB2_1741
; %bb.1537:                             ;   in Loop: Header=BB2_1061 Depth=4
	v_cmp_eq_u16_sdwa s76, v11, v103 src0_sel:BYTE_1 src1_sel:DWORD
	s_mov_b32 s17, -1
	s_and_saveexec_b32 s75, s76
; %bb.1538:                             ;   in Loop: Header=BB2_1061 Depth=4
	s_xor_b32 s17, exec_lo, -1
; %bb.1539:                             ;   in Loop: Header=BB2_1061 Depth=4
	s_or_b32 exec_lo, exec_lo, s75
	s_and_b32 s17, s17, exec_lo
	s_or_saveexec_b32 s74, s74
	v_mov_b32_e32 v10, 0x7f800001
	s_xor_b32 exec_lo, exec_lo, s74
	s_cbranch_execnz .LBB2_1742
.LBB2_1540:                             ;   in Loop: Header=BB2_1061 Depth=4
	s_or_b32 exec_lo, exec_lo, s74
	s_and_saveexec_b32 s74, s17
.LBB2_1541:                             ;   in Loop: Header=BB2_1061 Depth=4
	v_mov_b32_e32 v10, v8
.LBB2_1542:                             ;   in Loop: Header=BB2_1061 Depth=4
	s_or_b32 exec_lo, exec_lo, s74
	v_max_f32_e32 v10, v10, v10
	v_max_f32_e32 v9, v9, v9
	s_mov_b32 s17, 0
	v_max_f32_e32 v9, v9, v10
.LBB2_1543:                             ;   in Loop: Header=BB2_1061 Depth=4
	s_and_b32 vcc_lo, exec_lo, s17
	s_cbranch_vccz .LBB2_1557
; %bb.1544:                             ;   in Loop: Header=BB2_1061 Depth=4
	v_cmp_gt_i16_sdwa s74, v15, v102 src0_sel:BYTE_1 src1_sel:DWORD
	s_mov_b32 s17, 0
	s_and_saveexec_b32 s75, s74
	s_xor_b32 s74, exec_lo, s75
	s_cbranch_execz .LBB2_1743
; %bb.1545:                             ;   in Loop: Header=BB2_1061 Depth=4
	v_cmp_eq_u16_sdwa s76, v15, v103 src0_sel:BYTE_1 src1_sel:DWORD
	s_mov_b32 s17, -1
	s_and_saveexec_b32 s75, s76
; %bb.1546:                             ;   in Loop: Header=BB2_1061 Depth=4
	s_xor_b32 s17, exec_lo, -1
; %bb.1547:                             ;   in Loop: Header=BB2_1061 Depth=4
	s_or_b32 exec_lo, exec_lo, s75
	s_and_b32 s17, s17, exec_lo
	s_or_saveexec_b32 s74, s74
	v_mov_b32_e32 v9, 0x7f800001
	s_xor_b32 exec_lo, exec_lo, s74
	s_cbranch_execnz .LBB2_1744
.LBB2_1548:                             ;   in Loop: Header=BB2_1061 Depth=4
	s_or_b32 exec_lo, exec_lo, s74
	s_and_saveexec_b32 s74, s17
	s_cbranch_execz .LBB2_1550
.LBB2_1549:                             ;   in Loop: Header=BB2_1061 Depth=4
	v_and_b32_sdwa v9, v112, v15 dst_sel:DWORD dst_unused:UNUSED_PAD src0_sel:DWORD src1_sel:BYTE_1
	v_and_b32_e32 v10, 7, v9
	v_bfe_u32 v93, v9, 3, 4
	v_ffbh_u32_e32 v91, v10
	v_cmp_eq_u32_e32 vcc_lo, 0, v93
	v_min_u32_e32 v91, 32, v91
	v_subrev_nc_u32_e32 v92, 28, v91
	v_sub_nc_u32_e32 v91, 29, v91
	v_lshlrev_b32_e32 v9, v92, v9
	v_lshlrev_b32_e32 v92, 16, v15
	v_cndmask_b32_e32 v91, v93, v91, vcc_lo
	v_and_b32_e32 v9, 7, v9
	v_lshl_add_u32 v91, v91, 23, 0x3b800000
	v_cndmask_b32_e32 v9, v10, v9, vcc_lo
	v_and_b32_e32 v10, 0x80000000, v92
	v_lshlrev_b32_e32 v9, 20, v9
	v_or3_b32 v9, v10, v91, v9
.LBB2_1550:                             ;   in Loop: Header=BB2_1061 Depth=4
	s_or_b32 exec_lo, exec_lo, s74
	v_cmp_gt_i16_sdwa s74, v11, v102 src0_sel:BYTE_1 src1_sel:DWORD
	s_mov_b32 s17, 0
	s_and_saveexec_b32 s75, s74
	s_xor_b32 s74, exec_lo, s75
	s_cbranch_execz .LBB2_1745
; %bb.1551:                             ;   in Loop: Header=BB2_1061 Depth=4
	v_cmp_eq_u16_sdwa s76, v11, v103 src0_sel:BYTE_1 src1_sel:DWORD
	s_mov_b32 s17, -1
	s_and_saveexec_b32 s75, s76
; %bb.1552:                             ;   in Loop: Header=BB2_1061 Depth=4
	s_xor_b32 s17, exec_lo, -1
; %bb.1553:                             ;   in Loop: Header=BB2_1061 Depth=4
	s_or_b32 exec_lo, exec_lo, s75
	s_and_b32 s17, s17, exec_lo
	s_or_saveexec_b32 s74, s74
	v_mov_b32_e32 v10, 0x7f800001
	s_xor_b32 exec_lo, exec_lo, s74
	s_cbranch_execnz .LBB2_1746
.LBB2_1554:                             ;   in Loop: Header=BB2_1061 Depth=4
	s_or_b32 exec_lo, exec_lo, s74
	s_and_saveexec_b32 s74, s17
.LBB2_1555:                             ;   in Loop: Header=BB2_1061 Depth=4
	v_mov_b32_e32 v10, v8
.LBB2_1556:                             ;   in Loop: Header=BB2_1061 Depth=4
	s_or_b32 exec_lo, exec_lo, s74
	v_max_f32_e32 v8, v10, v10
	v_max_f32_e32 v9, v9, v9
	v_min_f32_e32 v9, v9, v8
.LBB2_1557:                             ;   in Loop: Header=BB2_1061 Depth=4
	v_and_b32_e32 v8, 0x7f800000, v9
	v_mov_b32_e32 v91, 0x8000
	s_mov_b32 s74, exec_lo
	v_cmpx_ne_u32_e32 0x7f800000, v8
	s_cbranch_execz .LBB2_1565
; %bb.1558:                             ;   in Loop: Header=BB2_1061 Depth=4
	v_mov_b32_e32 v91, 0
	s_mov_b32 s75, exec_lo
	v_cmpx_ne_u32_e32 0, v9
	s_cbranch_execz .LBB2_1564
; %bb.1559:                             ;   in Loop: Header=BB2_1061 Depth=4
	v_bfe_u32 v8, v9, 23, 8
	v_and_b32_e32 v10, 0x7fffff, v9
	v_sub_nc_u32_e32 v91, 0x78, v8
	v_cmp_gt_u32_e32 vcc_lo, 0x79, v8
	v_or_b32_e32 v92, 0x800000, v10
	v_cndmask_b32_e32 v91, 0, v91, vcc_lo
	v_cmp_eq_u32_e32 vcc_lo, 0, v8
	v_add_nc_u32_e32 v8, 0xffffff89, v8
	v_cndmask_b32_e64 v91, v91, 0x77, vcc_lo
	v_cndmask_b32_e32 v10, v92, v10, vcc_lo
	v_cndmask_b32_e64 v8, v8, 0xffffff8a, vcc_lo
	v_lshl_add_u32 v92, 0x100000, v91, -1
	v_lshrrev_b32_e32 v93, v91, v10
	v_lshlrev_b32_e64 v95, v91, 0x80000
	v_add_nc_u32_e32 v91, v91, v8
	v_and_b32_e32 v10, v92, v10
	v_bfe_u32 v94, v93, 20, 1
	v_cmp_eq_u32_e64 s17, v10, v95
	v_add_nc_u32_e32 v92, -1, v94
	v_cndmask_b32_e64 v10, 0, v92, s17
	v_lshrrev_b32_e32 v92, 23, v93
	s_mov_b32 s17, exec_lo
	v_add_nc_u32_e32 v10, v10, v93
	v_xor_b32_e32 v92, 1, v92
	v_and_b32_e32 v8, 0xfffff, v10
	v_add_nc_u32_e32 v10, v8, v93
                                        ; implicit-def: $vgpr8
	v_cmpx_ne_u32_e64 v91, v92
	s_xor_b32 s17, exec_lo, s17
; %bb.1560:                             ;   in Loop: Header=BB2_1061 Depth=4
	v_cmp_lt_u32_e32 vcc_lo, 0xffffff, v10
	v_sub_nc_u32_e32 v8, v91, v92
	v_cndmask_b32_e64 v91, 0, 1, vcc_lo
	v_add_co_ci_u32_e64 v8, null, 0, v8, vcc_lo
	v_lshrrev_b32_e32 v10, v91, v10
; %bb.1561:                             ;   in Loop: Header=BB2_1061 Depth=4
	s_andn2_saveexec_b32 s17, s17
; %bb.1562:                             ;   in Loop: Header=BB2_1061 Depth=4
	v_bfe_u32 v8, v10, 23, 1
; %bb.1563:                             ;   in Loop: Header=BB2_1061 Depth=4
	s_or_b32 exec_lo, exec_lo, s17
	v_lshrrev_b32_e32 v10, 20, v10
	v_min_i32_e32 v91, 15, v8
	v_cmp_gt_i32_e32 vcc_lo, 16, v8
	v_and_b32_sdwa v9, v9, v103 dst_sel:DWORD dst_unused:UNUSED_PAD src0_sel:BYTE_3 src1_sel:DWORD
	v_lshlrev_b32_e32 v91, 3, v91
	v_cndmask_b32_e32 v10, 7, v10, vcc_lo
	v_and_b32_e32 v91, 0xf8, v91
	v_and_b32_e32 v92, 7, v10
	v_or_b32_e32 v8, v8, v10
	v_or3_b32 v9, v9, v91, v92
	v_cmp_ne_u32_e32 vcc_lo, 0, v8
	v_lshlrev_b32_e32 v9, 8, v9
	v_cndmask_b32_e32 v91, 0, v9, vcc_lo
.LBB2_1564:                             ;   in Loop: Header=BB2_1061 Depth=4
	s_or_b32 exec_lo, exec_lo, s75
.LBB2_1565:                             ;   in Loop: Header=BB2_1061 Depth=4
	s_or_b32 exec_lo, exec_lo, s74
	v_bfe_u32 v8, v11, 16, 3
	v_bfe_u32 v92, v11, 19, 4
	v_lshlrev_b32_e32 v93, 8, v11
	s_mov_b32 s17, -1
	v_ffbh_u32_e32 v9, v8
	v_cmp_eq_u32_e32 vcc_lo, 0, v92
	v_min_u32_e32 v9, 32, v9
	v_subrev_nc_u32_e32 v10, 28, v9
	v_sub_nc_u32_e32 v9, 29, v9
	v_lshlrev_b32_sdwa v10, v10, v11 dst_sel:DWORD dst_unused:UNUSED_PAD src0_sel:DWORD src1_sel:WORD_1
	v_cndmask_b32_e32 v9, v92, v9, vcc_lo
	v_and_b32_e32 v10, 7, v10
	v_lshl_add_u32 v9, v9, 23, 0x3b800000
	v_cndmask_b32_e32 v8, v8, v10, vcc_lo
	v_and_b32_e32 v10, 0x80000000, v93
	s_and_b32 vcc_lo, exec_lo, s73
	v_lshlrev_b32_e32 v8, 20, v8
	v_or3_b32 v8, v10, v9, v8
                                        ; implicit-def: $vgpr9
	s_cbranch_vccz .LBB2_1579
; %bb.1566:                             ;   in Loop: Header=BB2_1061 Depth=4
	v_and_b32_sdwa v10, v15, v114 dst_sel:DWORD dst_unused:UNUSED_PAD src0_sel:WORD_1 src1_sel:DWORD
	s_mov_b32 s17, 0
	s_mov_b32 s74, exec_lo
	v_cmpx_lt_i16_e32 0x7f, v10
	s_xor_b32 s74, exec_lo, s74
	s_cbranch_execz .LBB2_1747
; %bb.1567:                             ;   in Loop: Header=BB2_1061 Depth=4
	s_mov_b32 s17, -1
	s_mov_b32 s75, exec_lo
	v_cmpx_eq_u16_e32 0x80, v10
; %bb.1568:                             ;   in Loop: Header=BB2_1061 Depth=4
	s_xor_b32 s17, exec_lo, -1
; %bb.1569:                             ;   in Loop: Header=BB2_1061 Depth=4
	s_or_b32 exec_lo, exec_lo, s75
	s_and_b32 s17, s17, exec_lo
                                        ; implicit-def: $vgpr10
	s_or_saveexec_b32 s74, s74
	v_mov_b32_e32 v9, 0x7f800001
	s_xor_b32 exec_lo, exec_lo, s74
	s_cbranch_execnz .LBB2_1748
.LBB2_1570:                             ;   in Loop: Header=BB2_1061 Depth=4
	s_or_b32 exec_lo, exec_lo, s74
	s_and_saveexec_b32 s74, s17
	s_cbranch_execz .LBB2_1572
.LBB2_1571:                             ;   in Loop: Header=BB2_1061 Depth=4
	v_bfe_u32 v9, v15, 16, 3
	v_bfe_u32 v93, v15, 19, 4
	v_lshlrev_b32_sdwa v94, v113, v15 dst_sel:DWORD dst_unused:UNUSED_PAD src0_sel:DWORD src1_sel:WORD_1
	v_ffbh_u32_e32 v10, v9
	v_cmp_eq_u32_e32 vcc_lo, 0, v93
	v_min_u32_e32 v10, 32, v10
	v_subrev_nc_u32_e32 v92, 28, v10
	v_sub_nc_u32_e32 v10, 29, v10
	v_lshlrev_b32_sdwa v92, v92, v15 dst_sel:DWORD dst_unused:UNUSED_PAD src0_sel:DWORD src1_sel:WORD_1
	v_cndmask_b32_e32 v10, v93, v10, vcc_lo
	v_and_b32_e32 v92, 7, v92
	v_lshl_add_u32 v10, v10, 23, 0x3b800000
	v_cndmask_b32_e32 v9, v9, v92, vcc_lo
	v_and_b32_e32 v92, 0x80000000, v94
	v_lshlrev_b32_e32 v9, 20, v9
	v_or3_b32 v9, v92, v10, v9
.LBB2_1572:                             ;   in Loop: Header=BB2_1061 Depth=4
	s_or_b32 exec_lo, exec_lo, s74
	v_and_b32_sdwa v92, v11, v114 dst_sel:DWORD dst_unused:UNUSED_PAD src0_sel:WORD_1 src1_sel:DWORD
	s_mov_b32 s17, 0
	s_mov_b32 s74, exec_lo
	v_cmpx_lt_i16_e32 0x7f, v92
	s_xor_b32 s74, exec_lo, s74
	s_cbranch_execz .LBB2_1749
; %bb.1573:                             ;   in Loop: Header=BB2_1061 Depth=4
	s_mov_b32 s17, -1
	s_mov_b32 s75, exec_lo
	v_cmpx_eq_u16_e32 0x80, v92
; %bb.1574:                             ;   in Loop: Header=BB2_1061 Depth=4
	s_xor_b32 s17, exec_lo, -1
; %bb.1575:                             ;   in Loop: Header=BB2_1061 Depth=4
	s_or_b32 exec_lo, exec_lo, s75
	s_and_b32 s17, s17, exec_lo
                                        ; implicit-def: $vgpr92
	s_or_saveexec_b32 s74, s74
	v_mov_b32_e32 v10, 0x7f800001
	s_xor_b32 exec_lo, exec_lo, s74
	s_cbranch_execnz .LBB2_1750
.LBB2_1576:                             ;   in Loop: Header=BB2_1061 Depth=4
	s_or_b32 exec_lo, exec_lo, s74
	s_and_saveexec_b32 s74, s17
.LBB2_1577:                             ;   in Loop: Header=BB2_1061 Depth=4
	v_mov_b32_e32 v10, v8
.LBB2_1578:                             ;   in Loop: Header=BB2_1061 Depth=4
	s_or_b32 exec_lo, exec_lo, s74
	v_max_f32_e32 v10, v10, v10
	v_max_f32_e32 v9, v9, v9
	s_mov_b32 s17, 0
	v_max_f32_e32 v9, v9, v10
.LBB2_1579:                             ;   in Loop: Header=BB2_1061 Depth=4
	s_and_b32 vcc_lo, exec_lo, s17
	s_cbranch_vccz .LBB2_1593
; %bb.1580:                             ;   in Loop: Header=BB2_1061 Depth=4
	v_and_b32_sdwa v10, v15, v114 dst_sel:DWORD dst_unused:UNUSED_PAD src0_sel:WORD_1 src1_sel:DWORD
	s_mov_b32 s17, 0
	s_mov_b32 s74, exec_lo
	v_cmpx_lt_i16_e32 0x7f, v10
	s_xor_b32 s74, exec_lo, s74
	s_cbranch_execz .LBB2_1751
; %bb.1581:                             ;   in Loop: Header=BB2_1061 Depth=4
	s_mov_b32 s17, -1
	s_mov_b32 s75, exec_lo
	v_cmpx_eq_u16_e32 0x80, v10
; %bb.1582:                             ;   in Loop: Header=BB2_1061 Depth=4
	s_xor_b32 s17, exec_lo, -1
; %bb.1583:                             ;   in Loop: Header=BB2_1061 Depth=4
	s_or_b32 exec_lo, exec_lo, s75
	s_and_b32 s17, s17, exec_lo
                                        ; implicit-def: $vgpr10
	s_or_saveexec_b32 s74, s74
	v_mov_b32_e32 v9, 0x7f800001
	s_xor_b32 exec_lo, exec_lo, s74
	s_cbranch_execnz .LBB2_1752
.LBB2_1584:                             ;   in Loop: Header=BB2_1061 Depth=4
	s_or_b32 exec_lo, exec_lo, s74
	s_and_saveexec_b32 s74, s17
	s_cbranch_execz .LBB2_1586
.LBB2_1585:                             ;   in Loop: Header=BB2_1061 Depth=4
	v_bfe_u32 v9, v15, 16, 3
	v_bfe_u32 v93, v15, 19, 4
	v_lshlrev_b32_sdwa v94, v113, v15 dst_sel:DWORD dst_unused:UNUSED_PAD src0_sel:DWORD src1_sel:WORD_1
	v_ffbh_u32_e32 v10, v9
	v_cmp_eq_u32_e32 vcc_lo, 0, v93
	v_min_u32_e32 v10, 32, v10
	v_subrev_nc_u32_e32 v92, 28, v10
	v_sub_nc_u32_e32 v10, 29, v10
	v_lshlrev_b32_sdwa v92, v92, v15 dst_sel:DWORD dst_unused:UNUSED_PAD src0_sel:DWORD src1_sel:WORD_1
	v_cndmask_b32_e32 v10, v93, v10, vcc_lo
	v_and_b32_e32 v92, 7, v92
	v_lshl_add_u32 v10, v10, 23, 0x3b800000
	v_cndmask_b32_e32 v9, v9, v92, vcc_lo
	v_and_b32_e32 v92, 0x80000000, v94
	v_lshlrev_b32_e32 v9, 20, v9
	v_or3_b32 v9, v92, v10, v9
.LBB2_1586:                             ;   in Loop: Header=BB2_1061 Depth=4
	s_or_b32 exec_lo, exec_lo, s74
	v_and_b32_sdwa v92, v11, v114 dst_sel:DWORD dst_unused:UNUSED_PAD src0_sel:WORD_1 src1_sel:DWORD
	s_mov_b32 s17, 0
	s_mov_b32 s74, exec_lo
	v_cmpx_lt_i16_e32 0x7f, v92
	s_xor_b32 s74, exec_lo, s74
	s_cbranch_execz .LBB2_1753
; %bb.1587:                             ;   in Loop: Header=BB2_1061 Depth=4
	s_mov_b32 s17, -1
	s_mov_b32 s75, exec_lo
	v_cmpx_eq_u16_e32 0x80, v92
; %bb.1588:                             ;   in Loop: Header=BB2_1061 Depth=4
	s_xor_b32 s17, exec_lo, -1
; %bb.1589:                             ;   in Loop: Header=BB2_1061 Depth=4
	s_or_b32 exec_lo, exec_lo, s75
	s_and_b32 s17, s17, exec_lo
                                        ; implicit-def: $vgpr92
	s_or_saveexec_b32 s74, s74
	v_mov_b32_e32 v10, 0x7f800001
	s_xor_b32 exec_lo, exec_lo, s74
	s_cbranch_execnz .LBB2_1754
.LBB2_1590:                             ;   in Loop: Header=BB2_1061 Depth=4
	s_or_b32 exec_lo, exec_lo, s74
	s_and_saveexec_b32 s74, s17
.LBB2_1591:                             ;   in Loop: Header=BB2_1061 Depth=4
	v_mov_b32_e32 v10, v8
.LBB2_1592:                             ;   in Loop: Header=BB2_1061 Depth=4
	s_or_b32 exec_lo, exec_lo, s74
	v_max_f32_e32 v8, v10, v10
	v_max_f32_e32 v9, v9, v9
	v_min_f32_e32 v9, v9, v8
.LBB2_1593:                             ;   in Loop: Header=BB2_1061 Depth=4
	v_and_b32_e32 v8, 0x7f800000, v9
	v_mov_b32_e32 v92, 0x80
	s_mov_b32 s74, exec_lo
	v_cmpx_ne_u32_e32 0x7f800000, v8
	s_cbranch_execz .LBB2_1601
; %bb.1594:                             ;   in Loop: Header=BB2_1061 Depth=4
	v_mov_b32_e32 v92, 0
	s_mov_b32 s75, exec_lo
	v_cmpx_ne_u32_e32 0, v9
	s_cbranch_execz .LBB2_1600
; %bb.1595:                             ;   in Loop: Header=BB2_1061 Depth=4
	v_bfe_u32 v8, v9, 23, 8
	v_and_b32_e32 v10, 0x7fffff, v9
	v_sub_nc_u32_e32 v92, 0x78, v8
	v_cmp_gt_u32_e32 vcc_lo, 0x79, v8
	v_or_b32_e32 v93, 0x800000, v10
	v_cndmask_b32_e32 v92, 0, v92, vcc_lo
	v_cmp_eq_u32_e32 vcc_lo, 0, v8
	v_add_nc_u32_e32 v8, 0xffffff89, v8
	v_cndmask_b32_e64 v92, v92, 0x77, vcc_lo
	v_cndmask_b32_e32 v10, v93, v10, vcc_lo
	v_cndmask_b32_e64 v8, v8, 0xffffff8a, vcc_lo
	v_lshl_add_u32 v93, 0x100000, v92, -1
	v_lshrrev_b32_e32 v94, v92, v10
	v_lshlrev_b32_e64 v104, v92, 0x80000
	v_add_nc_u32_e32 v92, v92, v8
	v_and_b32_e32 v10, v93, v10
	v_bfe_u32 v95, v94, 20, 1
	v_cmp_eq_u32_e64 s17, v10, v104
	v_add_nc_u32_e32 v93, -1, v95
	v_cndmask_b32_e64 v10, 0, v93, s17
	v_lshrrev_b32_e32 v93, 23, v94
	s_mov_b32 s17, exec_lo
	v_add_nc_u32_e32 v10, v10, v94
	v_xor_b32_e32 v93, 1, v93
	v_and_b32_e32 v8, 0xfffff, v10
	v_add_nc_u32_e32 v10, v8, v94
                                        ; implicit-def: $vgpr8
	v_cmpx_ne_u32_e64 v92, v93
	s_xor_b32 s17, exec_lo, s17
; %bb.1596:                             ;   in Loop: Header=BB2_1061 Depth=4
	v_cmp_lt_u32_e32 vcc_lo, 0xffffff, v10
	v_sub_nc_u32_e32 v8, v92, v93
	v_cndmask_b32_e64 v92, 0, 1, vcc_lo
	v_add_co_ci_u32_e64 v8, null, 0, v8, vcc_lo
	v_lshrrev_b32_e32 v10, v92, v10
; %bb.1597:                             ;   in Loop: Header=BB2_1061 Depth=4
	s_andn2_saveexec_b32 s17, s17
; %bb.1598:                             ;   in Loop: Header=BB2_1061 Depth=4
	v_bfe_u32 v8, v10, 23, 1
; %bb.1599:                             ;   in Loop: Header=BB2_1061 Depth=4
	s_or_b32 exec_lo, exec_lo, s17
	v_lshrrev_b32_e32 v10, 20, v10
	v_min_i32_e32 v92, 15, v8
	v_cmp_gt_i32_e32 vcc_lo, 16, v8
	v_and_b32_sdwa v9, v9, v103 dst_sel:DWORD dst_unused:UNUSED_PAD src0_sel:BYTE_3 src1_sel:DWORD
	v_lshlrev_b32_e32 v92, 3, v92
	v_cndmask_b32_e32 v10, 7, v10, vcc_lo
	v_and_b32_e32 v92, 0xf8, v92
	v_and_b32_e32 v93, 7, v10
	v_or_b32_e32 v8, v8, v10
	v_or3_b32 v9, v92, v9, v93
	v_cmp_ne_u32_e32 vcc_lo, 0, v8
	v_cndmask_b32_e32 v92, 0, v9, vcc_lo
.LBB2_1600:                             ;   in Loop: Header=BB2_1061 Depth=4
	s_or_b32 exec_lo, exec_lo, s75
.LBB2_1601:                             ;   in Loop: Header=BB2_1061 Depth=4
	s_or_b32 exec_lo, exec_lo, s74
	v_bfe_u32 v8, v11, 24, 3
	v_bfe_u32 v93, v11, 27, 4
	s_mov_b32 s17, -1
	v_ffbh_u32_e32 v9, v8
	v_cmp_eq_u32_e32 vcc_lo, 0, v93
	v_min_u32_e32 v9, 32, v9
	v_subrev_nc_u32_e32 v10, 28, v9
	v_sub_nc_u32_e32 v9, 29, v9
	v_lshlrev_b32_sdwa v10, v10, v11 dst_sel:DWORD dst_unused:UNUSED_PAD src0_sel:DWORD src1_sel:BYTE_3
	v_cndmask_b32_e32 v9, v93, v9, vcc_lo
	v_and_b32_e32 v10, 7, v10
	v_lshl_add_u32 v9, v9, 23, 0x3b800000
	v_cndmask_b32_e32 v8, v8, v10, vcc_lo
	v_and_b32_e32 v10, 0x80000000, v11
	s_and_b32 vcc_lo, exec_lo, s73
	v_lshlrev_b32_e32 v8, 20, v8
	v_or3_b32 v93, v10, v9, v8
                                        ; implicit-def: $vgpr8
	s_cbranch_vccz .LBB2_1615
; %bb.1602:                             ;   in Loop: Header=BB2_1061 Depth=4
	v_cmp_gt_i16_sdwa s74, v15, v102 src0_sel:BYTE_3 src1_sel:DWORD
	s_mov_b32 s17, 0
	s_and_saveexec_b32 s75, s74
	s_xor_b32 s74, exec_lo, s75
	s_cbranch_execz .LBB2_1755
; %bb.1603:                             ;   in Loop: Header=BB2_1061 Depth=4
	v_cmp_eq_u16_sdwa s76, v15, v103 src0_sel:BYTE_3 src1_sel:DWORD
	s_mov_b32 s17, -1
	s_and_saveexec_b32 s75, s76
; %bb.1604:                             ;   in Loop: Header=BB2_1061 Depth=4
	s_xor_b32 s17, exec_lo, -1
; %bb.1605:                             ;   in Loop: Header=BB2_1061 Depth=4
	s_or_b32 exec_lo, exec_lo, s75
	s_and_b32 s17, s17, exec_lo
	s_or_saveexec_b32 s74, s74
	v_mov_b32_e32 v8, 0x7f800001
	s_xor_b32 exec_lo, exec_lo, s74
	s_cbranch_execnz .LBB2_1756
.LBB2_1606:                             ;   in Loop: Header=BB2_1061 Depth=4
	s_or_b32 exec_lo, exec_lo, s74
	s_and_saveexec_b32 s74, s17
	s_cbranch_execz .LBB2_1608
.LBB2_1607:                             ;   in Loop: Header=BB2_1061 Depth=4
	v_bfe_u32 v8, v15, 24, 3
	v_bfe_u32 v94, v15, 27, 4
	v_ffbh_u32_e32 v9, v8
	v_cmp_eq_u32_e32 vcc_lo, 0, v94
	v_min_u32_e32 v9, 32, v9
	v_subrev_nc_u32_e32 v10, 28, v9
	v_sub_nc_u32_e32 v9, 29, v9
	v_lshlrev_b32_sdwa v10, v10, v15 dst_sel:DWORD dst_unused:UNUSED_PAD src0_sel:DWORD src1_sel:BYTE_3
	v_cndmask_b32_e32 v9, v94, v9, vcc_lo
	v_and_b32_e32 v10, 7, v10
	v_lshl_add_u32 v9, v9, 23, 0x3b800000
	v_cndmask_b32_e32 v8, v8, v10, vcc_lo
	v_and_b32_e32 v10, 0x80000000, v15
	v_lshlrev_b32_e32 v8, 20, v8
	v_or3_b32 v8, v10, v9, v8
.LBB2_1608:                             ;   in Loop: Header=BB2_1061 Depth=4
	s_or_b32 exec_lo, exec_lo, s74
	v_cmp_gt_i16_sdwa s74, v11, v102 src0_sel:BYTE_3 src1_sel:DWORD
	s_mov_b32 s17, 0
	s_and_saveexec_b32 s75, s74
	s_xor_b32 s74, exec_lo, s75
	s_cbranch_execz .LBB2_1757
; %bb.1609:                             ;   in Loop: Header=BB2_1061 Depth=4
	v_cmp_eq_u16_sdwa s76, v11, v103 src0_sel:BYTE_3 src1_sel:DWORD
	s_mov_b32 s17, -1
	s_and_saveexec_b32 s75, s76
; %bb.1610:                             ;   in Loop: Header=BB2_1061 Depth=4
	s_xor_b32 s17, exec_lo, -1
; %bb.1611:                             ;   in Loop: Header=BB2_1061 Depth=4
	s_or_b32 exec_lo, exec_lo, s75
	s_and_b32 s17, s17, exec_lo
	s_or_saveexec_b32 s74, s74
	v_mov_b32_e32 v9, 0x7f800001
	s_xor_b32 exec_lo, exec_lo, s74
	s_cbranch_execnz .LBB2_1758
.LBB2_1612:                             ;   in Loop: Header=BB2_1061 Depth=4
	s_or_b32 exec_lo, exec_lo, s74
	s_and_saveexec_b32 s74, s17
.LBB2_1613:                             ;   in Loop: Header=BB2_1061 Depth=4
	v_mov_b32_e32 v9, v93
.LBB2_1614:                             ;   in Loop: Header=BB2_1061 Depth=4
	s_or_b32 exec_lo, exec_lo, s74
	v_max_f32_e32 v9, v9, v9
	v_max_f32_e32 v8, v8, v8
	s_mov_b32 s17, 0
	v_max_f32_e32 v8, v8, v9
.LBB2_1615:                             ;   in Loop: Header=BB2_1061 Depth=4
	s_and_b32 vcc_lo, exec_lo, s17
	s_cbranch_vccz .LBB2_1629
; %bb.1616:                             ;   in Loop: Header=BB2_1061 Depth=4
	v_cmp_gt_i16_sdwa s74, v15, v102 src0_sel:BYTE_3 src1_sel:DWORD
	s_mov_b32 s17, 0
	s_and_saveexec_b32 s75, s74
	s_xor_b32 s74, exec_lo, s75
	s_cbranch_execz .LBB2_1759
; %bb.1617:                             ;   in Loop: Header=BB2_1061 Depth=4
	v_cmp_eq_u16_sdwa s76, v15, v103 src0_sel:BYTE_3 src1_sel:DWORD
	s_mov_b32 s17, -1
	s_and_saveexec_b32 s75, s76
; %bb.1618:                             ;   in Loop: Header=BB2_1061 Depth=4
	s_xor_b32 s17, exec_lo, -1
; %bb.1619:                             ;   in Loop: Header=BB2_1061 Depth=4
	s_or_b32 exec_lo, exec_lo, s75
	s_and_b32 s17, s17, exec_lo
	s_or_saveexec_b32 s74, s74
	v_mov_b32_e32 v94, 0x7f800001
	s_xor_b32 exec_lo, exec_lo, s74
	s_cbranch_execnz .LBB2_1760
.LBB2_1620:                             ;   in Loop: Header=BB2_1061 Depth=4
	s_or_b32 exec_lo, exec_lo, s74
	s_and_saveexec_b32 s74, s17
	s_cbranch_execz .LBB2_1622
.LBB2_1621:                             ;   in Loop: Header=BB2_1061 Depth=4
	v_bfe_u32 v8, v15, 24, 3
	v_bfe_u32 v94, v15, 27, 4
	v_ffbh_u32_e32 v9, v8
	v_cmp_eq_u32_e32 vcc_lo, 0, v94
	v_min_u32_e32 v9, 32, v9
	v_subrev_nc_u32_e32 v10, 28, v9
	v_sub_nc_u32_e32 v9, 29, v9
	v_lshlrev_b32_sdwa v10, v10, v15 dst_sel:DWORD dst_unused:UNUSED_PAD src0_sel:DWORD src1_sel:BYTE_3
	v_cndmask_b32_e32 v9, v94, v9, vcc_lo
	v_and_b32_e32 v10, 7, v10
	v_lshl_add_u32 v9, v9, 23, 0x3b800000
	v_cndmask_b32_e32 v8, v8, v10, vcc_lo
	v_and_b32_e32 v10, 0x80000000, v15
	v_lshlrev_b32_e32 v8, 20, v8
	v_or3_b32 v94, v10, v9, v8
.LBB2_1622:                             ;   in Loop: Header=BB2_1061 Depth=4
	s_or_b32 exec_lo, exec_lo, s74
	v_cmp_gt_i16_sdwa s74, v11, v102 src0_sel:BYTE_3 src1_sel:DWORD
	s_mov_b32 s17, 0
	s_and_saveexec_b32 s75, s74
	s_xor_b32 s74, exec_lo, s75
	s_cbranch_execz .LBB2_1761
; %bb.1623:                             ;   in Loop: Header=BB2_1061 Depth=4
	v_cmp_eq_u16_sdwa s76, v11, v103 src0_sel:BYTE_3 src1_sel:DWORD
	s_mov_b32 s17, -1
	s_and_saveexec_b32 s75, s76
; %bb.1624:                             ;   in Loop: Header=BB2_1061 Depth=4
	s_xor_b32 s17, exec_lo, -1
; %bb.1625:                             ;   in Loop: Header=BB2_1061 Depth=4
	s_or_b32 exec_lo, exec_lo, s75
	s_and_b32 s17, s17, exec_lo
                                        ; implicit-def: $vgpr8_vgpr9_vgpr10_vgpr11
	s_or_saveexec_b32 s74, s74
	v_mov_b32_e32 v8, 0x7f800001
	s_xor_b32 exec_lo, exec_lo, s74
	s_cbranch_execnz .LBB2_1762
.LBB2_1626:                             ;   in Loop: Header=BB2_1061 Depth=4
	s_or_b32 exec_lo, exec_lo, s74
	s_and_saveexec_b32 s74, s17
.LBB2_1627:                             ;   in Loop: Header=BB2_1061 Depth=4
	v_mov_b32_e32 v8, v93
.LBB2_1628:                             ;   in Loop: Header=BB2_1061 Depth=4
	s_or_b32 exec_lo, exec_lo, s74
	v_max_f32_e32 v8, v8, v8
	v_max_f32_e32 v9, v94, v94
	v_min_f32_e32 v8, v9, v8
.LBB2_1629:                             ;   in Loop: Header=BB2_1061 Depth=4
	v_and_b32_e32 v9, 0x7f800000, v8
	v_cmp_ne_u32_e32 vcc_lo, 0x7f800000, v9
	v_mov_b32_e32 v9, 0x8000
	s_and_saveexec_b32 s74, vcc_lo
	s_cbranch_execz .LBB2_1060
; %bb.1630:                             ;   in Loop: Header=BB2_1061 Depth=4
	v_mov_b32_e32 v9, 0
	s_mov_b32 s75, exec_lo
	v_cmpx_ne_u32_e32 0, v8
	s_cbranch_execz .LBB2_1059
; %bb.1631:                             ;   in Loop: Header=BB2_1061 Depth=4
	v_bfe_u32 v9, v8, 23, 8
	v_and_b32_e32 v10, 0x7fffff, v8
	v_sub_nc_u32_e32 v11, 0x78, v9
	v_cmp_gt_u32_e32 vcc_lo, 0x79, v9
	v_or_b32_e32 v15, 0x800000, v10
	v_cndmask_b32_e32 v11, 0, v11, vcc_lo
	v_cmp_eq_u32_e32 vcc_lo, 0, v9
	v_add_nc_u32_e32 v9, 0xffffff89, v9
	v_cndmask_b32_e64 v11, v11, 0x77, vcc_lo
	v_cndmask_b32_e32 v10, v15, v10, vcc_lo
	v_cndmask_b32_e64 v9, v9, 0xffffff8a, vcc_lo
	v_lshl_add_u32 v15, 0x100000, v11, -1
	v_lshrrev_b32_e32 v93, v11, v10
	v_lshlrev_b32_e64 v95, v11, 0x80000
	v_add_nc_u32_e32 v11, v11, v9
	v_and_b32_e32 v10, v15, v10
	v_bfe_u32 v94, v93, 20, 1
	v_cmp_eq_u32_e64 s17, v10, v95
	v_add_nc_u32_e32 v15, -1, v94
	v_cndmask_b32_e64 v10, 0, v15, s17
	v_lshrrev_b32_e32 v15, 23, v93
	s_mov_b32 s17, exec_lo
	v_add_nc_u32_e32 v10, v10, v93
	v_xor_b32_e32 v15, 1, v15
	v_and_b32_e32 v9, 0xfffff, v10
	v_add_nc_u32_e32 v10, v9, v93
                                        ; implicit-def: $vgpr9
	v_cmpx_ne_u32_e64 v11, v15
	s_xor_b32 s17, exec_lo, s17
; %bb.1632:                             ;   in Loop: Header=BB2_1061 Depth=4
	v_cmp_lt_u32_e32 vcc_lo, 0xffffff, v10
	v_sub_nc_u32_e32 v9, v11, v15
	v_cndmask_b32_e64 v11, 0, 1, vcc_lo
	v_add_co_ci_u32_e64 v9, null, 0, v9, vcc_lo
	v_lshrrev_b32_e32 v10, v11, v10
; %bb.1633:                             ;   in Loop: Header=BB2_1061 Depth=4
	s_andn2_saveexec_b32 s17, s17
	s_cbranch_execz .LBB2_1058
; %bb.1634:                             ;   in Loop: Header=BB2_1061 Depth=4
	v_bfe_u32 v9, v10, 23, 1
	s_branch .LBB2_1058
.LBB2_1635:                             ;   in Loop: Header=BB2_1061 Depth=4
	s_or_saveexec_b32 s74, s74
	v_mov_b32_e32 v74, 0x7f800001
	s_xor_b32 exec_lo, exec_lo, s74
	s_cbranch_execz .LBB2_1066
.LBB2_1636:                             ;   in Loop: Header=BB2_1061 Depth=4
	v_cmp_ne_u16_sdwa s75, v12, v2 src0_sel:BYTE_0 src1_sel:DWORD
	v_mov_b32_e32 v74, 0
	s_andn2_b32 s17, s17, exec_lo
	s_and_b32 s75, s75, exec_lo
	s_or_b32 s17, s17, s75
	s_or_b32 exec_lo, exec_lo, s74
	s_and_saveexec_b32 s74, s17
	s_cbranch_execnz .LBB2_1067
	s_branch .LBB2_1068
.LBB2_1637:                             ;   in Loop: Header=BB2_1061 Depth=4
	s_or_saveexec_b32 s74, s74
	v_mov_b32_e32 v75, 0x7f800001
	s_xor_b32 exec_lo, exec_lo, s74
	s_cbranch_execz .LBB2_1072
.LBB2_1638:                             ;   in Loop: Header=BB2_1061 Depth=4
	v_cmp_ne_u16_sdwa s75, v8, v2 src0_sel:BYTE_0 src1_sel:DWORD
	v_mov_b32_e32 v75, 0
	s_andn2_b32 s17, s17, exec_lo
	s_and_b32 s75, s75, exec_lo
	s_or_b32 s17, s17, s75
	s_or_b32 exec_lo, exec_lo, s74
	s_and_saveexec_b32 s74, s17
	s_cbranch_execnz .LBB2_1073
	s_branch .LBB2_1074
.LBB2_1639:                             ;   in Loop: Header=BB2_1061 Depth=4
	s_or_saveexec_b32 s74, s74
	v_mov_b32_e32 v74, 0x7f800001
	s_xor_b32 exec_lo, exec_lo, s74
	s_cbranch_execz .LBB2_1080
.LBB2_1640:                             ;   in Loop: Header=BB2_1061 Depth=4
	v_cmp_ne_u16_sdwa s75, v12, v2 src0_sel:BYTE_0 src1_sel:DWORD
	v_mov_b32_e32 v74, 0
	s_andn2_b32 s17, s17, exec_lo
	s_and_b32 s75, s75, exec_lo
	s_or_b32 s17, s17, s75
	s_or_b32 exec_lo, exec_lo, s74
	s_and_saveexec_b32 s74, s17
	s_cbranch_execnz .LBB2_1081
	s_branch .LBB2_1082
.LBB2_1641:                             ;   in Loop: Header=BB2_1061 Depth=4
	s_or_saveexec_b32 s74, s74
	v_mov_b32_e32 v75, 0x7f800001
	s_xor_b32 exec_lo, exec_lo, s74
	s_cbranch_execz .LBB2_1086
.LBB2_1642:                             ;   in Loop: Header=BB2_1061 Depth=4
	v_cmp_ne_u16_sdwa s75, v8, v2 src0_sel:BYTE_0 src1_sel:DWORD
	v_mov_b32_e32 v75, 0
	s_andn2_b32 s17, s17, exec_lo
	s_and_b32 s75, s75, exec_lo
	s_or_b32 s17, s17, s75
	s_or_b32 exec_lo, exec_lo, s74
	s_and_saveexec_b32 s74, s17
	s_cbranch_execnz .LBB2_1087
	s_branch .LBB2_1088
.LBB2_1643:                             ;   in Loop: Header=BB2_1061 Depth=4
	s_or_saveexec_b32 s74, s74
	v_mov_b32_e32 v75, 0x7f800001
	s_xor_b32 exec_lo, exec_lo, s74
	s_cbranch_execz .LBB2_1102
.LBB2_1644:                             ;   in Loop: Header=BB2_1061 Depth=4
	v_cmp_ne_u16_sdwa s75, v12, v2 src0_sel:BYTE_1 src1_sel:DWORD
	v_mov_b32_e32 v75, 0
	s_andn2_b32 s17, s17, exec_lo
	s_and_b32 s75, s75, exec_lo
	s_or_b32 s17, s17, s75
	s_or_b32 exec_lo, exec_lo, s74
	s_and_saveexec_b32 s74, s17
	s_cbranch_execnz .LBB2_1103
	s_branch .LBB2_1104
.LBB2_1645:                             ;   in Loop: Header=BB2_1061 Depth=4
	s_or_saveexec_b32 s74, s74
	v_mov_b32_e32 v76, 0x7f800001
	s_xor_b32 exec_lo, exec_lo, s74
	s_cbranch_execz .LBB2_1108
.LBB2_1646:                             ;   in Loop: Header=BB2_1061 Depth=4
	v_cmp_ne_u16_sdwa s75, v8, v2 src0_sel:BYTE_1 src1_sel:DWORD
	v_mov_b32_e32 v76, 0
	s_andn2_b32 s17, s17, exec_lo
	s_and_b32 s75, s75, exec_lo
	s_or_b32 s17, s17, s75
	s_or_b32 exec_lo, exec_lo, s74
	s_and_saveexec_b32 s74, s17
	s_cbranch_execnz .LBB2_1109
	s_branch .LBB2_1110
.LBB2_1647:                             ;   in Loop: Header=BB2_1061 Depth=4
	s_or_saveexec_b32 s74, s74
	v_mov_b32_e32 v75, 0x7f800001
	s_xor_b32 exec_lo, exec_lo, s74
	s_cbranch_execz .LBB2_1116
.LBB2_1648:                             ;   in Loop: Header=BB2_1061 Depth=4
	v_cmp_ne_u16_sdwa s75, v12, v2 src0_sel:BYTE_1 src1_sel:DWORD
	v_mov_b32_e32 v75, 0
	s_andn2_b32 s17, s17, exec_lo
	s_and_b32 s75, s75, exec_lo
	s_or_b32 s17, s17, s75
	s_or_b32 exec_lo, exec_lo, s74
	s_and_saveexec_b32 s74, s17
	s_cbranch_execnz .LBB2_1117
	s_branch .LBB2_1118
.LBB2_1649:                             ;   in Loop: Header=BB2_1061 Depth=4
	s_or_saveexec_b32 s74, s74
	v_mov_b32_e32 v76, 0x7f800001
	s_xor_b32 exec_lo, exec_lo, s74
	s_cbranch_execz .LBB2_1122
.LBB2_1650:                             ;   in Loop: Header=BB2_1061 Depth=4
	v_cmp_ne_u16_sdwa s75, v8, v2 src0_sel:BYTE_1 src1_sel:DWORD
	v_mov_b32_e32 v76, 0
	s_andn2_b32 s17, s17, exec_lo
	s_and_b32 s75, s75, exec_lo
	s_or_b32 s17, s17, s75
	s_or_b32 exec_lo, exec_lo, s74
	s_and_saveexec_b32 s74, s17
	s_cbranch_execnz .LBB2_1123
	s_branch .LBB2_1124
.LBB2_1651:                             ;   in Loop: Header=BB2_1061 Depth=4
	s_or_saveexec_b32 s74, s74
	v_mov_b32_e32 v76, 0x7f800001
	s_xor_b32 exec_lo, exec_lo, s74
	s_cbranch_execz .LBB2_1138
.LBB2_1652:                             ;   in Loop: Header=BB2_1061 Depth=4
	v_cmp_ne_u16_e32 vcc_lo, 0, v77
	v_mov_b32_e32 v76, 0
	s_andn2_b32 s17, s17, exec_lo
	s_and_b32 s75, vcc_lo, exec_lo
	s_or_b32 s17, s17, s75
	s_or_b32 exec_lo, exec_lo, s74
	s_and_saveexec_b32 s74, s17
	s_cbranch_execnz .LBB2_1139
	s_branch .LBB2_1140
.LBB2_1653:                             ;   in Loop: Header=BB2_1061 Depth=4
	s_or_saveexec_b32 s74, s74
	v_mov_b32_e32 v77, 0x7f800001
	s_xor_b32 exec_lo, exec_lo, s74
	s_cbranch_execz .LBB2_1144
.LBB2_1654:                             ;   in Loop: Header=BB2_1061 Depth=4
	v_cmp_ne_u16_e32 vcc_lo, 0, v78
	v_mov_b32_e32 v77, 0
	s_andn2_b32 s17, s17, exec_lo
	s_and_b32 s75, vcc_lo, exec_lo
	s_or_b32 s17, s17, s75
	s_or_b32 exec_lo, exec_lo, s74
	s_and_saveexec_b32 s74, s17
	s_cbranch_execnz .LBB2_1145
	s_branch .LBB2_1146
.LBB2_1655:                             ;   in Loop: Header=BB2_1061 Depth=4
	s_or_saveexec_b32 s74, s74
	v_mov_b32_e32 v76, 0x7f800001
	s_xor_b32 exec_lo, exec_lo, s74
	s_cbranch_execz .LBB2_1152
.LBB2_1656:                             ;   in Loop: Header=BB2_1061 Depth=4
	v_cmp_ne_u16_e32 vcc_lo, 0, v77
	v_mov_b32_e32 v76, 0
	s_andn2_b32 s17, s17, exec_lo
	s_and_b32 s75, vcc_lo, exec_lo
	s_or_b32 s17, s17, s75
	s_or_b32 exec_lo, exec_lo, s74
	s_and_saveexec_b32 s74, s17
	s_cbranch_execnz .LBB2_1153
	s_branch .LBB2_1154
.LBB2_1657:                             ;   in Loop: Header=BB2_1061 Depth=4
	s_or_saveexec_b32 s74, s74
	v_mov_b32_e32 v77, 0x7f800001
	s_xor_b32 exec_lo, exec_lo, s74
	s_cbranch_execz .LBB2_1158
.LBB2_1658:                             ;   in Loop: Header=BB2_1061 Depth=4
	v_cmp_ne_u16_e32 vcc_lo, 0, v78
	v_mov_b32_e32 v77, 0
	s_andn2_b32 s17, s17, exec_lo
	s_and_b32 s75, vcc_lo, exec_lo
	s_or_b32 s17, s17, s75
	s_or_b32 exec_lo, exec_lo, s74
	s_and_saveexec_b32 s74, s17
	s_cbranch_execnz .LBB2_1159
	s_branch .LBB2_1160
.LBB2_1659:                             ;   in Loop: Header=BB2_1061 Depth=4
	s_or_saveexec_b32 s74, s74
	v_mov_b32_e32 v77, 0x7f800001
	s_xor_b32 exec_lo, exec_lo, s74
	s_cbranch_execz .LBB2_1174
.LBB2_1660:                             ;   in Loop: Header=BB2_1061 Depth=4
	v_cmp_ne_u16_sdwa s75, v12, v2 src0_sel:BYTE_3 src1_sel:DWORD
	v_mov_b32_e32 v77, 0
	s_andn2_b32 s17, s17, exec_lo
	s_and_b32 s75, s75, exec_lo
	s_or_b32 s17, s17, s75
	s_or_b32 exec_lo, exec_lo, s74
	s_and_saveexec_b32 s74, s17
	s_cbranch_execnz .LBB2_1175
	s_branch .LBB2_1176
.LBB2_1661:                             ;   in Loop: Header=BB2_1061 Depth=4
	s_or_saveexec_b32 s74, s74
	v_mov_b32_e32 v78, 0x7f800001
	s_xor_b32 exec_lo, exec_lo, s74
	s_cbranch_execz .LBB2_1180
.LBB2_1662:                             ;   in Loop: Header=BB2_1061 Depth=4
	v_cmp_ne_u16_sdwa s75, v8, v2 src0_sel:BYTE_3 src1_sel:DWORD
	v_mov_b32_e32 v78, 0
	s_andn2_b32 s17, s17, exec_lo
	s_and_b32 s75, s75, exec_lo
	s_or_b32 s17, s17, s75
	s_or_b32 exec_lo, exec_lo, s74
	s_and_saveexec_b32 s74, s17
	s_cbranch_execnz .LBB2_1181
	s_branch .LBB2_1182
.LBB2_1663:                             ;   in Loop: Header=BB2_1061 Depth=4
	s_or_saveexec_b32 s74, s74
	v_mov_b32_e32 v77, 0x7f800001
	s_xor_b32 exec_lo, exec_lo, s74
	s_cbranch_execz .LBB2_1188
.LBB2_1664:                             ;   in Loop: Header=BB2_1061 Depth=4
	v_cmp_ne_u16_sdwa s75, v12, v2 src0_sel:BYTE_3 src1_sel:DWORD
	v_mov_b32_e32 v77, 0
	s_andn2_b32 s17, s17, exec_lo
	s_and_b32 s75, s75, exec_lo
	s_or_b32 s17, s17, s75
	s_or_b32 exec_lo, exec_lo, s74
	s_and_saveexec_b32 s74, s17
	s_cbranch_execnz .LBB2_1189
	s_branch .LBB2_1190
.LBB2_1665:                             ;   in Loop: Header=BB2_1061 Depth=4
	s_or_saveexec_b32 s74, s74
	v_mov_b32_e32 v12, 0x7f800001
	s_xor_b32 exec_lo, exec_lo, s74
	s_cbranch_execz .LBB2_1194
.LBB2_1666:                             ;   in Loop: Header=BB2_1061 Depth=4
	v_cmp_ne_u16_sdwa s75, v8, v2 src0_sel:BYTE_3 src1_sel:DWORD
	v_mov_b32_e32 v12, 0
	s_andn2_b32 s17, s17, exec_lo
	s_and_b32 s75, s75, exec_lo
	s_or_b32 s17, s17, s75
	s_or_b32 exec_lo, exec_lo, s74
	s_and_saveexec_b32 s74, s17
	s_cbranch_execnz .LBB2_1195
	s_branch .LBB2_1196
.LBB2_1667:                             ;   in Loop: Header=BB2_1061 Depth=4
	s_or_saveexec_b32 s74, s74
	v_mov_b32_e32 v76, 0x7f800001
	s_xor_b32 exec_lo, exec_lo, s74
	s_cbranch_execz .LBB2_1210
.LBB2_1668:                             ;   in Loop: Header=BB2_1061 Depth=4
	v_cmp_ne_u16_sdwa s75, v13, v2 src0_sel:BYTE_0 src1_sel:DWORD
	v_mov_b32_e32 v76, 0
	s_andn2_b32 s17, s17, exec_lo
	s_and_b32 s75, s75, exec_lo
	s_or_b32 s17, s17, s75
	s_or_b32 exec_lo, exec_lo, s74
	s_and_saveexec_b32 s74, s17
	s_cbranch_execnz .LBB2_1211
	s_branch .LBB2_1212
.LBB2_1669:                             ;   in Loop: Header=BB2_1061 Depth=4
	s_or_saveexec_b32 s74, s74
	v_mov_b32_e32 v77, 0x7f800001
	s_xor_b32 exec_lo, exec_lo, s74
	s_cbranch_execz .LBB2_1216
.LBB2_1670:                             ;   in Loop: Header=BB2_1061 Depth=4
	v_cmp_ne_u16_sdwa s75, v9, v2 src0_sel:BYTE_0 src1_sel:DWORD
	v_mov_b32_e32 v77, 0
	s_andn2_b32 s17, s17, exec_lo
	s_and_b32 s75, s75, exec_lo
	s_or_b32 s17, s17, s75
	s_or_b32 exec_lo, exec_lo, s74
	s_and_saveexec_b32 s74, s17
	s_cbranch_execnz .LBB2_1217
	s_branch .LBB2_1218
.LBB2_1671:                             ;   in Loop: Header=BB2_1061 Depth=4
	s_or_saveexec_b32 s74, s74
	v_mov_b32_e32 v76, 0x7f800001
	s_xor_b32 exec_lo, exec_lo, s74
	s_cbranch_execz .LBB2_1224
.LBB2_1672:                             ;   in Loop: Header=BB2_1061 Depth=4
	v_cmp_ne_u16_sdwa s75, v13, v2 src0_sel:BYTE_0 src1_sel:DWORD
	v_mov_b32_e32 v76, 0
	s_andn2_b32 s17, s17, exec_lo
	s_and_b32 s75, s75, exec_lo
	s_or_b32 s17, s17, s75
	s_or_b32 exec_lo, exec_lo, s74
	s_and_saveexec_b32 s74, s17
	s_cbranch_execnz .LBB2_1225
	s_branch .LBB2_1226
.LBB2_1673:                             ;   in Loop: Header=BB2_1061 Depth=4
	s_or_saveexec_b32 s74, s74
	v_mov_b32_e32 v77, 0x7f800001
	s_xor_b32 exec_lo, exec_lo, s74
	s_cbranch_execz .LBB2_1230
.LBB2_1674:                             ;   in Loop: Header=BB2_1061 Depth=4
	v_cmp_ne_u16_sdwa s75, v9, v2 src0_sel:BYTE_0 src1_sel:DWORD
	v_mov_b32_e32 v77, 0
	s_andn2_b32 s17, s17, exec_lo
	s_and_b32 s75, s75, exec_lo
	s_or_b32 s17, s17, s75
	s_or_b32 exec_lo, exec_lo, s74
	s_and_saveexec_b32 s74, s17
	s_cbranch_execnz .LBB2_1231
	s_branch .LBB2_1232
.LBB2_1675:                             ;   in Loop: Header=BB2_1061 Depth=4
	s_or_saveexec_b32 s74, s74
	v_mov_b32_e32 v77, 0x7f800001
	s_xor_b32 exec_lo, exec_lo, s74
	s_cbranch_execz .LBB2_1246
.LBB2_1676:                             ;   in Loop: Header=BB2_1061 Depth=4
	v_cmp_ne_u16_sdwa s75, v13, v2 src0_sel:BYTE_1 src1_sel:DWORD
	v_mov_b32_e32 v77, 0
	s_andn2_b32 s17, s17, exec_lo
	s_and_b32 s75, s75, exec_lo
	s_or_b32 s17, s17, s75
	s_or_b32 exec_lo, exec_lo, s74
	s_and_saveexec_b32 s74, s17
	s_cbranch_execnz .LBB2_1247
	s_branch .LBB2_1248
.LBB2_1677:                             ;   in Loop: Header=BB2_1061 Depth=4
	s_or_saveexec_b32 s74, s74
	v_mov_b32_e32 v78, 0x7f800001
	s_xor_b32 exec_lo, exec_lo, s74
	s_cbranch_execz .LBB2_1252
.LBB2_1678:                             ;   in Loop: Header=BB2_1061 Depth=4
	v_cmp_ne_u16_sdwa s75, v9, v2 src0_sel:BYTE_1 src1_sel:DWORD
	v_mov_b32_e32 v78, 0
	s_andn2_b32 s17, s17, exec_lo
	s_and_b32 s75, s75, exec_lo
	s_or_b32 s17, s17, s75
	s_or_b32 exec_lo, exec_lo, s74
	s_and_saveexec_b32 s74, s17
	s_cbranch_execnz .LBB2_1253
	s_branch .LBB2_1254
.LBB2_1679:                             ;   in Loop: Header=BB2_1061 Depth=4
	s_or_saveexec_b32 s74, s74
	v_mov_b32_e32 v77, 0x7f800001
	s_xor_b32 exec_lo, exec_lo, s74
	s_cbranch_execz .LBB2_1260
.LBB2_1680:                             ;   in Loop: Header=BB2_1061 Depth=4
	v_cmp_ne_u16_sdwa s75, v13, v2 src0_sel:BYTE_1 src1_sel:DWORD
	v_mov_b32_e32 v77, 0
	s_andn2_b32 s17, s17, exec_lo
	s_and_b32 s75, s75, exec_lo
	s_or_b32 s17, s17, s75
	s_or_b32 exec_lo, exec_lo, s74
	s_and_saveexec_b32 s74, s17
	s_cbranch_execnz .LBB2_1261
	s_branch .LBB2_1262
.LBB2_1681:                             ;   in Loop: Header=BB2_1061 Depth=4
	s_or_saveexec_b32 s74, s74
	v_mov_b32_e32 v78, 0x7f800001
	s_xor_b32 exec_lo, exec_lo, s74
	s_cbranch_execz .LBB2_1266
.LBB2_1682:                             ;   in Loop: Header=BB2_1061 Depth=4
	v_cmp_ne_u16_sdwa s75, v9, v2 src0_sel:BYTE_1 src1_sel:DWORD
	v_mov_b32_e32 v78, 0
	s_andn2_b32 s17, s17, exec_lo
	s_and_b32 s75, s75, exec_lo
	s_or_b32 s17, s17, s75
	s_or_b32 exec_lo, exec_lo, s74
	s_and_saveexec_b32 s74, s17
	s_cbranch_execnz .LBB2_1267
	s_branch .LBB2_1268
.LBB2_1683:                             ;   in Loop: Header=BB2_1061 Depth=4
	s_or_saveexec_b32 s74, s74
	v_mov_b32_e32 v78, 0x7f800001
	s_xor_b32 exec_lo, exec_lo, s74
	s_cbranch_execz .LBB2_1282
.LBB2_1684:                             ;   in Loop: Header=BB2_1061 Depth=4
	v_cmp_ne_u16_e32 vcc_lo, 0, v79
	v_mov_b32_e32 v78, 0
	s_andn2_b32 s17, s17, exec_lo
	s_and_b32 s75, vcc_lo, exec_lo
	s_or_b32 s17, s17, s75
	s_or_b32 exec_lo, exec_lo, s74
	s_and_saveexec_b32 s74, s17
	s_cbranch_execnz .LBB2_1283
	s_branch .LBB2_1284
.LBB2_1685:                             ;   in Loop: Header=BB2_1061 Depth=4
	s_or_saveexec_b32 s74, s74
	v_mov_b32_e32 v79, 0x7f800001
	s_xor_b32 exec_lo, exec_lo, s74
	s_cbranch_execz .LBB2_1288
.LBB2_1686:                             ;   in Loop: Header=BB2_1061 Depth=4
	v_cmp_ne_u16_e32 vcc_lo, 0, v88
	v_mov_b32_e32 v79, 0
	s_andn2_b32 s17, s17, exec_lo
	s_and_b32 s75, vcc_lo, exec_lo
	s_or_b32 s17, s17, s75
	s_or_b32 exec_lo, exec_lo, s74
	s_and_saveexec_b32 s74, s17
	s_cbranch_execnz .LBB2_1289
	s_branch .LBB2_1290
.LBB2_1687:                             ;   in Loop: Header=BB2_1061 Depth=4
	s_or_saveexec_b32 s74, s74
	v_mov_b32_e32 v78, 0x7f800001
	s_xor_b32 exec_lo, exec_lo, s74
	s_cbranch_execz .LBB2_1296
.LBB2_1688:                             ;   in Loop: Header=BB2_1061 Depth=4
	v_cmp_ne_u16_e32 vcc_lo, 0, v79
	v_mov_b32_e32 v78, 0
	s_andn2_b32 s17, s17, exec_lo
	s_and_b32 s75, vcc_lo, exec_lo
	s_or_b32 s17, s17, s75
	s_or_b32 exec_lo, exec_lo, s74
	s_and_saveexec_b32 s74, s17
	s_cbranch_execnz .LBB2_1297
	s_branch .LBB2_1298
.LBB2_1689:                             ;   in Loop: Header=BB2_1061 Depth=4
	s_or_saveexec_b32 s74, s74
	v_mov_b32_e32 v79, 0x7f800001
	s_xor_b32 exec_lo, exec_lo, s74
	s_cbranch_execz .LBB2_1302
.LBB2_1690:                             ;   in Loop: Header=BB2_1061 Depth=4
	v_cmp_ne_u16_e32 vcc_lo, 0, v88
	v_mov_b32_e32 v79, 0
	s_andn2_b32 s17, s17, exec_lo
	s_and_b32 s75, vcc_lo, exec_lo
	s_or_b32 s17, s17, s75
	s_or_b32 exec_lo, exec_lo, s74
	s_and_saveexec_b32 s74, s17
	s_cbranch_execnz .LBB2_1303
	s_branch .LBB2_1304
.LBB2_1691:                             ;   in Loop: Header=BB2_1061 Depth=4
	s_or_saveexec_b32 s74, s74
	v_mov_b32_e32 v79, 0x7f800001
	s_xor_b32 exec_lo, exec_lo, s74
	s_cbranch_execz .LBB2_1318
.LBB2_1692:                             ;   in Loop: Header=BB2_1061 Depth=4
	v_cmp_ne_u16_sdwa s75, v13, v2 src0_sel:BYTE_3 src1_sel:DWORD
	v_mov_b32_e32 v79, 0
	s_andn2_b32 s17, s17, exec_lo
	s_and_b32 s75, s75, exec_lo
	s_or_b32 s17, s17, s75
	s_or_b32 exec_lo, exec_lo, s74
	s_and_saveexec_b32 s74, s17
	s_cbranch_execnz .LBB2_1319
	s_branch .LBB2_1320
.LBB2_1693:                             ;   in Loop: Header=BB2_1061 Depth=4
	s_or_saveexec_b32 s74, s74
	v_mov_b32_e32 v88, 0x7f800001
	s_xor_b32 exec_lo, exec_lo, s74
	s_cbranch_execz .LBB2_1324
.LBB2_1694:                             ;   in Loop: Header=BB2_1061 Depth=4
	v_cmp_ne_u16_sdwa s75, v9, v2 src0_sel:BYTE_3 src1_sel:DWORD
	v_mov_b32_e32 v88, 0
	s_andn2_b32 s17, s17, exec_lo
	s_and_b32 s75, s75, exec_lo
	s_or_b32 s17, s17, s75
	s_or_b32 exec_lo, exec_lo, s74
	s_and_saveexec_b32 s74, s17
	s_cbranch_execnz .LBB2_1325
	s_branch .LBB2_1326
.LBB2_1695:                             ;   in Loop: Header=BB2_1061 Depth=4
	s_or_saveexec_b32 s74, s74
	v_mov_b32_e32 v79, 0x7f800001
	s_xor_b32 exec_lo, exec_lo, s74
	s_cbranch_execz .LBB2_1332
.LBB2_1696:                             ;   in Loop: Header=BB2_1061 Depth=4
	v_cmp_ne_u16_sdwa s75, v13, v2 src0_sel:BYTE_3 src1_sel:DWORD
	v_mov_b32_e32 v79, 0
	s_andn2_b32 s17, s17, exec_lo
	s_and_b32 s75, s75, exec_lo
	s_or_b32 s17, s17, s75
	s_or_b32 exec_lo, exec_lo, s74
	s_and_saveexec_b32 s74, s17
	s_cbranch_execnz .LBB2_1333
	s_branch .LBB2_1334
.LBB2_1697:                             ;   in Loop: Header=BB2_1061 Depth=4
	s_or_saveexec_b32 s74, s74
	v_mov_b32_e32 v13, 0x7f800001
	s_xor_b32 exec_lo, exec_lo, s74
	s_cbranch_execz .LBB2_1338
.LBB2_1698:                             ;   in Loop: Header=BB2_1061 Depth=4
	v_cmp_ne_u16_sdwa s75, v9, v2 src0_sel:BYTE_3 src1_sel:DWORD
	v_mov_b32_e32 v13, 0
	s_andn2_b32 s17, s17, exec_lo
	s_and_b32 s75, s75, exec_lo
	s_or_b32 s17, s17, s75
	s_or_b32 exec_lo, exec_lo, s74
	s_and_saveexec_b32 s74, s17
	s_cbranch_execnz .LBB2_1339
	s_branch .LBB2_1340
.LBB2_1699:                             ;   in Loop: Header=BB2_1061 Depth=4
	s_or_saveexec_b32 s74, s74
	v_mov_b32_e32 v9, 0x7f800001
	s_xor_b32 exec_lo, exec_lo, s74
	s_cbranch_execz .LBB2_1354
.LBB2_1700:                             ;   in Loop: Header=BB2_1061 Depth=4
	v_cmp_ne_u16_sdwa s75, v14, v2 src0_sel:BYTE_0 src1_sel:DWORD
	v_mov_b32_e32 v9, 0
	s_andn2_b32 s17, s17, exec_lo
	s_and_b32 s75, s75, exec_lo
	s_or_b32 s17, s17, s75
	s_or_b32 exec_lo, exec_lo, s74
	s_and_saveexec_b32 s74, s17
	s_cbranch_execnz .LBB2_1355
	s_branch .LBB2_1356
.LBB2_1701:                             ;   in Loop: Header=BB2_1061 Depth=4
	s_or_saveexec_b32 s74, s74
	v_mov_b32_e32 v79, 0x7f800001
	s_xor_b32 exec_lo, exec_lo, s74
	s_cbranch_execz .LBB2_1360
.LBB2_1702:                             ;   in Loop: Header=BB2_1061 Depth=4
	v_cmp_ne_u16_sdwa s75, v10, v2 src0_sel:BYTE_0 src1_sel:DWORD
	v_mov_b32_e32 v79, 0
	s_andn2_b32 s17, s17, exec_lo
	s_and_b32 s75, s75, exec_lo
	s_or_b32 s17, s17, s75
	s_or_b32 exec_lo, exec_lo, s74
	s_and_saveexec_b32 s74, s17
	s_cbranch_execnz .LBB2_1361
	s_branch .LBB2_1362
.LBB2_1703:                             ;   in Loop: Header=BB2_1061 Depth=4
	s_or_saveexec_b32 s74, s74
	v_mov_b32_e32 v9, 0x7f800001
	s_xor_b32 exec_lo, exec_lo, s74
	s_cbranch_execz .LBB2_1368
.LBB2_1704:                             ;   in Loop: Header=BB2_1061 Depth=4
	v_cmp_ne_u16_sdwa s75, v14, v2 src0_sel:BYTE_0 src1_sel:DWORD
	v_mov_b32_e32 v9, 0
	s_andn2_b32 s17, s17, exec_lo
	s_and_b32 s75, s75, exec_lo
	s_or_b32 s17, s17, s75
	s_or_b32 exec_lo, exec_lo, s74
	s_and_saveexec_b32 s74, s17
	s_cbranch_execnz .LBB2_1369
	s_branch .LBB2_1370
.LBB2_1705:                             ;   in Loop: Header=BB2_1061 Depth=4
	s_or_saveexec_b32 s74, s74
	v_mov_b32_e32 v79, 0x7f800001
	s_xor_b32 exec_lo, exec_lo, s74
	s_cbranch_execz .LBB2_1374
.LBB2_1706:                             ;   in Loop: Header=BB2_1061 Depth=4
	v_cmp_ne_u16_sdwa s75, v10, v2 src0_sel:BYTE_0 src1_sel:DWORD
	v_mov_b32_e32 v79, 0
	s_andn2_b32 s17, s17, exec_lo
	s_and_b32 s75, s75, exec_lo
	s_or_b32 s17, s17, s75
	s_or_b32 exec_lo, exec_lo, s74
	s_and_saveexec_b32 s74, s17
	s_cbranch_execnz .LBB2_1375
	s_branch .LBB2_1376
.LBB2_1707:                             ;   in Loop: Header=BB2_1061 Depth=4
	s_or_saveexec_b32 s74, s74
	v_mov_b32_e32 v9, 0x7f800001
	s_xor_b32 exec_lo, exec_lo, s74
	s_cbranch_execz .LBB2_1390
.LBB2_1708:                             ;   in Loop: Header=BB2_1061 Depth=4
	v_cmp_ne_u16_sdwa s75, v14, v2 src0_sel:BYTE_1 src1_sel:DWORD
	v_mov_b32_e32 v9, 0
	s_andn2_b32 s17, s17, exec_lo
	s_and_b32 s75, s75, exec_lo
	s_or_b32 s17, s17, s75
	s_or_b32 exec_lo, exec_lo, s74
	s_and_saveexec_b32 s74, s17
	s_cbranch_execnz .LBB2_1391
	s_branch .LBB2_1392
.LBB2_1709:                             ;   in Loop: Header=BB2_1061 Depth=4
	s_or_saveexec_b32 s74, s74
	v_mov_b32_e32 v88, 0x7f800001
	s_xor_b32 exec_lo, exec_lo, s74
	s_cbranch_execz .LBB2_1396
.LBB2_1710:                             ;   in Loop: Header=BB2_1061 Depth=4
	v_cmp_ne_u16_sdwa s75, v10, v2 src0_sel:BYTE_1 src1_sel:DWORD
	v_mov_b32_e32 v88, 0
	s_andn2_b32 s17, s17, exec_lo
	s_and_b32 s75, s75, exec_lo
	s_or_b32 s17, s17, s75
	s_or_b32 exec_lo, exec_lo, s74
	s_and_saveexec_b32 s74, s17
	s_cbranch_execnz .LBB2_1397
	s_branch .LBB2_1398
.LBB2_1711:                             ;   in Loop: Header=BB2_1061 Depth=4
	s_or_saveexec_b32 s74, s74
	v_mov_b32_e32 v9, 0x7f800001
	s_xor_b32 exec_lo, exec_lo, s74
	s_cbranch_execz .LBB2_1404
.LBB2_1712:                             ;   in Loop: Header=BB2_1061 Depth=4
	v_cmp_ne_u16_sdwa s75, v14, v2 src0_sel:BYTE_1 src1_sel:DWORD
	v_mov_b32_e32 v9, 0
	s_andn2_b32 s17, s17, exec_lo
	s_and_b32 s75, s75, exec_lo
	s_or_b32 s17, s17, s75
	s_or_b32 exec_lo, exec_lo, s74
	s_and_saveexec_b32 s74, s17
	s_cbranch_execnz .LBB2_1405
	s_branch .LBB2_1406
.LBB2_1713:                             ;   in Loop: Header=BB2_1061 Depth=4
	s_or_saveexec_b32 s74, s74
	v_mov_b32_e32 v88, 0x7f800001
	s_xor_b32 exec_lo, exec_lo, s74
	s_cbranch_execz .LBB2_1410
.LBB2_1714:                             ;   in Loop: Header=BB2_1061 Depth=4
	v_cmp_ne_u16_sdwa s75, v10, v2 src0_sel:BYTE_1 src1_sel:DWORD
	v_mov_b32_e32 v88, 0
	s_andn2_b32 s17, s17, exec_lo
	s_and_b32 s75, s75, exec_lo
	s_or_b32 s17, s17, s75
	s_or_b32 exec_lo, exec_lo, s74
	s_and_saveexec_b32 s74, s17
	s_cbranch_execnz .LBB2_1411
	s_branch .LBB2_1412
.LBB2_1715:                             ;   in Loop: Header=BB2_1061 Depth=4
	s_or_saveexec_b32 s74, s74
	v_mov_b32_e32 v9, 0x7f800001
	s_xor_b32 exec_lo, exec_lo, s74
	s_cbranch_execz .LBB2_1426
.LBB2_1716:                             ;   in Loop: Header=BB2_1061 Depth=4
	v_cmp_ne_u16_e32 vcc_lo, 0, v89
	v_mov_b32_e32 v9, 0
	s_andn2_b32 s17, s17, exec_lo
	s_and_b32 s75, vcc_lo, exec_lo
	s_or_b32 s17, s17, s75
	s_or_b32 exec_lo, exec_lo, s74
	s_and_saveexec_b32 s74, s17
	s_cbranch_execnz .LBB2_1427
	s_branch .LBB2_1428
.LBB2_1717:                             ;   in Loop: Header=BB2_1061 Depth=4
	s_or_saveexec_b32 s74, s74
	v_mov_b32_e32 v89, 0x7f800001
	s_xor_b32 exec_lo, exec_lo, s74
	s_cbranch_execz .LBB2_1432
.LBB2_1718:                             ;   in Loop: Header=BB2_1061 Depth=4
	v_cmp_ne_u16_e32 vcc_lo, 0, v90
	v_mov_b32_e32 v89, 0
	s_andn2_b32 s17, s17, exec_lo
	s_and_b32 s75, vcc_lo, exec_lo
	s_or_b32 s17, s17, s75
	s_or_b32 exec_lo, exec_lo, s74
	s_and_saveexec_b32 s74, s17
	s_cbranch_execnz .LBB2_1433
	s_branch .LBB2_1434
.LBB2_1719:                             ;   in Loop: Header=BB2_1061 Depth=4
	s_or_saveexec_b32 s74, s74
	v_mov_b32_e32 v9, 0x7f800001
	s_xor_b32 exec_lo, exec_lo, s74
	s_cbranch_execz .LBB2_1440
.LBB2_1720:                             ;   in Loop: Header=BB2_1061 Depth=4
	v_cmp_ne_u16_e32 vcc_lo, 0, v89
	v_mov_b32_e32 v9, 0
	s_andn2_b32 s17, s17, exec_lo
	s_and_b32 s75, vcc_lo, exec_lo
	s_or_b32 s17, s17, s75
	s_or_b32 exec_lo, exec_lo, s74
	s_and_saveexec_b32 s74, s17
	s_cbranch_execnz .LBB2_1441
	s_branch .LBB2_1442
.LBB2_1721:                             ;   in Loop: Header=BB2_1061 Depth=4
	s_or_saveexec_b32 s74, s74
	v_mov_b32_e32 v89, 0x7f800001
	s_xor_b32 exec_lo, exec_lo, s74
	s_cbranch_execz .LBB2_1446
.LBB2_1722:                             ;   in Loop: Header=BB2_1061 Depth=4
	v_cmp_ne_u16_e32 vcc_lo, 0, v90
	v_mov_b32_e32 v89, 0
	s_andn2_b32 s17, s17, exec_lo
	s_and_b32 s75, vcc_lo, exec_lo
	s_or_b32 s17, s17, s75
	s_or_b32 exec_lo, exec_lo, s74
	s_and_saveexec_b32 s74, s17
	s_cbranch_execnz .LBB2_1447
	s_branch .LBB2_1448
.LBB2_1723:                             ;   in Loop: Header=BB2_1061 Depth=4
	s_or_saveexec_b32 s74, s74
	v_mov_b32_e32 v9, 0x7f800001
	s_xor_b32 exec_lo, exec_lo, s74
	s_cbranch_execz .LBB2_1462
.LBB2_1724:                             ;   in Loop: Header=BB2_1061 Depth=4
	v_cmp_ne_u16_sdwa s75, v14, v2 src0_sel:BYTE_3 src1_sel:DWORD
	v_mov_b32_e32 v9, 0
	s_andn2_b32 s17, s17, exec_lo
	s_and_b32 s75, s75, exec_lo
	s_or_b32 s17, s17, s75
	s_or_b32 exec_lo, exec_lo, s74
	s_and_saveexec_b32 s74, s17
	s_cbranch_execnz .LBB2_1463
	s_branch .LBB2_1464
.LBB2_1725:                             ;   in Loop: Header=BB2_1061 Depth=4
	s_or_saveexec_b32 s74, s74
	v_mov_b32_e32 v90, 0x7f800001
	s_xor_b32 exec_lo, exec_lo, s74
	s_cbranch_execz .LBB2_1468
.LBB2_1726:                             ;   in Loop: Header=BB2_1061 Depth=4
	v_cmp_ne_u16_sdwa s75, v10, v2 src0_sel:BYTE_3 src1_sel:DWORD
	v_mov_b32_e32 v90, 0
	s_andn2_b32 s17, s17, exec_lo
	s_and_b32 s75, s75, exec_lo
	s_or_b32 s17, s17, s75
	s_or_b32 exec_lo, exec_lo, s74
	s_and_saveexec_b32 s74, s17
	s_cbranch_execnz .LBB2_1469
	s_branch .LBB2_1470
.LBB2_1727:                             ;   in Loop: Header=BB2_1061 Depth=4
	s_or_saveexec_b32 s74, s74
	v_mov_b32_e32 v9, 0x7f800001
	s_xor_b32 exec_lo, exec_lo, s74
	s_cbranch_execz .LBB2_1476
.LBB2_1728:                             ;   in Loop: Header=BB2_1061 Depth=4
	v_cmp_ne_u16_sdwa s75, v14, v2 src0_sel:BYTE_3 src1_sel:DWORD
	v_mov_b32_e32 v9, 0
	s_andn2_b32 s17, s17, exec_lo
	s_and_b32 s75, s75, exec_lo
	s_or_b32 s17, s17, s75
	s_or_b32 exec_lo, exec_lo, s74
	s_and_saveexec_b32 s74, s17
	s_cbranch_execnz .LBB2_1477
	s_branch .LBB2_1478
.LBB2_1729:                             ;   in Loop: Header=BB2_1061 Depth=4
	s_or_saveexec_b32 s74, s74
	v_mov_b32_e32 v14, 0x7f800001
	s_xor_b32 exec_lo, exec_lo, s74
	s_cbranch_execz .LBB2_1482
.LBB2_1730:                             ;   in Loop: Header=BB2_1061 Depth=4
	v_cmp_ne_u16_sdwa s75, v10, v2 src0_sel:BYTE_3 src1_sel:DWORD
	v_mov_b32_e32 v14, 0
	s_andn2_b32 s17, s17, exec_lo
	s_and_b32 s75, s75, exec_lo
	s_or_b32 s17, s17, s75
	s_or_b32 exec_lo, exec_lo, s74
	s_and_saveexec_b32 s74, s17
	s_cbranch_execnz .LBB2_1483
	s_branch .LBB2_1484
.LBB2_1731:                             ;   in Loop: Header=BB2_1061 Depth=4
	s_or_saveexec_b32 s74, s74
	v_mov_b32_e32 v9, 0x7f800001
	s_xor_b32 exec_lo, exec_lo, s74
	s_cbranch_execz .LBB2_1498
.LBB2_1732:                             ;   in Loop: Header=BB2_1061 Depth=4
	v_cmp_ne_u16_sdwa s75, v15, v2 src0_sel:BYTE_0 src1_sel:DWORD
	v_mov_b32_e32 v9, 0
	s_andn2_b32 s17, s17, exec_lo
	s_and_b32 s75, s75, exec_lo
	s_or_b32 s17, s17, s75
	s_or_b32 exec_lo, exec_lo, s74
	s_and_saveexec_b32 s74, s17
	s_cbranch_execnz .LBB2_1499
	s_branch .LBB2_1500
.LBB2_1733:                             ;   in Loop: Header=BB2_1061 Depth=4
	s_or_saveexec_b32 s74, s74
	v_mov_b32_e32 v10, 0x7f800001
	s_xor_b32 exec_lo, exec_lo, s74
	s_cbranch_execz .LBB2_1504
.LBB2_1734:                             ;   in Loop: Header=BB2_1061 Depth=4
	v_cmp_ne_u16_sdwa s75, v11, v2 src0_sel:BYTE_0 src1_sel:DWORD
	v_mov_b32_e32 v10, 0
	s_andn2_b32 s17, s17, exec_lo
	s_and_b32 s75, s75, exec_lo
	s_or_b32 s17, s17, s75
	s_or_b32 exec_lo, exec_lo, s74
	s_and_saveexec_b32 s74, s17
	s_cbranch_execnz .LBB2_1505
	s_branch .LBB2_1506
.LBB2_1735:                             ;   in Loop: Header=BB2_1061 Depth=4
	s_or_saveexec_b32 s74, s74
	v_mov_b32_e32 v9, 0x7f800001
	s_xor_b32 exec_lo, exec_lo, s74
	s_cbranch_execz .LBB2_1512
.LBB2_1736:                             ;   in Loop: Header=BB2_1061 Depth=4
	v_cmp_ne_u16_sdwa s75, v15, v2 src0_sel:BYTE_0 src1_sel:DWORD
	v_mov_b32_e32 v9, 0
	s_andn2_b32 s17, s17, exec_lo
	s_and_b32 s75, s75, exec_lo
	s_or_b32 s17, s17, s75
	s_or_b32 exec_lo, exec_lo, s74
	s_and_saveexec_b32 s74, s17
	s_cbranch_execnz .LBB2_1513
	s_branch .LBB2_1514
.LBB2_1737:                             ;   in Loop: Header=BB2_1061 Depth=4
	s_or_saveexec_b32 s74, s74
	v_mov_b32_e32 v10, 0x7f800001
	s_xor_b32 exec_lo, exec_lo, s74
	s_cbranch_execz .LBB2_1518
.LBB2_1738:                             ;   in Loop: Header=BB2_1061 Depth=4
	v_cmp_ne_u16_sdwa s75, v11, v2 src0_sel:BYTE_0 src1_sel:DWORD
	v_mov_b32_e32 v10, 0
	s_andn2_b32 s17, s17, exec_lo
	s_and_b32 s75, s75, exec_lo
	s_or_b32 s17, s17, s75
	s_or_b32 exec_lo, exec_lo, s74
	s_and_saveexec_b32 s74, s17
	s_cbranch_execnz .LBB2_1519
	s_branch .LBB2_1520
.LBB2_1739:                             ;   in Loop: Header=BB2_1061 Depth=4
	s_or_saveexec_b32 s74, s74
	v_mov_b32_e32 v9, 0x7f800001
	s_xor_b32 exec_lo, exec_lo, s74
	s_cbranch_execz .LBB2_1534
.LBB2_1740:                             ;   in Loop: Header=BB2_1061 Depth=4
	v_cmp_ne_u16_sdwa s75, v15, v2 src0_sel:BYTE_1 src1_sel:DWORD
	v_mov_b32_e32 v9, 0
	s_andn2_b32 s17, s17, exec_lo
	s_and_b32 s75, s75, exec_lo
	s_or_b32 s17, s17, s75
	s_or_b32 exec_lo, exec_lo, s74
	s_and_saveexec_b32 s74, s17
	s_cbranch_execnz .LBB2_1535
	s_branch .LBB2_1536
.LBB2_1741:                             ;   in Loop: Header=BB2_1061 Depth=4
	s_or_saveexec_b32 s74, s74
	v_mov_b32_e32 v10, 0x7f800001
	s_xor_b32 exec_lo, exec_lo, s74
	s_cbranch_execz .LBB2_1540
.LBB2_1742:                             ;   in Loop: Header=BB2_1061 Depth=4
	v_cmp_ne_u16_sdwa s75, v11, v2 src0_sel:BYTE_1 src1_sel:DWORD
	v_mov_b32_e32 v10, 0
	s_andn2_b32 s17, s17, exec_lo
	s_and_b32 s75, s75, exec_lo
	s_or_b32 s17, s17, s75
	s_or_b32 exec_lo, exec_lo, s74
	s_and_saveexec_b32 s74, s17
	s_cbranch_execnz .LBB2_1541
	s_branch .LBB2_1542
.LBB2_1743:                             ;   in Loop: Header=BB2_1061 Depth=4
	s_or_saveexec_b32 s74, s74
	v_mov_b32_e32 v9, 0x7f800001
	s_xor_b32 exec_lo, exec_lo, s74
	s_cbranch_execz .LBB2_1548
.LBB2_1744:                             ;   in Loop: Header=BB2_1061 Depth=4
	v_cmp_ne_u16_sdwa s75, v15, v2 src0_sel:BYTE_1 src1_sel:DWORD
	v_mov_b32_e32 v9, 0
	s_andn2_b32 s17, s17, exec_lo
	s_and_b32 s75, s75, exec_lo
	s_or_b32 s17, s17, s75
	s_or_b32 exec_lo, exec_lo, s74
	s_and_saveexec_b32 s74, s17
	s_cbranch_execnz .LBB2_1549
	s_branch .LBB2_1550
.LBB2_1745:                             ;   in Loop: Header=BB2_1061 Depth=4
	s_or_saveexec_b32 s74, s74
	v_mov_b32_e32 v10, 0x7f800001
	s_xor_b32 exec_lo, exec_lo, s74
	s_cbranch_execz .LBB2_1554
.LBB2_1746:                             ;   in Loop: Header=BB2_1061 Depth=4
	v_cmp_ne_u16_sdwa s75, v11, v2 src0_sel:BYTE_1 src1_sel:DWORD
	v_mov_b32_e32 v10, 0
	s_andn2_b32 s17, s17, exec_lo
	s_and_b32 s75, s75, exec_lo
	s_or_b32 s17, s17, s75
	s_or_b32 exec_lo, exec_lo, s74
	s_and_saveexec_b32 s74, s17
	s_cbranch_execnz .LBB2_1555
	s_branch .LBB2_1556
.LBB2_1747:                             ;   in Loop: Header=BB2_1061 Depth=4
	s_or_saveexec_b32 s74, s74
	v_mov_b32_e32 v9, 0x7f800001
	s_xor_b32 exec_lo, exec_lo, s74
	s_cbranch_execz .LBB2_1570
.LBB2_1748:                             ;   in Loop: Header=BB2_1061 Depth=4
	v_cmp_ne_u16_e32 vcc_lo, 0, v10
	v_mov_b32_e32 v9, 0
	s_andn2_b32 s17, s17, exec_lo
	s_and_b32 s75, vcc_lo, exec_lo
	s_or_b32 s17, s17, s75
	s_or_b32 exec_lo, exec_lo, s74
	s_and_saveexec_b32 s74, s17
	s_cbranch_execnz .LBB2_1571
	s_branch .LBB2_1572
.LBB2_1749:                             ;   in Loop: Header=BB2_1061 Depth=4
	s_or_saveexec_b32 s74, s74
	v_mov_b32_e32 v10, 0x7f800001
	s_xor_b32 exec_lo, exec_lo, s74
	s_cbranch_execz .LBB2_1576
.LBB2_1750:                             ;   in Loop: Header=BB2_1061 Depth=4
	v_cmp_ne_u16_e32 vcc_lo, 0, v92
	v_mov_b32_e32 v10, 0
	s_andn2_b32 s17, s17, exec_lo
	s_and_b32 s75, vcc_lo, exec_lo
	s_or_b32 s17, s17, s75
	s_or_b32 exec_lo, exec_lo, s74
	s_and_saveexec_b32 s74, s17
	s_cbranch_execnz .LBB2_1577
	s_branch .LBB2_1578
.LBB2_1751:                             ;   in Loop: Header=BB2_1061 Depth=4
	s_or_saveexec_b32 s74, s74
	v_mov_b32_e32 v9, 0x7f800001
	s_xor_b32 exec_lo, exec_lo, s74
	s_cbranch_execz .LBB2_1584
.LBB2_1752:                             ;   in Loop: Header=BB2_1061 Depth=4
	v_cmp_ne_u16_e32 vcc_lo, 0, v10
	v_mov_b32_e32 v9, 0
	s_andn2_b32 s17, s17, exec_lo
	s_and_b32 s75, vcc_lo, exec_lo
	s_or_b32 s17, s17, s75
	s_or_b32 exec_lo, exec_lo, s74
	s_and_saveexec_b32 s74, s17
	s_cbranch_execnz .LBB2_1585
	s_branch .LBB2_1586
.LBB2_1753:                             ;   in Loop: Header=BB2_1061 Depth=4
	s_or_saveexec_b32 s74, s74
	v_mov_b32_e32 v10, 0x7f800001
	s_xor_b32 exec_lo, exec_lo, s74
	s_cbranch_execz .LBB2_1590
.LBB2_1754:                             ;   in Loop: Header=BB2_1061 Depth=4
	v_cmp_ne_u16_e32 vcc_lo, 0, v92
	v_mov_b32_e32 v10, 0
	s_andn2_b32 s17, s17, exec_lo
	s_and_b32 s75, vcc_lo, exec_lo
	s_or_b32 s17, s17, s75
	s_or_b32 exec_lo, exec_lo, s74
	s_and_saveexec_b32 s74, s17
	s_cbranch_execnz .LBB2_1591
	s_branch .LBB2_1592
.LBB2_1755:                             ;   in Loop: Header=BB2_1061 Depth=4
	s_or_saveexec_b32 s74, s74
	v_mov_b32_e32 v8, 0x7f800001
	s_xor_b32 exec_lo, exec_lo, s74
	s_cbranch_execz .LBB2_1606
.LBB2_1756:                             ;   in Loop: Header=BB2_1061 Depth=4
	v_cmp_ne_u16_sdwa s75, v15, v2 src0_sel:BYTE_3 src1_sel:DWORD
	v_mov_b32_e32 v8, 0
	s_andn2_b32 s17, s17, exec_lo
	s_and_b32 s75, s75, exec_lo
	s_or_b32 s17, s17, s75
	s_or_b32 exec_lo, exec_lo, s74
	s_and_saveexec_b32 s74, s17
	s_cbranch_execnz .LBB2_1607
	s_branch .LBB2_1608
.LBB2_1757:                             ;   in Loop: Header=BB2_1061 Depth=4
	s_or_saveexec_b32 s74, s74
	v_mov_b32_e32 v9, 0x7f800001
	s_xor_b32 exec_lo, exec_lo, s74
	s_cbranch_execz .LBB2_1612
.LBB2_1758:                             ;   in Loop: Header=BB2_1061 Depth=4
	v_cmp_ne_u16_sdwa s75, v11, v2 src0_sel:BYTE_3 src1_sel:DWORD
	v_mov_b32_e32 v9, 0
	s_andn2_b32 s17, s17, exec_lo
	s_and_b32 s75, s75, exec_lo
	s_or_b32 s17, s17, s75
	s_or_b32 exec_lo, exec_lo, s74
	s_and_saveexec_b32 s74, s17
	s_cbranch_execnz .LBB2_1613
	s_branch .LBB2_1614
.LBB2_1759:                             ;   in Loop: Header=BB2_1061 Depth=4
	s_or_saveexec_b32 s74, s74
	v_mov_b32_e32 v94, 0x7f800001
	s_xor_b32 exec_lo, exec_lo, s74
	s_cbranch_execz .LBB2_1620
.LBB2_1760:                             ;   in Loop: Header=BB2_1061 Depth=4
	v_cmp_ne_u16_sdwa s75, v15, v2 src0_sel:BYTE_3 src1_sel:DWORD
	v_mov_b32_e32 v94, 0
	s_andn2_b32 s17, s17, exec_lo
	s_and_b32 s75, s75, exec_lo
	s_or_b32 s17, s17, s75
	s_or_b32 exec_lo, exec_lo, s74
	s_and_saveexec_b32 s74, s17
	s_cbranch_execnz .LBB2_1621
	s_branch .LBB2_1622
.LBB2_1761:                             ;   in Loop: Header=BB2_1061 Depth=4
	s_or_saveexec_b32 s74, s74
	v_mov_b32_e32 v8, 0x7f800001
	s_xor_b32 exec_lo, exec_lo, s74
	s_cbranch_execz .LBB2_1626
.LBB2_1762:                             ;   in Loop: Header=BB2_1061 Depth=4
	v_cmp_ne_u16_sdwa s75, v11, v2 src0_sel:BYTE_3 src1_sel:DWORD
	v_mov_b32_e32 v8, 0
	s_andn2_b32 s17, s17, exec_lo
	s_and_b32 s75, s75, exec_lo
	s_or_b32 s17, s17, s75
	s_or_b32 exec_lo, exec_lo, s74
	s_and_saveexec_b32 s74, s17
	s_cbranch_execnz .LBB2_1627
	s_branch .LBB2_1628
.LBB2_1763:                             ;   in Loop: Header=BB2_272 Depth=3
	s_or_b32 exec_lo, exec_lo, s72
.LBB2_1764:                             ;   in Loop: Header=BB2_272 Depth=3
	s_or_b32 exec_lo, exec_lo, s63
	v_and_b32_e32 v8, 15, v59
	v_cmp_lt_i32_e32 vcc_lo, 0, v63
	v_sub_nc_u32_e32 v9, v60, v8
	v_cndmask_b32_e32 v10, 0, v87, vcc_lo
	v_cndmask_b32_e64 v15, v60, v8, s16
	v_cndmask_b32_e64 v8, 0, v9, s16
	v_sub_nc_u32_e32 v9, v10, v63
	v_cmp_ne_u32_e32 vcc_lo, 0, v15
	v_add3_u32 v14, v62, v55, v8
	v_lshl_add_u32 v70, v9, 5, v61
	s_and_b32 s63, vcc_lo, exec_lo
.LBB2_1765:                             ;   in Loop: Header=BB2_272 Depth=3
	s_or_b32 exec_lo, exec_lo, s62
	s_and_saveexec_b32 s17, s63
	s_cbranch_execz .LBB2_2170
.LBB2_1766:                             ;   in Loop: Header=BB2_272 Depth=3
	v_ashrrev_i32_e32 v8, 31, v70
	v_ashrrev_i32_e32 v9, 31, v15
	s_mov_b32 s62, exec_lo
	v_lshrrev_b32_e32 v8, 27, v8
	v_add_nc_u32_sdwa v9, v15, v9 dst_sel:DWORD dst_unused:UNUSED_PAD src0_sel:DWORD src1_sel:BYTE_3
	v_add_nc_u32_e32 v8, v70, v8
	v_ashrrev_i32_e32 v80, 8, v9
	v_ashrrev_i32_e32 v55, 5, v8
	v_sub_nc_u32_e32 v71, v80, v55
	v_cmpx_lt_i32_e32 0, v71
	s_cbranch_execz .LBB2_2122
; %bb.1767:                             ;   in Loop: Header=BB2_272 Depth=3
	v_and_b32_e32 v8, 0xffffffe0, v8
	s_trap 2
	ds_read_b64 v[10:11], v0
	v_lshlrev_b32_e32 v9, 8, v55
	v_add_co_u32 v68, vcc_lo, 0xe0, v68
	v_sub_nc_u32_e32 v8, v70, v8
	v_add_co_ci_u32_e64 v69, null, 0, v69, vcc_lo
	s_bitcmp1_b32 s61, 0
	s_mov_b32 s72, 0
	v_add3_u32 v12, v14, v8, v9
	s_cselect_b32 s63, -1, 0
	v_ashrrev_i32_e32 v13, 31, v12
	v_add_co_u32 v8, vcc_lo, v12, v66
	v_add_co_ci_u32_e64 v9, null, v13, v67, vcc_lo
	s_waitcnt lgkmcnt(0)
	v_add_co_u32 v10, vcc_lo, v10, v12
	v_add_co_ci_u32_e64 v11, null, v11, v13, vcc_lo
	v_add_co_u32 v12, vcc_lo, v68, v12
	v_add_co_ci_u32_e64 v13, null, v69, v13, vcc_lo
	s_branch .LBB2_1771
.LBB2_1768:                             ;   in Loop: Header=BB2_1771 Depth=4
	s_or_b32 exec_lo, exec_lo, s16
	v_lshrrev_b32_e32 v67, 20, v67
	v_cmp_gt_i32_e32 vcc_lo, 16, v66
	v_min_i32_e32 v59, 15, v66
	v_and_b32_sdwa v81, v81, v103 dst_sel:DWORD dst_unused:UNUSED_PAD src0_sel:BYTE_3 src1_sel:DWORD
	v_cndmask_b32_e32 v67, 7, v67, vcc_lo
	v_lshlrev_b32_e32 v59, 3, v59
	v_and_b32_e32 v62, 7, v67
	v_or_b32_e32 v66, v66, v67
	v_or3_b32 v67, v59, v81, v62
	v_cmp_ne_u32_e32 vcc_lo, 0, v66
	v_cndmask_b32_e32 v66, 0, v67, vcc_lo
.LBB2_1769:                             ;   in Loop: Header=BB2_1771 Depth=4
	s_or_b32 exec_lo, exec_lo, s74
.LBB2_1770:                             ;   in Loop: Header=BB2_1771 Depth=4
	s_or_b32 exec_lo, exec_lo, s73
	v_add_co_u32 v72, vcc_lo, 0xffffff20, v12
	v_add_co_ci_u32_e64 v73, null, -1, v13, vcc_lo
	v_add_co_u32 v74, vcc_lo, 0xffffff40, v12
	v_add_co_ci_u32_e64 v75, null, -1, v13, vcc_lo
	v_add_co_u32 v67, vcc_lo, 0xffffff60, v12
	flat_store_byte v[72:73], v68 glc slc
	flat_store_byte v[74:75], v82 glc slc
	v_add_co_ci_u32_e64 v68, null, -1, v13, vcc_lo
	v_add_co_u32 v81, vcc_lo, 0xffffff80, v12
	v_add_co_ci_u32_e64 v82, null, -1, v13, vcc_lo
	v_add_co_u32 v72, vcc_lo, 0xffffffa0, v12
	;; [unrolled: 2-line block ×4, first 2 shown]
	v_sub_nc_u32_e32 v71, v71, v87
	v_add_co_ci_u32_e64 v77, null, -1, v13, vcc_lo
	v_add_co_u32 v8, vcc_lo, v8, v118
	v_add_co_ci_u32_e64 v9, null, 0, v9, vcc_lo
	v_add_co_u32 v10, vcc_lo, v10, v118
	flat_store_byte v[67:68], v60 glc slc
	flat_store_byte v[81:82], v63 glc slc
	;; [unrolled: 1-line block ×6, first 2 shown]
	v_add_co_ci_u32_e64 v11, null, 0, v11, vcc_lo
	v_cmp_gt_i32_e32 vcc_lo, 1, v71
	v_add_co_u32 v12, s16, v12, v118
	v_add_co_ci_u32_e64 v13, null, 0, v13, s16
	s_or_b32 s72, vcc_lo, s72
	s_andn2_b32 exec_lo, exec_lo, s72
	s_cbranch_execz .LBB2_2121
.LBB2_1771:                             ;   Parent Loop BB2_47 Depth=1
                                        ;     Parent Loop BB2_269 Depth=2
                                        ;       Parent Loop BB2_272 Depth=3
                                        ; =>      This Inner Loop Header: Depth=4
	s_clause 0x7
	flat_load_ubyte v75, v[8:9] slc
	flat_load_ubyte v74, v[8:9] offset:32 slc
	flat_load_ubyte v73, v[8:9] offset:64 slc
	;; [unrolled: 1-line block ×7, first 2 shown]
	s_clause 0x7
	flat_load_ubyte v68, v[10:11] slc
	flat_load_ubyte v82, v[10:11] offset:32 slc
	flat_load_ubyte v60, v[10:11] offset:64 slc
	flat_load_ubyte v63, v[10:11] offset:96 slc
	flat_load_ubyte v61, v[10:11] offset:128 slc
	flat_load_ubyte v83, v[10:11] offset:160 slc
	flat_load_ubyte v69, v[10:11] offset:192 slc
	flat_load_ubyte v66, v[10:11] offset:224 slc
	s_and_b32 vcc_lo, exec_lo, s63
	s_mov_b32 s16, -1
                                        ; implicit-def: $vgpr76
	s_waitcnt vmcnt(15) lgkmcnt(15)
	v_cmp_gt_i16_sdwa s73, v75, v102 src0_sel:BYTE_0 src1_sel:DWORD
	s_cbranch_vccz .LBB2_1785
; %bb.1772:                             ;   in Loop: Header=BB2_1771 Depth=4
	s_mov_b32 s16, 0
	s_and_saveexec_b32 s74, s73
	s_xor_b32 s73, exec_lo, s74
	s_cbranch_execz .LBB2_2057
; %bb.1773:                             ;   in Loop: Header=BB2_1771 Depth=4
	v_cmp_eq_u16_sdwa s75, v75, v103 src0_sel:BYTE_0 src1_sel:DWORD
	s_mov_b32 s16, -1
	s_and_saveexec_b32 s74, s75
; %bb.1774:                             ;   in Loop: Header=BB2_1771 Depth=4
	s_xor_b32 s16, exec_lo, -1
; %bb.1775:                             ;   in Loop: Header=BB2_1771 Depth=4
	s_or_b32 exec_lo, exec_lo, s74
	s_and_b32 s16, s16, exec_lo
	s_or_saveexec_b32 s73, s73
	v_mov_b32_e32 v76, 0x7f800001
	s_xor_b32 exec_lo, exec_lo, s73
	s_cbranch_execnz .LBB2_2058
.LBB2_1776:                             ;   in Loop: Header=BB2_1771 Depth=4
	s_or_b32 exec_lo, exec_lo, s73
	s_and_saveexec_b32 s73, s16
	s_cbranch_execz .LBB2_1778
.LBB2_1777:                             ;   in Loop: Header=BB2_1771 Depth=4
	v_and_b32_e32 v76, 7, v75
	v_lshrrev_b16 v78, 3, v75
	v_lshlrev_b32_e32 v88, 24, v75
	v_ffbh_u32_e32 v77, v76
	v_and_b32_e32 v78, 15, v78
	v_min_u32_e32 v77, 32, v77
	v_cmp_eq_u32_e32 vcc_lo, 0, v78
	v_subrev_nc_u32_e32 v79, 28, v77
	v_sub_nc_u32_e32 v77, 29, v77
	v_lshlrev_b32_e32 v79, v79, v75
	v_cndmask_b32_e32 v77, v78, v77, vcc_lo
	v_and_b32_e32 v78, 0x80000000, v88
	v_and_b32_e32 v79, 7, v79
	v_lshl_add_u32 v77, v77, 23, 0x3b800000
	v_cndmask_b32_e32 v76, v76, v79, vcc_lo
	v_lshlrev_b32_e32 v76, 20, v76
	v_or3_b32 v76, v78, v77, v76
.LBB2_1778:                             ;   in Loop: Header=BB2_1771 Depth=4
	s_or_b32 exec_lo, exec_lo, s73
	s_waitcnt vmcnt(7) lgkmcnt(7)
	v_cmp_gt_i16_sdwa s73, v68, v102 src0_sel:BYTE_0 src1_sel:DWORD
	s_mov_b32 s16, 0
	s_and_saveexec_b32 s74, s73
	s_xor_b32 s73, exec_lo, s74
	s_cbranch_execz .LBB2_2059
; %bb.1779:                             ;   in Loop: Header=BB2_1771 Depth=4
	v_cmp_eq_u16_sdwa s75, v68, v103 src0_sel:BYTE_0 src1_sel:DWORD
	s_mov_b32 s16, -1
	s_and_saveexec_b32 s74, s75
; %bb.1780:                             ;   in Loop: Header=BB2_1771 Depth=4
	s_xor_b32 s16, exec_lo, -1
; %bb.1781:                             ;   in Loop: Header=BB2_1771 Depth=4
	s_or_b32 exec_lo, exec_lo, s74
	s_and_b32 s16, s16, exec_lo
	s_or_saveexec_b32 s73, s73
	v_mov_b32_e32 v77, 0x7f800001
	s_xor_b32 exec_lo, exec_lo, s73
	s_cbranch_execnz .LBB2_2060
.LBB2_1782:                             ;   in Loop: Header=BB2_1771 Depth=4
	s_or_b32 exec_lo, exec_lo, s73
	s_and_saveexec_b32 s73, s16
	s_cbranch_execz .LBB2_1784
.LBB2_1783:                             ;   in Loop: Header=BB2_1771 Depth=4
	v_and_b32_e32 v77, 7, v68
	v_lshrrev_b16 v79, 3, v68
	v_lshlrev_b32_e32 v89, 24, v68
	v_ffbh_u32_e32 v78, v77
	v_and_b32_e32 v79, 15, v79
	v_min_u32_e32 v78, 32, v78
	v_cmp_eq_u32_e32 vcc_lo, 0, v79
	v_subrev_nc_u32_e32 v88, 28, v78
	v_sub_nc_u32_e32 v78, 29, v78
	v_lshlrev_b32_e32 v88, v88, v68
	v_cndmask_b32_e32 v78, v79, v78, vcc_lo
	v_and_b32_e32 v79, 0x80000000, v89
	v_and_b32_e32 v88, 7, v88
	v_lshl_add_u32 v78, v78, 23, 0x3b800000
	v_cndmask_b32_e32 v77, v77, v88, vcc_lo
	v_lshlrev_b32_e32 v77, 20, v77
	v_or3_b32 v77, v79, v78, v77
.LBB2_1784:                             ;   in Loop: Header=BB2_1771 Depth=4
	s_or_b32 exec_lo, exec_lo, s73
	v_max_f32_e32 v77, v77, v77
	v_max_f32_e32 v76, v76, v76
	s_mov_b32 s16, 0
	v_max_f32_e32 v76, v76, v77
.LBB2_1785:                             ;   in Loop: Header=BB2_1771 Depth=4
	s_and_b32 vcc_lo, exec_lo, s16
	s_cbranch_vccz .LBB2_1799
; %bb.1786:                             ;   in Loop: Header=BB2_1771 Depth=4
	v_cmp_gt_i16_sdwa s73, v75, v102 src0_sel:BYTE_0 src1_sel:DWORD
	s_mov_b32 s16, 0
	s_and_saveexec_b32 s74, s73
	s_xor_b32 s73, exec_lo, s74
	s_cbranch_execz .LBB2_2061
; %bb.1787:                             ;   in Loop: Header=BB2_1771 Depth=4
	v_cmp_eq_u16_sdwa s75, v75, v103 src0_sel:BYTE_0 src1_sel:DWORD
	s_mov_b32 s16, -1
	s_and_saveexec_b32 s74, s75
; %bb.1788:                             ;   in Loop: Header=BB2_1771 Depth=4
	s_xor_b32 s16, exec_lo, -1
; %bb.1789:                             ;   in Loop: Header=BB2_1771 Depth=4
	s_or_b32 exec_lo, exec_lo, s74
	s_and_b32 s16, s16, exec_lo
	s_or_saveexec_b32 s73, s73
	v_mov_b32_e32 v76, 0x7f800001
	s_xor_b32 exec_lo, exec_lo, s73
	s_cbranch_execnz .LBB2_2062
.LBB2_1790:                             ;   in Loop: Header=BB2_1771 Depth=4
	s_or_b32 exec_lo, exec_lo, s73
	s_and_saveexec_b32 s73, s16
	s_cbranch_execz .LBB2_1792
.LBB2_1791:                             ;   in Loop: Header=BB2_1771 Depth=4
	v_and_b32_e32 v76, 7, v75
	v_lshrrev_b16 v78, 3, v75
	v_ffbh_u32_e32 v77, v76
	v_and_b32_e32 v78, 15, v78
	v_min_u32_e32 v77, 32, v77
	v_cmp_eq_u32_e32 vcc_lo, 0, v78
	v_subrev_nc_u32_e32 v79, 28, v77
	v_sub_nc_u32_e32 v77, 29, v77
	v_lshlrev_b32_e32 v79, v79, v75
	v_lshlrev_b32_e32 v75, 24, v75
	v_cndmask_b32_e32 v77, v78, v77, vcc_lo
	v_and_b32_e32 v79, 7, v79
	v_and_b32_e32 v75, 0x80000000, v75
	v_lshl_add_u32 v77, v77, 23, 0x3b800000
	v_cndmask_b32_e32 v76, v76, v79, vcc_lo
	v_lshlrev_b32_e32 v76, 20, v76
	v_or3_b32 v76, v75, v77, v76
.LBB2_1792:                             ;   in Loop: Header=BB2_1771 Depth=4
	s_or_b32 exec_lo, exec_lo, s73
	s_waitcnt vmcnt(7) lgkmcnt(7)
	v_cmp_gt_i16_sdwa s73, v68, v102 src0_sel:BYTE_0 src1_sel:DWORD
	s_mov_b32 s16, 0
	s_and_saveexec_b32 s74, s73
	s_xor_b32 s73, exec_lo, s74
	s_cbranch_execz .LBB2_2063
; %bb.1793:                             ;   in Loop: Header=BB2_1771 Depth=4
	v_cmp_eq_u16_sdwa s75, v68, v103 src0_sel:BYTE_0 src1_sel:DWORD
	s_mov_b32 s16, -1
	s_and_saveexec_b32 s74, s75
; %bb.1794:                             ;   in Loop: Header=BB2_1771 Depth=4
	s_xor_b32 s16, exec_lo, -1
; %bb.1795:                             ;   in Loop: Header=BB2_1771 Depth=4
	s_or_b32 exec_lo, exec_lo, s74
	s_and_b32 s16, s16, exec_lo
	s_or_saveexec_b32 s73, s73
	v_mov_b32_e32 v75, 0x7f800001
	s_xor_b32 exec_lo, exec_lo, s73
	s_cbranch_execnz .LBB2_2064
.LBB2_1796:                             ;   in Loop: Header=BB2_1771 Depth=4
	s_or_b32 exec_lo, exec_lo, s73
	s_and_saveexec_b32 s73, s16
	s_cbranch_execz .LBB2_1798
.LBB2_1797:                             ;   in Loop: Header=BB2_1771 Depth=4
	v_and_b32_e32 v75, 7, v68
	v_lshrrev_b16 v78, 3, v68
	v_ffbh_u32_e32 v77, v75
	v_and_b32_e32 v78, 15, v78
	v_min_u32_e32 v77, 32, v77
	v_cmp_eq_u32_e32 vcc_lo, 0, v78
	v_subrev_nc_u32_e32 v79, 28, v77
	v_sub_nc_u32_e32 v77, 29, v77
	v_lshlrev_b32_e32 v79, v79, v68
	v_lshlrev_b32_e32 v68, 24, v68
	v_cndmask_b32_e32 v77, v78, v77, vcc_lo
	v_and_b32_e32 v79, 7, v79
	v_and_b32_e32 v68, 0x80000000, v68
	v_lshl_add_u32 v77, v77, 23, 0x3b800000
	v_cndmask_b32_e32 v75, v75, v79, vcc_lo
	v_lshlrev_b32_e32 v75, 20, v75
	v_or3_b32 v75, v68, v77, v75
.LBB2_1798:                             ;   in Loop: Header=BB2_1771 Depth=4
	s_or_b32 exec_lo, exec_lo, s73
	v_max_f32_e32 v68, v75, v75
	v_max_f32_e32 v75, v76, v76
	v_min_f32_e32 v76, v75, v68
.LBB2_1799:                             ;   in Loop: Header=BB2_1771 Depth=4
	s_waitcnt vmcnt(7) lgkmcnt(7)
	v_and_b32_e32 v68, 0x7f800000, v76
	v_cmp_ne_u32_e32 vcc_lo, 0x7f800000, v68
	v_mov_b32_e32 v68, 0x80
	s_and_saveexec_b32 s73, vcc_lo
	s_cbranch_execz .LBB2_1807
; %bb.1800:                             ;   in Loop: Header=BB2_1771 Depth=4
	v_mov_b32_e32 v68, 0
	s_mov_b32 s74, exec_lo
	v_cmpx_ne_u32_e32 0, v76
	s_cbranch_execz .LBB2_1806
; %bb.1801:                             ;   in Loop: Header=BB2_1771 Depth=4
	v_bfe_u32 v68, v76, 23, 8
	v_and_b32_e32 v75, 0x7fffff, v76
	v_sub_nc_u32_e32 v77, 0x78, v68
	v_cmp_gt_u32_e32 vcc_lo, 0x79, v68
	v_or_b32_e32 v78, 0x800000, v75
	v_cndmask_b32_e32 v77, 0, v77, vcc_lo
	v_cmp_eq_u32_e32 vcc_lo, 0, v68
	v_add_nc_u32_e32 v68, 0xffffff89, v68
	v_cndmask_b32_e64 v77, v77, 0x77, vcc_lo
	v_cndmask_b32_e32 v75, v78, v75, vcc_lo
	v_cndmask_b32_e64 v68, v68, 0xffffff8a, vcc_lo
	v_lshl_add_u32 v78, 0x100000, v77, -1
	v_lshrrev_b32_e32 v79, v77, v75
	v_lshlrev_b32_e64 v89, v77, 0x80000
	v_add_nc_u32_e32 v77, v77, v68
	v_and_b32_e32 v75, v78, v75
	v_bfe_u32 v88, v79, 20, 1
	v_cmp_eq_u32_e64 s16, v75, v89
	v_add_nc_u32_e32 v78, -1, v88
	v_cndmask_b32_e64 v75, 0, v78, s16
	v_lshrrev_b32_e32 v78, 23, v79
	s_mov_b32 s16, exec_lo
	v_add_nc_u32_e32 v75, v75, v79
	v_xor_b32_e32 v78, 1, v78
	v_and_b32_e32 v68, 0xfffff, v75
	v_add_nc_u32_e32 v75, v68, v79
                                        ; implicit-def: $vgpr68
	v_cmpx_ne_u32_e64 v77, v78
	s_xor_b32 s16, exec_lo, s16
; %bb.1802:                             ;   in Loop: Header=BB2_1771 Depth=4
	v_cmp_lt_u32_e32 vcc_lo, 0xffffff, v75
	v_sub_nc_u32_e32 v68, v77, v78
	v_cndmask_b32_e64 v77, 0, 1, vcc_lo
	v_add_co_ci_u32_e64 v68, null, 0, v68, vcc_lo
	v_lshrrev_b32_e32 v75, v77, v75
; %bb.1803:                             ;   in Loop: Header=BB2_1771 Depth=4
	s_andn2_saveexec_b32 s16, s16
; %bb.1804:                             ;   in Loop: Header=BB2_1771 Depth=4
	v_bfe_u32 v68, v75, 23, 1
; %bb.1805:                             ;   in Loop: Header=BB2_1771 Depth=4
	s_or_b32 exec_lo, exec_lo, s16
	v_lshrrev_b32_e32 v75, 20, v75
	v_cmp_gt_i32_e32 vcc_lo, 16, v68
	v_min_i32_e32 v77, 15, v68
	v_and_b32_sdwa v76, v76, v103 dst_sel:DWORD dst_unused:UNUSED_PAD src0_sel:BYTE_3 src1_sel:DWORD
	v_cndmask_b32_e32 v75, 7, v75, vcc_lo
	v_lshlrev_b32_e32 v77, 3, v77
	v_and_b32_e32 v78, 7, v75
	v_or_b32_e32 v68, v68, v75
	v_or3_b32 v75, v77, v76, v78
	v_cmp_ne_u32_e32 vcc_lo, 0, v68
	v_cndmask_b32_e32 v68, 0, v75, vcc_lo
.LBB2_1806:                             ;   in Loop: Header=BB2_1771 Depth=4
	s_or_b32 exec_lo, exec_lo, s74
.LBB2_1807:                             ;   in Loop: Header=BB2_1771 Depth=4
	s_or_b32 exec_lo, exec_lo, s73
	v_cmp_gt_i16_sdwa s73, v74, v102 src0_sel:BYTE_0 src1_sel:DWORD
	s_andn2_b32 vcc_lo, exec_lo, s63
	s_mov_b32 s16, -1
                                        ; implicit-def: $vgpr75
	s_cbranch_vccnz .LBB2_1821
; %bb.1808:                             ;   in Loop: Header=BB2_1771 Depth=4
	s_mov_b32 s16, 0
	s_and_saveexec_b32 s74, s73
	s_xor_b32 s73, exec_lo, s74
	s_cbranch_execz .LBB2_2065
; %bb.1809:                             ;   in Loop: Header=BB2_1771 Depth=4
	v_cmp_eq_u16_sdwa s75, v74, v103 src0_sel:BYTE_0 src1_sel:DWORD
	s_mov_b32 s16, -1
	s_and_saveexec_b32 s74, s75
; %bb.1810:                             ;   in Loop: Header=BB2_1771 Depth=4
	s_xor_b32 s16, exec_lo, -1
; %bb.1811:                             ;   in Loop: Header=BB2_1771 Depth=4
	s_or_b32 exec_lo, exec_lo, s74
	s_and_b32 s16, s16, exec_lo
	s_or_saveexec_b32 s73, s73
	v_mov_b32_e32 v75, 0x7f800001
	s_xor_b32 exec_lo, exec_lo, s73
	s_cbranch_execnz .LBB2_2066
.LBB2_1812:                             ;   in Loop: Header=BB2_1771 Depth=4
	s_or_b32 exec_lo, exec_lo, s73
	s_and_saveexec_b32 s73, s16
	s_cbranch_execz .LBB2_1814
.LBB2_1813:                             ;   in Loop: Header=BB2_1771 Depth=4
	v_and_b32_e32 v75, 7, v74
	v_lshrrev_b16 v77, 3, v74
	v_lshlrev_b32_e32 v79, 24, v74
	v_ffbh_u32_e32 v76, v75
	v_and_b32_e32 v77, 15, v77
	v_min_u32_e32 v76, 32, v76
	v_cmp_eq_u32_e32 vcc_lo, 0, v77
	v_subrev_nc_u32_e32 v78, 28, v76
	v_sub_nc_u32_e32 v76, 29, v76
	v_lshlrev_b32_e32 v78, v78, v74
	v_cndmask_b32_e32 v76, v77, v76, vcc_lo
	v_and_b32_e32 v77, 0x80000000, v79
	v_and_b32_e32 v78, 7, v78
	v_lshl_add_u32 v76, v76, 23, 0x3b800000
	v_cndmask_b32_e32 v75, v75, v78, vcc_lo
	v_lshlrev_b32_e32 v75, 20, v75
	v_or3_b32 v75, v77, v76, v75
.LBB2_1814:                             ;   in Loop: Header=BB2_1771 Depth=4
	s_or_b32 exec_lo, exec_lo, s73
	s_waitcnt vmcnt(6) lgkmcnt(6)
	v_cmp_gt_i16_sdwa s73, v82, v102 src0_sel:BYTE_0 src1_sel:DWORD
	s_mov_b32 s16, 0
	s_and_saveexec_b32 s74, s73
	s_xor_b32 s73, exec_lo, s74
	s_cbranch_execz .LBB2_2067
; %bb.1815:                             ;   in Loop: Header=BB2_1771 Depth=4
	v_cmp_eq_u16_sdwa s75, v82, v103 src0_sel:BYTE_0 src1_sel:DWORD
	s_mov_b32 s16, -1
	s_and_saveexec_b32 s74, s75
; %bb.1816:                             ;   in Loop: Header=BB2_1771 Depth=4
	s_xor_b32 s16, exec_lo, -1
; %bb.1817:                             ;   in Loop: Header=BB2_1771 Depth=4
	s_or_b32 exec_lo, exec_lo, s74
	s_and_b32 s16, s16, exec_lo
	s_or_saveexec_b32 s73, s73
	v_mov_b32_e32 v76, 0x7f800001
	s_xor_b32 exec_lo, exec_lo, s73
	s_cbranch_execnz .LBB2_2068
.LBB2_1818:                             ;   in Loop: Header=BB2_1771 Depth=4
	s_or_b32 exec_lo, exec_lo, s73
	s_and_saveexec_b32 s73, s16
	s_cbranch_execz .LBB2_1820
.LBB2_1819:                             ;   in Loop: Header=BB2_1771 Depth=4
	v_and_b32_e32 v76, 7, v82
	v_lshrrev_b16 v78, 3, v82
	v_lshlrev_b32_e32 v88, 24, v82
	v_ffbh_u32_e32 v77, v76
	v_and_b32_e32 v78, 15, v78
	v_min_u32_e32 v77, 32, v77
	v_cmp_eq_u32_e32 vcc_lo, 0, v78
	v_subrev_nc_u32_e32 v79, 28, v77
	v_sub_nc_u32_e32 v77, 29, v77
	v_lshlrev_b32_e32 v79, v79, v82
	v_cndmask_b32_e32 v77, v78, v77, vcc_lo
	v_and_b32_e32 v78, 0x80000000, v88
	v_and_b32_e32 v79, 7, v79
	v_lshl_add_u32 v77, v77, 23, 0x3b800000
	v_cndmask_b32_e32 v76, v76, v79, vcc_lo
	v_lshlrev_b32_e32 v76, 20, v76
	v_or3_b32 v76, v78, v77, v76
.LBB2_1820:                             ;   in Loop: Header=BB2_1771 Depth=4
	s_or_b32 exec_lo, exec_lo, s73
	v_max_f32_e32 v76, v76, v76
	v_max_f32_e32 v75, v75, v75
	s_mov_b32 s16, 0
	v_max_f32_e32 v75, v75, v76
.LBB2_1821:                             ;   in Loop: Header=BB2_1771 Depth=4
	s_and_b32 vcc_lo, exec_lo, s16
	s_cbranch_vccz .LBB2_1835
; %bb.1822:                             ;   in Loop: Header=BB2_1771 Depth=4
	v_cmp_gt_i16_sdwa s73, v74, v102 src0_sel:BYTE_0 src1_sel:DWORD
	s_mov_b32 s16, 0
	s_and_saveexec_b32 s74, s73
	s_xor_b32 s73, exec_lo, s74
	s_cbranch_execz .LBB2_2069
; %bb.1823:                             ;   in Loop: Header=BB2_1771 Depth=4
	v_cmp_eq_u16_sdwa s75, v74, v103 src0_sel:BYTE_0 src1_sel:DWORD
	s_mov_b32 s16, -1
	s_and_saveexec_b32 s74, s75
; %bb.1824:                             ;   in Loop: Header=BB2_1771 Depth=4
	s_xor_b32 s16, exec_lo, -1
; %bb.1825:                             ;   in Loop: Header=BB2_1771 Depth=4
	s_or_b32 exec_lo, exec_lo, s74
	s_and_b32 s16, s16, exec_lo
	s_or_saveexec_b32 s73, s73
	v_mov_b32_e32 v75, 0x7f800001
	s_xor_b32 exec_lo, exec_lo, s73
	s_cbranch_execnz .LBB2_2070
.LBB2_1826:                             ;   in Loop: Header=BB2_1771 Depth=4
	s_or_b32 exec_lo, exec_lo, s73
	s_and_saveexec_b32 s73, s16
	s_cbranch_execz .LBB2_1828
.LBB2_1827:                             ;   in Loop: Header=BB2_1771 Depth=4
	v_and_b32_e32 v75, 7, v74
	v_lshrrev_b16 v77, 3, v74
	v_ffbh_u32_e32 v76, v75
	v_and_b32_e32 v77, 15, v77
	v_min_u32_e32 v76, 32, v76
	v_cmp_eq_u32_e32 vcc_lo, 0, v77
	v_subrev_nc_u32_e32 v78, 28, v76
	v_sub_nc_u32_e32 v76, 29, v76
	v_lshlrev_b32_e32 v78, v78, v74
	v_lshlrev_b32_e32 v74, 24, v74
	v_cndmask_b32_e32 v76, v77, v76, vcc_lo
	v_and_b32_e32 v78, 7, v78
	v_and_b32_e32 v74, 0x80000000, v74
	v_lshl_add_u32 v76, v76, 23, 0x3b800000
	v_cndmask_b32_e32 v75, v75, v78, vcc_lo
	v_lshlrev_b32_e32 v75, 20, v75
	v_or3_b32 v75, v74, v76, v75
.LBB2_1828:                             ;   in Loop: Header=BB2_1771 Depth=4
	s_or_b32 exec_lo, exec_lo, s73
	s_waitcnt vmcnt(6) lgkmcnt(6)
	v_cmp_gt_i16_sdwa s73, v82, v102 src0_sel:BYTE_0 src1_sel:DWORD
	s_mov_b32 s16, 0
	s_and_saveexec_b32 s74, s73
	s_xor_b32 s73, exec_lo, s74
	s_cbranch_execz .LBB2_2071
; %bb.1829:                             ;   in Loop: Header=BB2_1771 Depth=4
	v_cmp_eq_u16_sdwa s75, v82, v103 src0_sel:BYTE_0 src1_sel:DWORD
	s_mov_b32 s16, -1
	s_and_saveexec_b32 s74, s75
; %bb.1830:                             ;   in Loop: Header=BB2_1771 Depth=4
	s_xor_b32 s16, exec_lo, -1
; %bb.1831:                             ;   in Loop: Header=BB2_1771 Depth=4
	s_or_b32 exec_lo, exec_lo, s74
	s_and_b32 s16, s16, exec_lo
	s_or_saveexec_b32 s73, s73
	v_mov_b32_e32 v74, 0x7f800001
	s_xor_b32 exec_lo, exec_lo, s73
	s_cbranch_execnz .LBB2_2072
.LBB2_1832:                             ;   in Loop: Header=BB2_1771 Depth=4
	s_or_b32 exec_lo, exec_lo, s73
	s_and_saveexec_b32 s73, s16
	s_cbranch_execz .LBB2_1834
.LBB2_1833:                             ;   in Loop: Header=BB2_1771 Depth=4
	v_and_b32_e32 v74, 7, v82
	v_lshrrev_b16 v77, 3, v82
	v_ffbh_u32_e32 v76, v74
	v_and_b32_e32 v77, 15, v77
	v_min_u32_e32 v76, 32, v76
	v_cmp_eq_u32_e32 vcc_lo, 0, v77
	v_subrev_nc_u32_e32 v78, 28, v76
	v_sub_nc_u32_e32 v76, 29, v76
	v_lshlrev_b32_e32 v78, v78, v82
	v_lshlrev_b32_e32 v82, 24, v82
	v_cndmask_b32_e32 v76, v77, v76, vcc_lo
	v_and_b32_e32 v78, 7, v78
	v_and_b32_e32 v82, 0x80000000, v82
	v_lshl_add_u32 v76, v76, 23, 0x3b800000
	v_cndmask_b32_e32 v74, v74, v78, vcc_lo
	v_lshlrev_b32_e32 v74, 20, v74
	v_or3_b32 v74, v82, v76, v74
.LBB2_1834:                             ;   in Loop: Header=BB2_1771 Depth=4
	s_or_b32 exec_lo, exec_lo, s73
	v_max_f32_e32 v82, v74, v74
	v_max_f32_e32 v74, v75, v75
	v_min_f32_e32 v75, v74, v82
.LBB2_1835:                             ;   in Loop: Header=BB2_1771 Depth=4
	s_waitcnt vmcnt(6) lgkmcnt(6)
	v_and_b32_e32 v82, 0x7f800000, v75
	v_cmp_ne_u32_e32 vcc_lo, 0x7f800000, v82
	v_mov_b32_e32 v82, 0x80
	s_and_saveexec_b32 s73, vcc_lo
	s_cbranch_execz .LBB2_1843
; %bb.1836:                             ;   in Loop: Header=BB2_1771 Depth=4
	v_mov_b32_e32 v82, 0
	s_mov_b32 s74, exec_lo
	v_cmpx_ne_u32_e32 0, v75
	s_cbranch_execz .LBB2_1842
; %bb.1837:                             ;   in Loop: Header=BB2_1771 Depth=4
	v_bfe_u32 v82, v75, 23, 8
	v_and_b32_e32 v74, 0x7fffff, v75
	v_sub_nc_u32_e32 v76, 0x78, v82
	v_cmp_gt_u32_e32 vcc_lo, 0x79, v82
	v_or_b32_e32 v77, 0x800000, v74
	v_cndmask_b32_e32 v76, 0, v76, vcc_lo
	v_cmp_eq_u32_e32 vcc_lo, 0, v82
	v_add_nc_u32_e32 v82, 0xffffff89, v82
	v_cndmask_b32_e64 v76, v76, 0x77, vcc_lo
	v_cndmask_b32_e32 v74, v77, v74, vcc_lo
	v_cndmask_b32_e64 v82, v82, 0xffffff8a, vcc_lo
	v_lshl_add_u32 v77, 0x100000, v76, -1
	v_lshrrev_b32_e32 v78, v76, v74
	v_lshlrev_b32_e64 v88, v76, 0x80000
	v_add_nc_u32_e32 v76, v76, v82
	v_and_b32_e32 v74, v77, v74
	v_bfe_u32 v79, v78, 20, 1
	v_cmp_eq_u32_e64 s16, v74, v88
	v_add_nc_u32_e32 v77, -1, v79
	v_cndmask_b32_e64 v74, 0, v77, s16
	v_lshrrev_b32_e32 v77, 23, v78
	s_mov_b32 s16, exec_lo
	v_add_nc_u32_e32 v74, v74, v78
	v_xor_b32_e32 v77, 1, v77
	v_and_b32_e32 v82, 0xfffff, v74
	v_add_nc_u32_e32 v74, v82, v78
                                        ; implicit-def: $vgpr82
	v_cmpx_ne_u32_e64 v76, v77
	s_xor_b32 s16, exec_lo, s16
; %bb.1838:                             ;   in Loop: Header=BB2_1771 Depth=4
	v_cmp_lt_u32_e32 vcc_lo, 0xffffff, v74
	v_sub_nc_u32_e32 v82, v76, v77
	v_cndmask_b32_e64 v76, 0, 1, vcc_lo
	v_add_co_ci_u32_e64 v82, null, 0, v82, vcc_lo
	v_lshrrev_b32_e32 v74, v76, v74
; %bb.1839:                             ;   in Loop: Header=BB2_1771 Depth=4
	s_andn2_saveexec_b32 s16, s16
; %bb.1840:                             ;   in Loop: Header=BB2_1771 Depth=4
	v_bfe_u32 v82, v74, 23, 1
; %bb.1841:                             ;   in Loop: Header=BB2_1771 Depth=4
	s_or_b32 exec_lo, exec_lo, s16
	v_lshrrev_b32_e32 v74, 20, v74
	v_cmp_gt_i32_e32 vcc_lo, 16, v82
	v_min_i32_e32 v76, 15, v82
	v_and_b32_sdwa v75, v75, v103 dst_sel:DWORD dst_unused:UNUSED_PAD src0_sel:BYTE_3 src1_sel:DWORD
	v_cndmask_b32_e32 v74, 7, v74, vcc_lo
	v_lshlrev_b32_e32 v76, 3, v76
	v_and_b32_e32 v77, 7, v74
	v_or_b32_e32 v82, v82, v74
	v_or3_b32 v74, v76, v75, v77
	v_cmp_ne_u32_e32 vcc_lo, 0, v82
	v_cndmask_b32_e32 v82, 0, v74, vcc_lo
.LBB2_1842:                             ;   in Loop: Header=BB2_1771 Depth=4
	s_or_b32 exec_lo, exec_lo, s74
.LBB2_1843:                             ;   in Loop: Header=BB2_1771 Depth=4
	s_or_b32 exec_lo, exec_lo, s73
	v_cmp_gt_i16_sdwa s73, v73, v102 src0_sel:BYTE_0 src1_sel:DWORD
	s_andn2_b32 vcc_lo, exec_lo, s63
	s_mov_b32 s16, -1
                                        ; implicit-def: $vgpr74
	s_cbranch_vccnz .LBB2_1857
; %bb.1844:                             ;   in Loop: Header=BB2_1771 Depth=4
	s_mov_b32 s16, 0
	s_and_saveexec_b32 s74, s73
	s_xor_b32 s73, exec_lo, s74
	s_cbranch_execz .LBB2_2073
; %bb.1845:                             ;   in Loop: Header=BB2_1771 Depth=4
	v_cmp_eq_u16_sdwa s75, v73, v103 src0_sel:BYTE_0 src1_sel:DWORD
	s_mov_b32 s16, -1
	s_and_saveexec_b32 s74, s75
; %bb.1846:                             ;   in Loop: Header=BB2_1771 Depth=4
	s_xor_b32 s16, exec_lo, -1
; %bb.1847:                             ;   in Loop: Header=BB2_1771 Depth=4
	s_or_b32 exec_lo, exec_lo, s74
	s_and_b32 s16, s16, exec_lo
	s_or_saveexec_b32 s73, s73
	v_mov_b32_e32 v74, 0x7f800001
	s_xor_b32 exec_lo, exec_lo, s73
	s_cbranch_execnz .LBB2_2074
.LBB2_1848:                             ;   in Loop: Header=BB2_1771 Depth=4
	s_or_b32 exec_lo, exec_lo, s73
	s_and_saveexec_b32 s73, s16
	s_cbranch_execz .LBB2_1850
.LBB2_1849:                             ;   in Loop: Header=BB2_1771 Depth=4
	v_and_b32_e32 v74, 7, v73
	v_lshrrev_b16 v76, 3, v73
	v_lshlrev_b32_e32 v78, 24, v73
	v_ffbh_u32_e32 v75, v74
	v_and_b32_e32 v76, 15, v76
	v_min_u32_e32 v75, 32, v75
	v_cmp_eq_u32_e32 vcc_lo, 0, v76
	v_subrev_nc_u32_e32 v77, 28, v75
	v_sub_nc_u32_e32 v75, 29, v75
	v_lshlrev_b32_e32 v77, v77, v73
	v_cndmask_b32_e32 v75, v76, v75, vcc_lo
	v_and_b32_e32 v76, 0x80000000, v78
	v_and_b32_e32 v77, 7, v77
	v_lshl_add_u32 v75, v75, 23, 0x3b800000
	v_cndmask_b32_e32 v74, v74, v77, vcc_lo
	v_lshlrev_b32_e32 v74, 20, v74
	v_or3_b32 v74, v76, v75, v74
.LBB2_1850:                             ;   in Loop: Header=BB2_1771 Depth=4
	s_or_b32 exec_lo, exec_lo, s73
	s_waitcnt vmcnt(5) lgkmcnt(5)
	v_cmp_gt_i16_sdwa s73, v60, v102 src0_sel:BYTE_0 src1_sel:DWORD
	s_mov_b32 s16, 0
	s_and_saveexec_b32 s74, s73
	s_xor_b32 s73, exec_lo, s74
	s_cbranch_execz .LBB2_2075
; %bb.1851:                             ;   in Loop: Header=BB2_1771 Depth=4
	v_cmp_eq_u16_sdwa s75, v60, v103 src0_sel:BYTE_0 src1_sel:DWORD
	s_mov_b32 s16, -1
	s_and_saveexec_b32 s74, s75
; %bb.1852:                             ;   in Loop: Header=BB2_1771 Depth=4
	s_xor_b32 s16, exec_lo, -1
; %bb.1853:                             ;   in Loop: Header=BB2_1771 Depth=4
	s_or_b32 exec_lo, exec_lo, s74
	s_and_b32 s16, s16, exec_lo
	s_or_saveexec_b32 s73, s73
	v_mov_b32_e32 v75, 0x7f800001
	s_xor_b32 exec_lo, exec_lo, s73
	s_cbranch_execnz .LBB2_2076
.LBB2_1854:                             ;   in Loop: Header=BB2_1771 Depth=4
	s_or_b32 exec_lo, exec_lo, s73
	s_and_saveexec_b32 s73, s16
	s_cbranch_execz .LBB2_1856
.LBB2_1855:                             ;   in Loop: Header=BB2_1771 Depth=4
	v_and_b32_e32 v75, 7, v60
	v_lshrrev_b16 v77, 3, v60
	v_lshlrev_b32_e32 v79, 24, v60
	v_ffbh_u32_e32 v76, v75
	v_and_b32_e32 v77, 15, v77
	v_min_u32_e32 v76, 32, v76
	v_cmp_eq_u32_e32 vcc_lo, 0, v77
	v_subrev_nc_u32_e32 v78, 28, v76
	v_sub_nc_u32_e32 v76, 29, v76
	v_lshlrev_b32_e32 v78, v78, v60
	v_cndmask_b32_e32 v76, v77, v76, vcc_lo
	v_and_b32_e32 v77, 0x80000000, v79
	v_and_b32_e32 v78, 7, v78
	v_lshl_add_u32 v76, v76, 23, 0x3b800000
	v_cndmask_b32_e32 v75, v75, v78, vcc_lo
	v_lshlrev_b32_e32 v75, 20, v75
	v_or3_b32 v75, v77, v76, v75
.LBB2_1856:                             ;   in Loop: Header=BB2_1771 Depth=4
	s_or_b32 exec_lo, exec_lo, s73
	v_max_f32_e32 v75, v75, v75
	v_max_f32_e32 v74, v74, v74
	s_mov_b32 s16, 0
	v_max_f32_e32 v74, v74, v75
.LBB2_1857:                             ;   in Loop: Header=BB2_1771 Depth=4
	s_and_b32 vcc_lo, exec_lo, s16
	s_cbranch_vccz .LBB2_1871
; %bb.1858:                             ;   in Loop: Header=BB2_1771 Depth=4
	v_cmp_gt_i16_sdwa s73, v73, v102 src0_sel:BYTE_0 src1_sel:DWORD
	s_mov_b32 s16, 0
	s_and_saveexec_b32 s74, s73
	s_xor_b32 s73, exec_lo, s74
	s_cbranch_execz .LBB2_2077
; %bb.1859:                             ;   in Loop: Header=BB2_1771 Depth=4
	v_cmp_eq_u16_sdwa s75, v73, v103 src0_sel:BYTE_0 src1_sel:DWORD
	s_mov_b32 s16, -1
	s_and_saveexec_b32 s74, s75
; %bb.1860:                             ;   in Loop: Header=BB2_1771 Depth=4
	s_xor_b32 s16, exec_lo, -1
; %bb.1861:                             ;   in Loop: Header=BB2_1771 Depth=4
	s_or_b32 exec_lo, exec_lo, s74
	s_and_b32 s16, s16, exec_lo
	s_or_saveexec_b32 s73, s73
	v_mov_b32_e32 v74, 0x7f800001
	s_xor_b32 exec_lo, exec_lo, s73
	s_cbranch_execnz .LBB2_2078
.LBB2_1862:                             ;   in Loop: Header=BB2_1771 Depth=4
	s_or_b32 exec_lo, exec_lo, s73
	s_and_saveexec_b32 s73, s16
	s_cbranch_execz .LBB2_1864
.LBB2_1863:                             ;   in Loop: Header=BB2_1771 Depth=4
	v_and_b32_e32 v74, 7, v73
	v_lshrrev_b16 v76, 3, v73
	v_ffbh_u32_e32 v75, v74
	v_and_b32_e32 v76, 15, v76
	v_min_u32_e32 v75, 32, v75
	v_cmp_eq_u32_e32 vcc_lo, 0, v76
	v_subrev_nc_u32_e32 v77, 28, v75
	v_sub_nc_u32_e32 v75, 29, v75
	v_lshlrev_b32_e32 v77, v77, v73
	v_lshlrev_b32_e32 v73, 24, v73
	v_cndmask_b32_e32 v75, v76, v75, vcc_lo
	v_and_b32_e32 v77, 7, v77
	v_and_b32_e32 v73, 0x80000000, v73
	v_lshl_add_u32 v75, v75, 23, 0x3b800000
	v_cndmask_b32_e32 v74, v74, v77, vcc_lo
	v_lshlrev_b32_e32 v74, 20, v74
	v_or3_b32 v74, v73, v75, v74
.LBB2_1864:                             ;   in Loop: Header=BB2_1771 Depth=4
	s_or_b32 exec_lo, exec_lo, s73
	s_waitcnt vmcnt(5) lgkmcnt(5)
	v_cmp_gt_i16_sdwa s73, v60, v102 src0_sel:BYTE_0 src1_sel:DWORD
	s_mov_b32 s16, 0
	s_and_saveexec_b32 s74, s73
	s_xor_b32 s73, exec_lo, s74
	s_cbranch_execz .LBB2_2079
; %bb.1865:                             ;   in Loop: Header=BB2_1771 Depth=4
	v_cmp_eq_u16_sdwa s75, v60, v103 src0_sel:BYTE_0 src1_sel:DWORD
	s_mov_b32 s16, -1
	s_and_saveexec_b32 s74, s75
; %bb.1866:                             ;   in Loop: Header=BB2_1771 Depth=4
	s_xor_b32 s16, exec_lo, -1
; %bb.1867:                             ;   in Loop: Header=BB2_1771 Depth=4
	s_or_b32 exec_lo, exec_lo, s74
	s_and_b32 s16, s16, exec_lo
	s_or_saveexec_b32 s73, s73
	v_mov_b32_e32 v73, 0x7f800001
	s_xor_b32 exec_lo, exec_lo, s73
	s_cbranch_execnz .LBB2_2080
.LBB2_1868:                             ;   in Loop: Header=BB2_1771 Depth=4
	s_or_b32 exec_lo, exec_lo, s73
	s_and_saveexec_b32 s73, s16
	s_cbranch_execz .LBB2_1870
.LBB2_1869:                             ;   in Loop: Header=BB2_1771 Depth=4
	v_and_b32_e32 v73, 7, v60
	v_lshrrev_b16 v76, 3, v60
	v_ffbh_u32_e32 v75, v73
	v_and_b32_e32 v76, 15, v76
	v_min_u32_e32 v75, 32, v75
	v_cmp_eq_u32_e32 vcc_lo, 0, v76
	v_subrev_nc_u32_e32 v77, 28, v75
	v_sub_nc_u32_e32 v75, 29, v75
	v_lshlrev_b32_e32 v77, v77, v60
	v_lshlrev_b32_e32 v60, 24, v60
	v_cndmask_b32_e32 v75, v76, v75, vcc_lo
	v_and_b32_e32 v77, 7, v77
	v_and_b32_e32 v60, 0x80000000, v60
	v_lshl_add_u32 v75, v75, 23, 0x3b800000
	v_cndmask_b32_e32 v73, v73, v77, vcc_lo
	v_lshlrev_b32_e32 v73, 20, v73
	v_or3_b32 v73, v60, v75, v73
.LBB2_1870:                             ;   in Loop: Header=BB2_1771 Depth=4
	s_or_b32 exec_lo, exec_lo, s73
	v_max_f32_e32 v60, v73, v73
	v_max_f32_e32 v73, v74, v74
	v_min_f32_e32 v74, v73, v60
.LBB2_1871:                             ;   in Loop: Header=BB2_1771 Depth=4
	s_waitcnt vmcnt(5) lgkmcnt(5)
	v_and_b32_e32 v60, 0x7f800000, v74
	v_cmp_ne_u32_e32 vcc_lo, 0x7f800000, v60
	v_mov_b32_e32 v60, 0x80
	s_and_saveexec_b32 s73, vcc_lo
	s_cbranch_execz .LBB2_1879
; %bb.1872:                             ;   in Loop: Header=BB2_1771 Depth=4
	v_mov_b32_e32 v60, 0
	s_mov_b32 s74, exec_lo
	v_cmpx_ne_u32_e32 0, v74
	s_cbranch_execz .LBB2_1878
; %bb.1873:                             ;   in Loop: Header=BB2_1771 Depth=4
	v_bfe_u32 v60, v74, 23, 8
	v_and_b32_e32 v73, 0x7fffff, v74
	v_sub_nc_u32_e32 v75, 0x78, v60
	v_cmp_gt_u32_e32 vcc_lo, 0x79, v60
	v_or_b32_e32 v76, 0x800000, v73
	v_cndmask_b32_e32 v75, 0, v75, vcc_lo
	v_cmp_eq_u32_e32 vcc_lo, 0, v60
	v_add_nc_u32_e32 v60, 0xffffff89, v60
	v_cndmask_b32_e64 v75, v75, 0x77, vcc_lo
	v_cndmask_b32_e32 v73, v76, v73, vcc_lo
	v_cndmask_b32_e64 v60, v60, 0xffffff8a, vcc_lo
	v_lshl_add_u32 v76, 0x100000, v75, -1
	v_lshrrev_b32_e32 v77, v75, v73
	v_lshlrev_b32_e64 v79, v75, 0x80000
	v_add_nc_u32_e32 v75, v75, v60
	v_and_b32_e32 v73, v76, v73
	v_bfe_u32 v78, v77, 20, 1
	v_cmp_eq_u32_e64 s16, v73, v79
	v_add_nc_u32_e32 v76, -1, v78
	v_cndmask_b32_e64 v73, 0, v76, s16
	v_lshrrev_b32_e32 v76, 23, v77
	s_mov_b32 s16, exec_lo
	v_add_nc_u32_e32 v73, v73, v77
	v_xor_b32_e32 v76, 1, v76
	v_and_b32_e32 v60, 0xfffff, v73
	v_add_nc_u32_e32 v73, v60, v77
                                        ; implicit-def: $vgpr60
	v_cmpx_ne_u32_e64 v75, v76
	s_xor_b32 s16, exec_lo, s16
; %bb.1874:                             ;   in Loop: Header=BB2_1771 Depth=4
	v_cmp_lt_u32_e32 vcc_lo, 0xffffff, v73
	v_sub_nc_u32_e32 v60, v75, v76
	v_cndmask_b32_e64 v75, 0, 1, vcc_lo
	v_add_co_ci_u32_e64 v60, null, 0, v60, vcc_lo
	v_lshrrev_b32_e32 v73, v75, v73
; %bb.1875:                             ;   in Loop: Header=BB2_1771 Depth=4
	s_andn2_saveexec_b32 s16, s16
; %bb.1876:                             ;   in Loop: Header=BB2_1771 Depth=4
	v_bfe_u32 v60, v73, 23, 1
; %bb.1877:                             ;   in Loop: Header=BB2_1771 Depth=4
	s_or_b32 exec_lo, exec_lo, s16
	v_lshrrev_b32_e32 v73, 20, v73
	v_cmp_gt_i32_e32 vcc_lo, 16, v60
	v_min_i32_e32 v75, 15, v60
	v_and_b32_sdwa v74, v74, v103 dst_sel:DWORD dst_unused:UNUSED_PAD src0_sel:BYTE_3 src1_sel:DWORD
	v_cndmask_b32_e32 v73, 7, v73, vcc_lo
	v_lshlrev_b32_e32 v75, 3, v75
	v_and_b32_e32 v76, 7, v73
	v_or_b32_e32 v60, v60, v73
	v_or3_b32 v73, v75, v74, v76
	v_cmp_ne_u32_e32 vcc_lo, 0, v60
	v_cndmask_b32_e32 v60, 0, v73, vcc_lo
.LBB2_1878:                             ;   in Loop: Header=BB2_1771 Depth=4
	s_or_b32 exec_lo, exec_lo, s74
.LBB2_1879:                             ;   in Loop: Header=BB2_1771 Depth=4
	s_or_b32 exec_lo, exec_lo, s73
	v_cmp_gt_i16_sdwa s73, v72, v102 src0_sel:BYTE_0 src1_sel:DWORD
	s_andn2_b32 vcc_lo, exec_lo, s63
	s_mov_b32 s16, -1
                                        ; implicit-def: $vgpr73
	s_cbranch_vccnz .LBB2_1893
; %bb.1880:                             ;   in Loop: Header=BB2_1771 Depth=4
	s_mov_b32 s16, 0
	s_and_saveexec_b32 s74, s73
	s_xor_b32 s73, exec_lo, s74
	s_cbranch_execz .LBB2_2081
; %bb.1881:                             ;   in Loop: Header=BB2_1771 Depth=4
	v_cmp_eq_u16_sdwa s75, v72, v103 src0_sel:BYTE_0 src1_sel:DWORD
	s_mov_b32 s16, -1
	s_and_saveexec_b32 s74, s75
; %bb.1882:                             ;   in Loop: Header=BB2_1771 Depth=4
	s_xor_b32 s16, exec_lo, -1
; %bb.1883:                             ;   in Loop: Header=BB2_1771 Depth=4
	s_or_b32 exec_lo, exec_lo, s74
	s_and_b32 s16, s16, exec_lo
	s_or_saveexec_b32 s73, s73
	v_mov_b32_e32 v73, 0x7f800001
	s_xor_b32 exec_lo, exec_lo, s73
	s_cbranch_execnz .LBB2_2082
.LBB2_1884:                             ;   in Loop: Header=BB2_1771 Depth=4
	s_or_b32 exec_lo, exec_lo, s73
	s_and_saveexec_b32 s73, s16
	s_cbranch_execz .LBB2_1886
.LBB2_1885:                             ;   in Loop: Header=BB2_1771 Depth=4
	v_and_b32_e32 v73, 7, v72
	v_lshrrev_b16 v75, 3, v72
	v_lshlrev_b32_e32 v77, 24, v72
	v_ffbh_u32_e32 v74, v73
	v_and_b32_e32 v75, 15, v75
	v_min_u32_e32 v74, 32, v74
	v_cmp_eq_u32_e32 vcc_lo, 0, v75
	v_subrev_nc_u32_e32 v76, 28, v74
	v_sub_nc_u32_e32 v74, 29, v74
	v_lshlrev_b32_e32 v76, v76, v72
	v_cndmask_b32_e32 v74, v75, v74, vcc_lo
	v_and_b32_e32 v75, 0x80000000, v77
	v_and_b32_e32 v76, 7, v76
	v_lshl_add_u32 v74, v74, 23, 0x3b800000
	v_cndmask_b32_e32 v73, v73, v76, vcc_lo
	v_lshlrev_b32_e32 v73, 20, v73
	v_or3_b32 v73, v75, v74, v73
.LBB2_1886:                             ;   in Loop: Header=BB2_1771 Depth=4
	s_or_b32 exec_lo, exec_lo, s73
	s_waitcnt vmcnt(4) lgkmcnt(4)
	v_cmp_gt_i16_sdwa s73, v63, v102 src0_sel:BYTE_0 src1_sel:DWORD
	s_mov_b32 s16, 0
	s_and_saveexec_b32 s74, s73
	s_xor_b32 s73, exec_lo, s74
	s_cbranch_execz .LBB2_2083
; %bb.1887:                             ;   in Loop: Header=BB2_1771 Depth=4
	v_cmp_eq_u16_sdwa s75, v63, v103 src0_sel:BYTE_0 src1_sel:DWORD
	s_mov_b32 s16, -1
	s_and_saveexec_b32 s74, s75
; %bb.1888:                             ;   in Loop: Header=BB2_1771 Depth=4
	s_xor_b32 s16, exec_lo, -1
; %bb.1889:                             ;   in Loop: Header=BB2_1771 Depth=4
	s_or_b32 exec_lo, exec_lo, s74
	s_and_b32 s16, s16, exec_lo
	s_or_saveexec_b32 s73, s73
	v_mov_b32_e32 v74, 0x7f800001
	s_xor_b32 exec_lo, exec_lo, s73
	s_cbranch_execnz .LBB2_2084
.LBB2_1890:                             ;   in Loop: Header=BB2_1771 Depth=4
	s_or_b32 exec_lo, exec_lo, s73
	s_and_saveexec_b32 s73, s16
	s_cbranch_execz .LBB2_1892
.LBB2_1891:                             ;   in Loop: Header=BB2_1771 Depth=4
	v_and_b32_e32 v74, 7, v63
	v_lshrrev_b16 v76, 3, v63
	v_lshlrev_b32_e32 v78, 24, v63
	v_ffbh_u32_e32 v75, v74
	v_and_b32_e32 v76, 15, v76
	v_min_u32_e32 v75, 32, v75
	v_cmp_eq_u32_e32 vcc_lo, 0, v76
	v_subrev_nc_u32_e32 v77, 28, v75
	v_sub_nc_u32_e32 v75, 29, v75
	v_lshlrev_b32_e32 v77, v77, v63
	v_cndmask_b32_e32 v75, v76, v75, vcc_lo
	v_and_b32_e32 v76, 0x80000000, v78
	v_and_b32_e32 v77, 7, v77
	v_lshl_add_u32 v75, v75, 23, 0x3b800000
	v_cndmask_b32_e32 v74, v74, v77, vcc_lo
	v_lshlrev_b32_e32 v74, 20, v74
	v_or3_b32 v74, v76, v75, v74
.LBB2_1892:                             ;   in Loop: Header=BB2_1771 Depth=4
	s_or_b32 exec_lo, exec_lo, s73
	v_max_f32_e32 v74, v74, v74
	v_max_f32_e32 v73, v73, v73
	s_mov_b32 s16, 0
	v_max_f32_e32 v73, v73, v74
.LBB2_1893:                             ;   in Loop: Header=BB2_1771 Depth=4
	s_and_b32 vcc_lo, exec_lo, s16
	s_cbranch_vccz .LBB2_1907
; %bb.1894:                             ;   in Loop: Header=BB2_1771 Depth=4
	v_cmp_gt_i16_sdwa s73, v72, v102 src0_sel:BYTE_0 src1_sel:DWORD
	s_mov_b32 s16, 0
	s_and_saveexec_b32 s74, s73
	s_xor_b32 s73, exec_lo, s74
	s_cbranch_execz .LBB2_2085
; %bb.1895:                             ;   in Loop: Header=BB2_1771 Depth=4
	v_cmp_eq_u16_sdwa s75, v72, v103 src0_sel:BYTE_0 src1_sel:DWORD
	s_mov_b32 s16, -1
	s_and_saveexec_b32 s74, s75
; %bb.1896:                             ;   in Loop: Header=BB2_1771 Depth=4
	s_xor_b32 s16, exec_lo, -1
; %bb.1897:                             ;   in Loop: Header=BB2_1771 Depth=4
	s_or_b32 exec_lo, exec_lo, s74
	s_and_b32 s16, s16, exec_lo
	s_or_saveexec_b32 s73, s73
	v_mov_b32_e32 v73, 0x7f800001
	s_xor_b32 exec_lo, exec_lo, s73
	s_cbranch_execnz .LBB2_2086
.LBB2_1898:                             ;   in Loop: Header=BB2_1771 Depth=4
	s_or_b32 exec_lo, exec_lo, s73
	s_and_saveexec_b32 s73, s16
	s_cbranch_execz .LBB2_1900
.LBB2_1899:                             ;   in Loop: Header=BB2_1771 Depth=4
	v_and_b32_e32 v73, 7, v72
	v_lshrrev_b16 v75, 3, v72
	v_ffbh_u32_e32 v74, v73
	v_and_b32_e32 v75, 15, v75
	v_min_u32_e32 v74, 32, v74
	v_cmp_eq_u32_e32 vcc_lo, 0, v75
	v_subrev_nc_u32_e32 v76, 28, v74
	v_sub_nc_u32_e32 v74, 29, v74
	v_lshlrev_b32_e32 v76, v76, v72
	v_lshlrev_b32_e32 v72, 24, v72
	v_cndmask_b32_e32 v74, v75, v74, vcc_lo
	v_and_b32_e32 v76, 7, v76
	v_and_b32_e32 v72, 0x80000000, v72
	v_lshl_add_u32 v74, v74, 23, 0x3b800000
	v_cndmask_b32_e32 v73, v73, v76, vcc_lo
	v_lshlrev_b32_e32 v73, 20, v73
	v_or3_b32 v73, v72, v74, v73
.LBB2_1900:                             ;   in Loop: Header=BB2_1771 Depth=4
	s_or_b32 exec_lo, exec_lo, s73
	s_waitcnt vmcnt(4) lgkmcnt(4)
	v_cmp_gt_i16_sdwa s73, v63, v102 src0_sel:BYTE_0 src1_sel:DWORD
	s_mov_b32 s16, 0
	s_and_saveexec_b32 s74, s73
	s_xor_b32 s73, exec_lo, s74
	s_cbranch_execz .LBB2_2087
; %bb.1901:                             ;   in Loop: Header=BB2_1771 Depth=4
	v_cmp_eq_u16_sdwa s75, v63, v103 src0_sel:BYTE_0 src1_sel:DWORD
	s_mov_b32 s16, -1
	s_and_saveexec_b32 s74, s75
; %bb.1902:                             ;   in Loop: Header=BB2_1771 Depth=4
	s_xor_b32 s16, exec_lo, -1
; %bb.1903:                             ;   in Loop: Header=BB2_1771 Depth=4
	s_or_b32 exec_lo, exec_lo, s74
	s_and_b32 s16, s16, exec_lo
	s_or_saveexec_b32 s73, s73
	v_mov_b32_e32 v72, 0x7f800001
	s_xor_b32 exec_lo, exec_lo, s73
	s_cbranch_execnz .LBB2_2088
.LBB2_1904:                             ;   in Loop: Header=BB2_1771 Depth=4
	s_or_b32 exec_lo, exec_lo, s73
	s_and_saveexec_b32 s73, s16
	s_cbranch_execz .LBB2_1906
.LBB2_1905:                             ;   in Loop: Header=BB2_1771 Depth=4
	v_and_b32_e32 v72, 7, v63
	v_lshrrev_b16 v75, 3, v63
	v_ffbh_u32_e32 v74, v72
	v_and_b32_e32 v75, 15, v75
	v_min_u32_e32 v74, 32, v74
	v_cmp_eq_u32_e32 vcc_lo, 0, v75
	v_subrev_nc_u32_e32 v76, 28, v74
	v_sub_nc_u32_e32 v74, 29, v74
	v_lshlrev_b32_e32 v76, v76, v63
	v_lshlrev_b32_e32 v63, 24, v63
	v_cndmask_b32_e32 v74, v75, v74, vcc_lo
	v_and_b32_e32 v76, 7, v76
	v_and_b32_e32 v63, 0x80000000, v63
	v_lshl_add_u32 v74, v74, 23, 0x3b800000
	v_cndmask_b32_e32 v72, v72, v76, vcc_lo
	v_lshlrev_b32_e32 v72, 20, v72
	v_or3_b32 v72, v63, v74, v72
.LBB2_1906:                             ;   in Loop: Header=BB2_1771 Depth=4
	s_or_b32 exec_lo, exec_lo, s73
	v_max_f32_e32 v63, v72, v72
	v_max_f32_e32 v72, v73, v73
	v_min_f32_e32 v73, v72, v63
.LBB2_1907:                             ;   in Loop: Header=BB2_1771 Depth=4
	s_waitcnt vmcnt(4) lgkmcnt(4)
	v_and_b32_e32 v63, 0x7f800000, v73
	v_cmp_ne_u32_e32 vcc_lo, 0x7f800000, v63
	v_mov_b32_e32 v63, 0x80
	s_and_saveexec_b32 s73, vcc_lo
	s_cbranch_execz .LBB2_1915
; %bb.1908:                             ;   in Loop: Header=BB2_1771 Depth=4
	v_mov_b32_e32 v63, 0
	s_mov_b32 s74, exec_lo
	v_cmpx_ne_u32_e32 0, v73
	s_cbranch_execz .LBB2_1914
; %bb.1909:                             ;   in Loop: Header=BB2_1771 Depth=4
	v_bfe_u32 v63, v73, 23, 8
	v_and_b32_e32 v72, 0x7fffff, v73
	v_sub_nc_u32_e32 v74, 0x78, v63
	v_cmp_gt_u32_e32 vcc_lo, 0x79, v63
	v_or_b32_e32 v75, 0x800000, v72
	v_cndmask_b32_e32 v74, 0, v74, vcc_lo
	v_cmp_eq_u32_e32 vcc_lo, 0, v63
	v_add_nc_u32_e32 v63, 0xffffff89, v63
	v_cndmask_b32_e64 v74, v74, 0x77, vcc_lo
	v_cndmask_b32_e32 v72, v75, v72, vcc_lo
	v_cndmask_b32_e64 v63, v63, 0xffffff8a, vcc_lo
	v_lshl_add_u32 v75, 0x100000, v74, -1
	v_lshrrev_b32_e32 v76, v74, v72
	v_lshlrev_b32_e64 v78, v74, 0x80000
	v_add_nc_u32_e32 v74, v74, v63
	v_and_b32_e32 v72, v75, v72
	v_bfe_u32 v77, v76, 20, 1
	v_cmp_eq_u32_e64 s16, v72, v78
	v_add_nc_u32_e32 v75, -1, v77
	v_cndmask_b32_e64 v72, 0, v75, s16
	v_lshrrev_b32_e32 v75, 23, v76
	s_mov_b32 s16, exec_lo
	v_add_nc_u32_e32 v72, v72, v76
	v_xor_b32_e32 v75, 1, v75
	v_and_b32_e32 v63, 0xfffff, v72
	v_add_nc_u32_e32 v72, v63, v76
                                        ; implicit-def: $vgpr63
	v_cmpx_ne_u32_e64 v74, v75
	s_xor_b32 s16, exec_lo, s16
; %bb.1910:                             ;   in Loop: Header=BB2_1771 Depth=4
	v_cmp_lt_u32_e32 vcc_lo, 0xffffff, v72
	v_sub_nc_u32_e32 v63, v74, v75
	v_cndmask_b32_e64 v74, 0, 1, vcc_lo
	v_add_co_ci_u32_e64 v63, null, 0, v63, vcc_lo
	v_lshrrev_b32_e32 v72, v74, v72
; %bb.1911:                             ;   in Loop: Header=BB2_1771 Depth=4
	s_andn2_saveexec_b32 s16, s16
; %bb.1912:                             ;   in Loop: Header=BB2_1771 Depth=4
	v_bfe_u32 v63, v72, 23, 1
; %bb.1913:                             ;   in Loop: Header=BB2_1771 Depth=4
	s_or_b32 exec_lo, exec_lo, s16
	v_lshrrev_b32_e32 v72, 20, v72
	v_cmp_gt_i32_e32 vcc_lo, 16, v63
	v_min_i32_e32 v74, 15, v63
	v_and_b32_sdwa v73, v73, v103 dst_sel:DWORD dst_unused:UNUSED_PAD src0_sel:BYTE_3 src1_sel:DWORD
	v_cndmask_b32_e32 v72, 7, v72, vcc_lo
	v_lshlrev_b32_e32 v74, 3, v74
	v_and_b32_e32 v75, 7, v72
	v_or_b32_e32 v63, v63, v72
	v_or3_b32 v72, v74, v73, v75
	v_cmp_ne_u32_e32 vcc_lo, 0, v63
	v_cndmask_b32_e32 v63, 0, v72, vcc_lo
.LBB2_1914:                             ;   in Loop: Header=BB2_1771 Depth=4
	s_or_b32 exec_lo, exec_lo, s74
.LBB2_1915:                             ;   in Loop: Header=BB2_1771 Depth=4
	s_or_b32 exec_lo, exec_lo, s73
	v_cmp_gt_i16_sdwa s73, v62, v102 src0_sel:BYTE_0 src1_sel:DWORD
	s_andn2_b32 vcc_lo, exec_lo, s63
	s_mov_b32 s16, -1
                                        ; implicit-def: $vgpr72
	s_cbranch_vccnz .LBB2_1929
; %bb.1916:                             ;   in Loop: Header=BB2_1771 Depth=4
	s_mov_b32 s16, 0
	s_and_saveexec_b32 s74, s73
	s_xor_b32 s73, exec_lo, s74
	s_cbranch_execz .LBB2_2089
; %bb.1917:                             ;   in Loop: Header=BB2_1771 Depth=4
	v_cmp_eq_u16_sdwa s75, v62, v103 src0_sel:BYTE_0 src1_sel:DWORD
	s_mov_b32 s16, -1
	s_and_saveexec_b32 s74, s75
; %bb.1918:                             ;   in Loop: Header=BB2_1771 Depth=4
	s_xor_b32 s16, exec_lo, -1
; %bb.1919:                             ;   in Loop: Header=BB2_1771 Depth=4
	s_or_b32 exec_lo, exec_lo, s74
	s_and_b32 s16, s16, exec_lo
	s_or_saveexec_b32 s73, s73
	v_mov_b32_e32 v72, 0x7f800001
	s_xor_b32 exec_lo, exec_lo, s73
	s_cbranch_execnz .LBB2_2090
.LBB2_1920:                             ;   in Loop: Header=BB2_1771 Depth=4
	s_or_b32 exec_lo, exec_lo, s73
	s_and_saveexec_b32 s73, s16
	s_cbranch_execz .LBB2_1922
.LBB2_1921:                             ;   in Loop: Header=BB2_1771 Depth=4
	v_and_b32_e32 v72, 7, v62
	v_lshrrev_b16 v74, 3, v62
	v_lshlrev_b32_e32 v76, 24, v62
	v_ffbh_u32_e32 v73, v72
	v_and_b32_e32 v74, 15, v74
	v_min_u32_e32 v73, 32, v73
	v_cmp_eq_u32_e32 vcc_lo, 0, v74
	v_subrev_nc_u32_e32 v75, 28, v73
	v_sub_nc_u32_e32 v73, 29, v73
	v_lshlrev_b32_e32 v75, v75, v62
	v_cndmask_b32_e32 v73, v74, v73, vcc_lo
	v_and_b32_e32 v74, 0x80000000, v76
	v_and_b32_e32 v75, 7, v75
	v_lshl_add_u32 v73, v73, 23, 0x3b800000
	v_cndmask_b32_e32 v72, v72, v75, vcc_lo
	v_lshlrev_b32_e32 v72, 20, v72
	v_or3_b32 v72, v74, v73, v72
.LBB2_1922:                             ;   in Loop: Header=BB2_1771 Depth=4
	s_or_b32 exec_lo, exec_lo, s73
	s_waitcnt vmcnt(3) lgkmcnt(3)
	v_cmp_gt_i16_sdwa s73, v61, v102 src0_sel:BYTE_0 src1_sel:DWORD
	s_mov_b32 s16, 0
	s_and_saveexec_b32 s74, s73
	s_xor_b32 s73, exec_lo, s74
	s_cbranch_execz .LBB2_2091
; %bb.1923:                             ;   in Loop: Header=BB2_1771 Depth=4
	v_cmp_eq_u16_sdwa s75, v61, v103 src0_sel:BYTE_0 src1_sel:DWORD
	s_mov_b32 s16, -1
	s_and_saveexec_b32 s74, s75
; %bb.1924:                             ;   in Loop: Header=BB2_1771 Depth=4
	s_xor_b32 s16, exec_lo, -1
; %bb.1925:                             ;   in Loop: Header=BB2_1771 Depth=4
	s_or_b32 exec_lo, exec_lo, s74
	s_and_b32 s16, s16, exec_lo
	s_or_saveexec_b32 s73, s73
	v_mov_b32_e32 v73, 0x7f800001
	s_xor_b32 exec_lo, exec_lo, s73
	s_cbranch_execnz .LBB2_2092
.LBB2_1926:                             ;   in Loop: Header=BB2_1771 Depth=4
	s_or_b32 exec_lo, exec_lo, s73
	s_and_saveexec_b32 s73, s16
	s_cbranch_execz .LBB2_1928
.LBB2_1927:                             ;   in Loop: Header=BB2_1771 Depth=4
	v_and_b32_e32 v73, 7, v61
	v_lshrrev_b16 v75, 3, v61
	v_lshlrev_b32_e32 v77, 24, v61
	v_ffbh_u32_e32 v74, v73
	v_and_b32_e32 v75, 15, v75
	v_min_u32_e32 v74, 32, v74
	v_cmp_eq_u32_e32 vcc_lo, 0, v75
	v_subrev_nc_u32_e32 v76, 28, v74
	v_sub_nc_u32_e32 v74, 29, v74
	v_lshlrev_b32_e32 v76, v76, v61
	v_cndmask_b32_e32 v74, v75, v74, vcc_lo
	v_and_b32_e32 v75, 0x80000000, v77
	v_and_b32_e32 v76, 7, v76
	v_lshl_add_u32 v74, v74, 23, 0x3b800000
	v_cndmask_b32_e32 v73, v73, v76, vcc_lo
	v_lshlrev_b32_e32 v73, 20, v73
	v_or3_b32 v73, v75, v74, v73
.LBB2_1928:                             ;   in Loop: Header=BB2_1771 Depth=4
	s_or_b32 exec_lo, exec_lo, s73
	v_max_f32_e32 v73, v73, v73
	v_max_f32_e32 v72, v72, v72
	s_mov_b32 s16, 0
	v_max_f32_e32 v72, v72, v73
.LBB2_1929:                             ;   in Loop: Header=BB2_1771 Depth=4
	s_and_b32 vcc_lo, exec_lo, s16
	s_cbranch_vccz .LBB2_1943
; %bb.1930:                             ;   in Loop: Header=BB2_1771 Depth=4
	v_cmp_gt_i16_sdwa s73, v62, v102 src0_sel:BYTE_0 src1_sel:DWORD
	s_mov_b32 s16, 0
	s_and_saveexec_b32 s74, s73
	s_xor_b32 s73, exec_lo, s74
	s_cbranch_execz .LBB2_2093
; %bb.1931:                             ;   in Loop: Header=BB2_1771 Depth=4
	v_cmp_eq_u16_sdwa s75, v62, v103 src0_sel:BYTE_0 src1_sel:DWORD
	s_mov_b32 s16, -1
	s_and_saveexec_b32 s74, s75
; %bb.1932:                             ;   in Loop: Header=BB2_1771 Depth=4
	s_xor_b32 s16, exec_lo, -1
; %bb.1933:                             ;   in Loop: Header=BB2_1771 Depth=4
	s_or_b32 exec_lo, exec_lo, s74
	s_and_b32 s16, s16, exec_lo
	s_or_saveexec_b32 s73, s73
	v_mov_b32_e32 v72, 0x7f800001
	s_xor_b32 exec_lo, exec_lo, s73
	s_cbranch_execnz .LBB2_2094
.LBB2_1934:                             ;   in Loop: Header=BB2_1771 Depth=4
	s_or_b32 exec_lo, exec_lo, s73
	s_and_saveexec_b32 s73, s16
	s_cbranch_execz .LBB2_1936
.LBB2_1935:                             ;   in Loop: Header=BB2_1771 Depth=4
	v_and_b32_e32 v72, 7, v62
	v_lshrrev_b16 v74, 3, v62
	v_ffbh_u32_e32 v73, v72
	v_and_b32_e32 v74, 15, v74
	v_min_u32_e32 v73, 32, v73
	v_cmp_eq_u32_e32 vcc_lo, 0, v74
	v_subrev_nc_u32_e32 v75, 28, v73
	v_sub_nc_u32_e32 v73, 29, v73
	v_lshlrev_b32_e32 v75, v75, v62
	v_lshlrev_b32_e32 v62, 24, v62
	v_cndmask_b32_e32 v73, v74, v73, vcc_lo
	v_and_b32_e32 v75, 7, v75
	v_and_b32_e32 v62, 0x80000000, v62
	v_lshl_add_u32 v73, v73, 23, 0x3b800000
	v_cndmask_b32_e32 v72, v72, v75, vcc_lo
	v_lshlrev_b32_e32 v72, 20, v72
	v_or3_b32 v72, v62, v73, v72
.LBB2_1936:                             ;   in Loop: Header=BB2_1771 Depth=4
	s_or_b32 exec_lo, exec_lo, s73
	s_waitcnt vmcnt(3) lgkmcnt(3)
	v_cmp_gt_i16_sdwa s73, v61, v102 src0_sel:BYTE_0 src1_sel:DWORD
	s_mov_b32 s16, 0
	s_and_saveexec_b32 s74, s73
	s_xor_b32 s73, exec_lo, s74
	s_cbranch_execz .LBB2_2095
; %bb.1937:                             ;   in Loop: Header=BB2_1771 Depth=4
	v_cmp_eq_u16_sdwa s75, v61, v103 src0_sel:BYTE_0 src1_sel:DWORD
	s_mov_b32 s16, -1
	s_and_saveexec_b32 s74, s75
; %bb.1938:                             ;   in Loop: Header=BB2_1771 Depth=4
	s_xor_b32 s16, exec_lo, -1
; %bb.1939:                             ;   in Loop: Header=BB2_1771 Depth=4
	s_or_b32 exec_lo, exec_lo, s74
	s_and_b32 s16, s16, exec_lo
	s_or_saveexec_b32 s73, s73
	v_mov_b32_e32 v62, 0x7f800001
	s_xor_b32 exec_lo, exec_lo, s73
	s_cbranch_execnz .LBB2_2096
.LBB2_1940:                             ;   in Loop: Header=BB2_1771 Depth=4
	s_or_b32 exec_lo, exec_lo, s73
	s_and_saveexec_b32 s73, s16
	s_cbranch_execz .LBB2_1942
.LBB2_1941:                             ;   in Loop: Header=BB2_1771 Depth=4
	v_and_b32_e32 v62, 7, v61
	v_lshrrev_b16 v74, 3, v61
	v_ffbh_u32_e32 v73, v62
	v_and_b32_e32 v74, 15, v74
	v_min_u32_e32 v73, 32, v73
	v_cmp_eq_u32_e32 vcc_lo, 0, v74
	v_subrev_nc_u32_e32 v75, 28, v73
	v_sub_nc_u32_e32 v73, 29, v73
	v_lshlrev_b32_e32 v75, v75, v61
	v_lshlrev_b32_e32 v61, 24, v61
	v_cndmask_b32_e32 v73, v74, v73, vcc_lo
	v_and_b32_e32 v75, 7, v75
	v_and_b32_e32 v61, 0x80000000, v61
	v_lshl_add_u32 v73, v73, 23, 0x3b800000
	v_cndmask_b32_e32 v62, v62, v75, vcc_lo
	v_lshlrev_b32_e32 v62, 20, v62
	v_or3_b32 v62, v61, v73, v62
.LBB2_1942:                             ;   in Loop: Header=BB2_1771 Depth=4
	s_or_b32 exec_lo, exec_lo, s73
	v_max_f32_e32 v61, v62, v62
	v_max_f32_e32 v62, v72, v72
	v_min_f32_e32 v72, v62, v61
.LBB2_1943:                             ;   in Loop: Header=BB2_1771 Depth=4
	s_waitcnt vmcnt(3) lgkmcnt(3)
	v_and_b32_e32 v61, 0x7f800000, v72
	v_cmp_ne_u32_e32 vcc_lo, 0x7f800000, v61
	v_mov_b32_e32 v61, 0x80
	s_and_saveexec_b32 s73, vcc_lo
	s_cbranch_execz .LBB2_1951
; %bb.1944:                             ;   in Loop: Header=BB2_1771 Depth=4
	v_mov_b32_e32 v61, 0
	s_mov_b32 s74, exec_lo
	v_cmpx_ne_u32_e32 0, v72
	s_cbranch_execz .LBB2_1950
; %bb.1945:                             ;   in Loop: Header=BB2_1771 Depth=4
	v_bfe_u32 v61, v72, 23, 8
	v_and_b32_e32 v62, 0x7fffff, v72
	v_sub_nc_u32_e32 v73, 0x78, v61
	v_cmp_gt_u32_e32 vcc_lo, 0x79, v61
	v_or_b32_e32 v74, 0x800000, v62
	v_cndmask_b32_e32 v73, 0, v73, vcc_lo
	v_cmp_eq_u32_e32 vcc_lo, 0, v61
	v_add_nc_u32_e32 v61, 0xffffff89, v61
	v_cndmask_b32_e64 v73, v73, 0x77, vcc_lo
	v_cndmask_b32_e32 v62, v74, v62, vcc_lo
	v_cndmask_b32_e64 v61, v61, 0xffffff8a, vcc_lo
	v_lshl_add_u32 v74, 0x100000, v73, -1
	v_lshrrev_b32_e32 v75, v73, v62
	v_lshlrev_b32_e64 v77, v73, 0x80000
	v_add_nc_u32_e32 v73, v73, v61
	v_and_b32_e32 v62, v74, v62
	v_bfe_u32 v76, v75, 20, 1
	v_cmp_eq_u32_e64 s16, v62, v77
	v_add_nc_u32_e32 v74, -1, v76
	v_cndmask_b32_e64 v62, 0, v74, s16
	v_lshrrev_b32_e32 v74, 23, v75
	s_mov_b32 s16, exec_lo
	v_add_nc_u32_e32 v62, v62, v75
	v_xor_b32_e32 v74, 1, v74
	v_and_b32_e32 v61, 0xfffff, v62
	v_add_nc_u32_e32 v62, v61, v75
                                        ; implicit-def: $vgpr61
	v_cmpx_ne_u32_e64 v73, v74
	s_xor_b32 s16, exec_lo, s16
; %bb.1946:                             ;   in Loop: Header=BB2_1771 Depth=4
	v_cmp_lt_u32_e32 vcc_lo, 0xffffff, v62
	v_sub_nc_u32_e32 v61, v73, v74
	v_cndmask_b32_e64 v73, 0, 1, vcc_lo
	v_add_co_ci_u32_e64 v61, null, 0, v61, vcc_lo
	v_lshrrev_b32_e32 v62, v73, v62
; %bb.1947:                             ;   in Loop: Header=BB2_1771 Depth=4
	s_andn2_saveexec_b32 s16, s16
; %bb.1948:                             ;   in Loop: Header=BB2_1771 Depth=4
	v_bfe_u32 v61, v62, 23, 1
; %bb.1949:                             ;   in Loop: Header=BB2_1771 Depth=4
	s_or_b32 exec_lo, exec_lo, s16
	v_lshrrev_b32_e32 v62, 20, v62
	v_cmp_gt_i32_e32 vcc_lo, 16, v61
	v_min_i32_e32 v73, 15, v61
	v_and_b32_sdwa v72, v72, v103 dst_sel:DWORD dst_unused:UNUSED_PAD src0_sel:BYTE_3 src1_sel:DWORD
	v_cndmask_b32_e32 v62, 7, v62, vcc_lo
	v_lshlrev_b32_e32 v73, 3, v73
	v_and_b32_e32 v74, 7, v62
	v_or_b32_e32 v61, v61, v62
	v_or3_b32 v62, v73, v72, v74
	v_cmp_ne_u32_e32 vcc_lo, 0, v61
	v_cndmask_b32_e32 v61, 0, v62, vcc_lo
.LBB2_1950:                             ;   in Loop: Header=BB2_1771 Depth=4
	s_or_b32 exec_lo, exec_lo, s74
.LBB2_1951:                             ;   in Loop: Header=BB2_1771 Depth=4
	s_or_b32 exec_lo, exec_lo, s73
	v_cmp_gt_i16_sdwa s73, v59, v102 src0_sel:BYTE_0 src1_sel:DWORD
	s_andn2_b32 vcc_lo, exec_lo, s63
	s_mov_b32 s16, -1
                                        ; implicit-def: $vgpr62
	s_cbranch_vccnz .LBB2_1965
; %bb.1952:                             ;   in Loop: Header=BB2_1771 Depth=4
	s_mov_b32 s16, 0
	s_and_saveexec_b32 s74, s73
	s_xor_b32 s73, exec_lo, s74
	s_cbranch_execz .LBB2_2097
; %bb.1953:                             ;   in Loop: Header=BB2_1771 Depth=4
	v_cmp_eq_u16_sdwa s75, v59, v103 src0_sel:BYTE_0 src1_sel:DWORD
	s_mov_b32 s16, -1
	s_and_saveexec_b32 s74, s75
; %bb.1954:                             ;   in Loop: Header=BB2_1771 Depth=4
	s_xor_b32 s16, exec_lo, -1
; %bb.1955:                             ;   in Loop: Header=BB2_1771 Depth=4
	s_or_b32 exec_lo, exec_lo, s74
	s_and_b32 s16, s16, exec_lo
	s_or_saveexec_b32 s73, s73
	v_mov_b32_e32 v62, 0x7f800001
	s_xor_b32 exec_lo, exec_lo, s73
	s_cbranch_execnz .LBB2_2098
.LBB2_1956:                             ;   in Loop: Header=BB2_1771 Depth=4
	s_or_b32 exec_lo, exec_lo, s73
	s_and_saveexec_b32 s73, s16
	s_cbranch_execz .LBB2_1958
.LBB2_1957:                             ;   in Loop: Header=BB2_1771 Depth=4
	v_and_b32_e32 v62, 7, v59
	v_lshrrev_b16 v73, 3, v59
	v_lshlrev_b32_e32 v75, 24, v59
	v_ffbh_u32_e32 v72, v62
	v_and_b32_e32 v73, 15, v73
	v_min_u32_e32 v72, 32, v72
	v_cmp_eq_u32_e32 vcc_lo, 0, v73
	v_subrev_nc_u32_e32 v74, 28, v72
	v_sub_nc_u32_e32 v72, 29, v72
	v_lshlrev_b32_e32 v74, v74, v59
	v_cndmask_b32_e32 v72, v73, v72, vcc_lo
	v_and_b32_e32 v73, 0x80000000, v75
	v_and_b32_e32 v74, 7, v74
	v_lshl_add_u32 v72, v72, 23, 0x3b800000
	v_cndmask_b32_e32 v62, v62, v74, vcc_lo
	v_lshlrev_b32_e32 v62, 20, v62
	v_or3_b32 v62, v73, v72, v62
.LBB2_1958:                             ;   in Loop: Header=BB2_1771 Depth=4
	s_or_b32 exec_lo, exec_lo, s73
	s_waitcnt vmcnt(2) lgkmcnt(2)
	v_cmp_gt_i16_sdwa s73, v83, v102 src0_sel:BYTE_0 src1_sel:DWORD
	s_mov_b32 s16, 0
	s_and_saveexec_b32 s74, s73
	s_xor_b32 s73, exec_lo, s74
	s_cbranch_execz .LBB2_2099
; %bb.1959:                             ;   in Loop: Header=BB2_1771 Depth=4
	v_cmp_eq_u16_sdwa s75, v83, v103 src0_sel:BYTE_0 src1_sel:DWORD
	s_mov_b32 s16, -1
	s_and_saveexec_b32 s74, s75
; %bb.1960:                             ;   in Loop: Header=BB2_1771 Depth=4
	s_xor_b32 s16, exec_lo, -1
; %bb.1961:                             ;   in Loop: Header=BB2_1771 Depth=4
	s_or_b32 exec_lo, exec_lo, s74
	s_and_b32 s16, s16, exec_lo
	s_or_saveexec_b32 s73, s73
	v_mov_b32_e32 v72, 0x7f800001
	s_xor_b32 exec_lo, exec_lo, s73
	s_cbranch_execnz .LBB2_2100
.LBB2_1962:                             ;   in Loop: Header=BB2_1771 Depth=4
	s_or_b32 exec_lo, exec_lo, s73
	s_and_saveexec_b32 s73, s16
	s_cbranch_execz .LBB2_1964
.LBB2_1963:                             ;   in Loop: Header=BB2_1771 Depth=4
	v_and_b32_e32 v72, 7, v83
	v_lshrrev_b16 v74, 3, v83
	v_lshlrev_b32_e32 v76, 24, v83
	v_ffbh_u32_e32 v73, v72
	v_and_b32_e32 v74, 15, v74
	v_min_u32_e32 v73, 32, v73
	v_cmp_eq_u32_e32 vcc_lo, 0, v74
	v_subrev_nc_u32_e32 v75, 28, v73
	v_sub_nc_u32_e32 v73, 29, v73
	v_lshlrev_b32_e32 v75, v75, v83
	v_cndmask_b32_e32 v73, v74, v73, vcc_lo
	v_and_b32_e32 v74, 0x80000000, v76
	v_and_b32_e32 v75, 7, v75
	v_lshl_add_u32 v73, v73, 23, 0x3b800000
	v_cndmask_b32_e32 v72, v72, v75, vcc_lo
	v_lshlrev_b32_e32 v72, 20, v72
	v_or3_b32 v72, v74, v73, v72
.LBB2_1964:                             ;   in Loop: Header=BB2_1771 Depth=4
	s_or_b32 exec_lo, exec_lo, s73
	v_max_f32_e32 v72, v72, v72
	v_max_f32_e32 v62, v62, v62
	s_mov_b32 s16, 0
	v_max_f32_e32 v62, v62, v72
.LBB2_1965:                             ;   in Loop: Header=BB2_1771 Depth=4
	s_and_b32 vcc_lo, exec_lo, s16
	s_cbranch_vccz .LBB2_1979
; %bb.1966:                             ;   in Loop: Header=BB2_1771 Depth=4
	v_cmp_gt_i16_sdwa s73, v59, v102 src0_sel:BYTE_0 src1_sel:DWORD
	s_mov_b32 s16, 0
	s_and_saveexec_b32 s74, s73
	s_xor_b32 s73, exec_lo, s74
	s_cbranch_execz .LBB2_2101
; %bb.1967:                             ;   in Loop: Header=BB2_1771 Depth=4
	v_cmp_eq_u16_sdwa s75, v59, v103 src0_sel:BYTE_0 src1_sel:DWORD
	s_mov_b32 s16, -1
	s_and_saveexec_b32 s74, s75
; %bb.1968:                             ;   in Loop: Header=BB2_1771 Depth=4
	s_xor_b32 s16, exec_lo, -1
; %bb.1969:                             ;   in Loop: Header=BB2_1771 Depth=4
	s_or_b32 exec_lo, exec_lo, s74
	s_and_b32 s16, s16, exec_lo
	s_or_saveexec_b32 s73, s73
	v_mov_b32_e32 v62, 0x7f800001
	s_xor_b32 exec_lo, exec_lo, s73
	s_cbranch_execnz .LBB2_2102
.LBB2_1970:                             ;   in Loop: Header=BB2_1771 Depth=4
	s_or_b32 exec_lo, exec_lo, s73
	s_and_saveexec_b32 s73, s16
	s_cbranch_execz .LBB2_1972
.LBB2_1971:                             ;   in Loop: Header=BB2_1771 Depth=4
	v_and_b32_e32 v62, 7, v59
	v_lshrrev_b16 v73, 3, v59
	v_ffbh_u32_e32 v72, v62
	v_and_b32_e32 v73, 15, v73
	v_min_u32_e32 v72, 32, v72
	v_cmp_eq_u32_e32 vcc_lo, 0, v73
	v_subrev_nc_u32_e32 v74, 28, v72
	v_sub_nc_u32_e32 v72, 29, v72
	v_lshlrev_b32_e32 v74, v74, v59
	v_lshlrev_b32_e32 v59, 24, v59
	v_cndmask_b32_e32 v72, v73, v72, vcc_lo
	v_and_b32_e32 v74, 7, v74
	v_and_b32_e32 v59, 0x80000000, v59
	v_lshl_add_u32 v72, v72, 23, 0x3b800000
	v_cndmask_b32_e32 v62, v62, v74, vcc_lo
	v_lshlrev_b32_e32 v62, 20, v62
	v_or3_b32 v62, v59, v72, v62
.LBB2_1972:                             ;   in Loop: Header=BB2_1771 Depth=4
	s_or_b32 exec_lo, exec_lo, s73
	s_waitcnt vmcnt(2) lgkmcnt(2)
	v_cmp_gt_i16_sdwa s73, v83, v102 src0_sel:BYTE_0 src1_sel:DWORD
	s_mov_b32 s16, 0
	s_and_saveexec_b32 s74, s73
	s_xor_b32 s73, exec_lo, s74
	s_cbranch_execz .LBB2_2103
; %bb.1973:                             ;   in Loop: Header=BB2_1771 Depth=4
	v_cmp_eq_u16_sdwa s75, v83, v103 src0_sel:BYTE_0 src1_sel:DWORD
	s_mov_b32 s16, -1
	s_and_saveexec_b32 s74, s75
; %bb.1974:                             ;   in Loop: Header=BB2_1771 Depth=4
	s_xor_b32 s16, exec_lo, -1
; %bb.1975:                             ;   in Loop: Header=BB2_1771 Depth=4
	s_or_b32 exec_lo, exec_lo, s74
	s_and_b32 s16, s16, exec_lo
	s_or_saveexec_b32 s73, s73
	v_mov_b32_e32 v59, 0x7f800001
	s_xor_b32 exec_lo, exec_lo, s73
	s_cbranch_execnz .LBB2_2104
.LBB2_1976:                             ;   in Loop: Header=BB2_1771 Depth=4
	s_or_b32 exec_lo, exec_lo, s73
	s_and_saveexec_b32 s73, s16
	s_cbranch_execz .LBB2_1978
.LBB2_1977:                             ;   in Loop: Header=BB2_1771 Depth=4
	v_and_b32_e32 v59, 7, v83
	v_lshrrev_b16 v73, 3, v83
	v_ffbh_u32_e32 v72, v59
	v_and_b32_e32 v73, 15, v73
	v_min_u32_e32 v72, 32, v72
	v_cmp_eq_u32_e32 vcc_lo, 0, v73
	v_subrev_nc_u32_e32 v74, 28, v72
	v_sub_nc_u32_e32 v72, 29, v72
	v_lshlrev_b32_e32 v74, v74, v83
	v_lshlrev_b32_e32 v83, 24, v83
	v_cndmask_b32_e32 v72, v73, v72, vcc_lo
	v_and_b32_e32 v74, 7, v74
	v_and_b32_e32 v83, 0x80000000, v83
	v_lshl_add_u32 v72, v72, 23, 0x3b800000
	v_cndmask_b32_e32 v59, v59, v74, vcc_lo
	v_lshlrev_b32_e32 v59, 20, v59
	v_or3_b32 v59, v83, v72, v59
.LBB2_1978:                             ;   in Loop: Header=BB2_1771 Depth=4
	s_or_b32 exec_lo, exec_lo, s73
	v_max_f32_e32 v83, v59, v59
	v_max_f32_e32 v59, v62, v62
	v_min_f32_e32 v62, v59, v83
.LBB2_1979:                             ;   in Loop: Header=BB2_1771 Depth=4
	s_waitcnt vmcnt(2) lgkmcnt(2)
	v_and_b32_e32 v83, 0x7f800000, v62
	v_cmp_ne_u32_e32 vcc_lo, 0x7f800000, v83
	v_mov_b32_e32 v83, 0x80
	s_and_saveexec_b32 s73, vcc_lo
	s_cbranch_execz .LBB2_1987
; %bb.1980:                             ;   in Loop: Header=BB2_1771 Depth=4
	v_mov_b32_e32 v83, 0
	s_mov_b32 s74, exec_lo
	v_cmpx_ne_u32_e32 0, v62
	s_cbranch_execz .LBB2_1986
; %bb.1981:                             ;   in Loop: Header=BB2_1771 Depth=4
	v_bfe_u32 v83, v62, 23, 8
	v_and_b32_e32 v59, 0x7fffff, v62
	v_sub_nc_u32_e32 v72, 0x78, v83
	v_cmp_gt_u32_e32 vcc_lo, 0x79, v83
	v_or_b32_e32 v73, 0x800000, v59
	v_cndmask_b32_e32 v72, 0, v72, vcc_lo
	v_cmp_eq_u32_e32 vcc_lo, 0, v83
	v_add_nc_u32_e32 v83, 0xffffff89, v83
	v_cndmask_b32_e64 v72, v72, 0x77, vcc_lo
	v_cndmask_b32_e32 v59, v73, v59, vcc_lo
	v_cndmask_b32_e64 v83, v83, 0xffffff8a, vcc_lo
	v_lshl_add_u32 v73, 0x100000, v72, -1
	v_lshrrev_b32_e32 v74, v72, v59
	v_lshlrev_b32_e64 v76, v72, 0x80000
	v_add_nc_u32_e32 v72, v72, v83
	v_and_b32_e32 v59, v73, v59
	v_bfe_u32 v75, v74, 20, 1
	v_cmp_eq_u32_e64 s16, v59, v76
	v_add_nc_u32_e32 v73, -1, v75
	v_cndmask_b32_e64 v59, 0, v73, s16
	v_lshrrev_b32_e32 v73, 23, v74
	s_mov_b32 s16, exec_lo
	v_add_nc_u32_e32 v59, v59, v74
	v_xor_b32_e32 v73, 1, v73
	v_and_b32_e32 v83, 0xfffff, v59
	v_add_nc_u32_e32 v59, v83, v74
                                        ; implicit-def: $vgpr83
	v_cmpx_ne_u32_e64 v72, v73
	s_xor_b32 s16, exec_lo, s16
; %bb.1982:                             ;   in Loop: Header=BB2_1771 Depth=4
	v_cmp_lt_u32_e32 vcc_lo, 0xffffff, v59
	v_sub_nc_u32_e32 v83, v72, v73
	v_cndmask_b32_e64 v72, 0, 1, vcc_lo
	v_add_co_ci_u32_e64 v83, null, 0, v83, vcc_lo
	v_lshrrev_b32_e32 v59, v72, v59
; %bb.1983:                             ;   in Loop: Header=BB2_1771 Depth=4
	s_andn2_saveexec_b32 s16, s16
; %bb.1984:                             ;   in Loop: Header=BB2_1771 Depth=4
	v_bfe_u32 v83, v59, 23, 1
; %bb.1985:                             ;   in Loop: Header=BB2_1771 Depth=4
	s_or_b32 exec_lo, exec_lo, s16
	v_lshrrev_b32_e32 v59, 20, v59
	v_cmp_gt_i32_e32 vcc_lo, 16, v83
	v_min_i32_e32 v72, 15, v83
	v_and_b32_sdwa v62, v62, v103 dst_sel:DWORD dst_unused:UNUSED_PAD src0_sel:BYTE_3 src1_sel:DWORD
	v_cndmask_b32_e32 v59, 7, v59, vcc_lo
	v_lshlrev_b32_e32 v72, 3, v72
	v_and_b32_e32 v73, 7, v59
	v_or_b32_e32 v83, v83, v59
	v_or3_b32 v59, v72, v62, v73
	v_cmp_ne_u32_e32 vcc_lo, 0, v83
	v_cndmask_b32_e32 v83, 0, v59, vcc_lo
.LBB2_1986:                             ;   in Loop: Header=BB2_1771 Depth=4
	s_or_b32 exec_lo, exec_lo, s74
.LBB2_1987:                             ;   in Loop: Header=BB2_1771 Depth=4
	s_or_b32 exec_lo, exec_lo, s73
	v_cmp_gt_i16_sdwa s73, v81, v102 src0_sel:BYTE_0 src1_sel:DWORD
	s_andn2_b32 vcc_lo, exec_lo, s63
	s_mov_b32 s16, -1
                                        ; implicit-def: $vgpr59
	s_cbranch_vccnz .LBB2_2001
; %bb.1988:                             ;   in Loop: Header=BB2_1771 Depth=4
	s_mov_b32 s16, 0
	s_and_saveexec_b32 s74, s73
	s_xor_b32 s73, exec_lo, s74
	s_cbranch_execz .LBB2_2105
; %bb.1989:                             ;   in Loop: Header=BB2_1771 Depth=4
	v_cmp_eq_u16_sdwa s75, v81, v103 src0_sel:BYTE_0 src1_sel:DWORD
	s_mov_b32 s16, -1
	s_and_saveexec_b32 s74, s75
; %bb.1990:                             ;   in Loop: Header=BB2_1771 Depth=4
	s_xor_b32 s16, exec_lo, -1
; %bb.1991:                             ;   in Loop: Header=BB2_1771 Depth=4
	s_or_b32 exec_lo, exec_lo, s74
	s_and_b32 s16, s16, exec_lo
	s_or_saveexec_b32 s73, s73
	v_mov_b32_e32 v59, 0x7f800001
	s_xor_b32 exec_lo, exec_lo, s73
	s_cbranch_execnz .LBB2_2106
.LBB2_1992:                             ;   in Loop: Header=BB2_1771 Depth=4
	s_or_b32 exec_lo, exec_lo, s73
	s_and_saveexec_b32 s73, s16
	s_cbranch_execz .LBB2_1994
.LBB2_1993:                             ;   in Loop: Header=BB2_1771 Depth=4
	v_and_b32_e32 v59, 7, v81
	v_lshrrev_b16 v72, 3, v81
	v_lshlrev_b32_e32 v74, 24, v81
	v_ffbh_u32_e32 v62, v59
	v_and_b32_e32 v72, 15, v72
	v_min_u32_e32 v62, 32, v62
	v_cmp_eq_u32_e32 vcc_lo, 0, v72
	v_subrev_nc_u32_e32 v73, 28, v62
	v_sub_nc_u32_e32 v62, 29, v62
	v_lshlrev_b32_e32 v73, v73, v81
	v_cndmask_b32_e32 v62, v72, v62, vcc_lo
	v_and_b32_e32 v72, 0x80000000, v74
	v_and_b32_e32 v73, 7, v73
	v_lshl_add_u32 v62, v62, 23, 0x3b800000
	v_cndmask_b32_e32 v59, v59, v73, vcc_lo
	v_lshlrev_b32_e32 v59, 20, v59
	v_or3_b32 v59, v72, v62, v59
.LBB2_1994:                             ;   in Loop: Header=BB2_1771 Depth=4
	s_or_b32 exec_lo, exec_lo, s73
	s_waitcnt vmcnt(1) lgkmcnt(1)
	v_cmp_gt_i16_sdwa s73, v69, v102 src0_sel:BYTE_0 src1_sel:DWORD
	s_mov_b32 s16, 0
	s_and_saveexec_b32 s74, s73
	s_xor_b32 s73, exec_lo, s74
	s_cbranch_execz .LBB2_2107
; %bb.1995:                             ;   in Loop: Header=BB2_1771 Depth=4
	v_cmp_eq_u16_sdwa s75, v69, v103 src0_sel:BYTE_0 src1_sel:DWORD
	s_mov_b32 s16, -1
	s_and_saveexec_b32 s74, s75
; %bb.1996:                             ;   in Loop: Header=BB2_1771 Depth=4
	s_xor_b32 s16, exec_lo, -1
; %bb.1997:                             ;   in Loop: Header=BB2_1771 Depth=4
	s_or_b32 exec_lo, exec_lo, s74
	s_and_b32 s16, s16, exec_lo
	s_or_saveexec_b32 s73, s73
	v_mov_b32_e32 v62, 0x7f800001
	s_xor_b32 exec_lo, exec_lo, s73
	s_cbranch_execnz .LBB2_2108
.LBB2_1998:                             ;   in Loop: Header=BB2_1771 Depth=4
	s_or_b32 exec_lo, exec_lo, s73
	s_and_saveexec_b32 s73, s16
	s_cbranch_execz .LBB2_2000
.LBB2_1999:                             ;   in Loop: Header=BB2_1771 Depth=4
	v_and_b32_e32 v62, 7, v69
	v_lshrrev_b16 v73, 3, v69
	v_lshlrev_b32_e32 v75, 24, v69
	v_ffbh_u32_e32 v72, v62
	v_and_b32_e32 v73, 15, v73
	v_min_u32_e32 v72, 32, v72
	v_cmp_eq_u32_e32 vcc_lo, 0, v73
	v_subrev_nc_u32_e32 v74, 28, v72
	v_sub_nc_u32_e32 v72, 29, v72
	v_lshlrev_b32_e32 v74, v74, v69
	v_cndmask_b32_e32 v72, v73, v72, vcc_lo
	v_and_b32_e32 v73, 0x80000000, v75
	v_and_b32_e32 v74, 7, v74
	v_lshl_add_u32 v72, v72, 23, 0x3b800000
	v_cndmask_b32_e32 v62, v62, v74, vcc_lo
	v_lshlrev_b32_e32 v62, 20, v62
	v_or3_b32 v62, v73, v72, v62
.LBB2_2000:                             ;   in Loop: Header=BB2_1771 Depth=4
	s_or_b32 exec_lo, exec_lo, s73
	v_max_f32_e32 v62, v62, v62
	v_max_f32_e32 v59, v59, v59
	s_mov_b32 s16, 0
	v_max_f32_e32 v59, v59, v62
.LBB2_2001:                             ;   in Loop: Header=BB2_1771 Depth=4
	s_and_b32 vcc_lo, exec_lo, s16
	s_cbranch_vccz .LBB2_2015
; %bb.2002:                             ;   in Loop: Header=BB2_1771 Depth=4
	v_cmp_gt_i16_sdwa s73, v81, v102 src0_sel:BYTE_0 src1_sel:DWORD
	s_mov_b32 s16, 0
	s_and_saveexec_b32 s74, s73
	s_xor_b32 s73, exec_lo, s74
	s_cbranch_execz .LBB2_2109
; %bb.2003:                             ;   in Loop: Header=BB2_1771 Depth=4
	v_cmp_eq_u16_sdwa s75, v81, v103 src0_sel:BYTE_0 src1_sel:DWORD
	s_mov_b32 s16, -1
	s_and_saveexec_b32 s74, s75
; %bb.2004:                             ;   in Loop: Header=BB2_1771 Depth=4
	s_xor_b32 s16, exec_lo, -1
; %bb.2005:                             ;   in Loop: Header=BB2_1771 Depth=4
	s_or_b32 exec_lo, exec_lo, s74
	s_and_b32 s16, s16, exec_lo
	s_or_saveexec_b32 s73, s73
	v_mov_b32_e32 v59, 0x7f800001
	s_xor_b32 exec_lo, exec_lo, s73
	s_cbranch_execnz .LBB2_2110
.LBB2_2006:                             ;   in Loop: Header=BB2_1771 Depth=4
	s_or_b32 exec_lo, exec_lo, s73
	s_and_saveexec_b32 s73, s16
	s_cbranch_execz .LBB2_2008
.LBB2_2007:                             ;   in Loop: Header=BB2_1771 Depth=4
	v_and_b32_e32 v59, 7, v81
	v_lshrrev_b16 v72, 3, v81
	v_ffbh_u32_e32 v62, v59
	v_and_b32_e32 v72, 15, v72
	v_min_u32_e32 v62, 32, v62
	v_cmp_eq_u32_e32 vcc_lo, 0, v72
	v_subrev_nc_u32_e32 v73, 28, v62
	v_sub_nc_u32_e32 v62, 29, v62
	v_lshlrev_b32_e32 v73, v73, v81
	v_lshlrev_b32_e32 v81, 24, v81
	v_cndmask_b32_e32 v62, v72, v62, vcc_lo
	v_and_b32_e32 v73, 7, v73
	v_and_b32_e32 v81, 0x80000000, v81
	v_lshl_add_u32 v62, v62, 23, 0x3b800000
	v_cndmask_b32_e32 v59, v59, v73, vcc_lo
	v_lshlrev_b32_e32 v59, 20, v59
	v_or3_b32 v59, v81, v62, v59
.LBB2_2008:                             ;   in Loop: Header=BB2_1771 Depth=4
	s_or_b32 exec_lo, exec_lo, s73
	s_waitcnt vmcnt(1) lgkmcnt(1)
	v_cmp_gt_i16_sdwa s73, v69, v102 src0_sel:BYTE_0 src1_sel:DWORD
	s_mov_b32 s16, 0
	s_and_saveexec_b32 s74, s73
	s_xor_b32 s73, exec_lo, s74
	s_cbranch_execz .LBB2_2111
; %bb.2009:                             ;   in Loop: Header=BB2_1771 Depth=4
	v_cmp_eq_u16_sdwa s75, v69, v103 src0_sel:BYTE_0 src1_sel:DWORD
	s_mov_b32 s16, -1
	s_and_saveexec_b32 s74, s75
; %bb.2010:                             ;   in Loop: Header=BB2_1771 Depth=4
	s_xor_b32 s16, exec_lo, -1
; %bb.2011:                             ;   in Loop: Header=BB2_1771 Depth=4
	s_or_b32 exec_lo, exec_lo, s74
	s_and_b32 s16, s16, exec_lo
	s_or_saveexec_b32 s73, s73
	v_mov_b32_e32 v81, 0x7f800001
	s_xor_b32 exec_lo, exec_lo, s73
	s_cbranch_execnz .LBB2_2112
.LBB2_2012:                             ;   in Loop: Header=BB2_1771 Depth=4
	s_or_b32 exec_lo, exec_lo, s73
	s_and_saveexec_b32 s73, s16
	s_cbranch_execz .LBB2_2014
.LBB2_2013:                             ;   in Loop: Header=BB2_1771 Depth=4
	v_and_b32_e32 v81, 7, v69
	v_lshrrev_b16 v72, 3, v69
	v_ffbh_u32_e32 v62, v81
	v_and_b32_e32 v72, 15, v72
	v_min_u32_e32 v62, 32, v62
	v_cmp_eq_u32_e32 vcc_lo, 0, v72
	v_subrev_nc_u32_e32 v73, 28, v62
	v_sub_nc_u32_e32 v62, 29, v62
	v_lshlrev_b32_e32 v73, v73, v69
	v_lshlrev_b32_e32 v69, 24, v69
	v_cndmask_b32_e32 v62, v72, v62, vcc_lo
	v_and_b32_e32 v73, 7, v73
	v_and_b32_e32 v69, 0x80000000, v69
	v_lshl_add_u32 v62, v62, 23, 0x3b800000
	v_cndmask_b32_e32 v81, v81, v73, vcc_lo
	v_lshlrev_b32_e32 v81, 20, v81
	v_or3_b32 v81, v69, v62, v81
.LBB2_2014:                             ;   in Loop: Header=BB2_1771 Depth=4
	s_or_b32 exec_lo, exec_lo, s73
	v_max_f32_e32 v69, v81, v81
	v_max_f32_e32 v81, v59, v59
	v_min_f32_e32 v59, v81, v69
.LBB2_2015:                             ;   in Loop: Header=BB2_1771 Depth=4
	s_waitcnt vmcnt(1) lgkmcnt(1)
	v_and_b32_e32 v69, 0x7f800000, v59
	v_cmp_ne_u32_e32 vcc_lo, 0x7f800000, v69
	v_mov_b32_e32 v69, 0x80
	s_and_saveexec_b32 s73, vcc_lo
	s_cbranch_execz .LBB2_2023
; %bb.2016:                             ;   in Loop: Header=BB2_1771 Depth=4
	v_mov_b32_e32 v69, 0
	s_mov_b32 s74, exec_lo
	v_cmpx_ne_u32_e32 0, v59
	s_cbranch_execz .LBB2_2022
; %bb.2017:                             ;   in Loop: Header=BB2_1771 Depth=4
	v_bfe_u32 v69, v59, 23, 8
	v_and_b32_e32 v81, 0x7fffff, v59
	v_sub_nc_u32_e32 v62, 0x78, v69
	v_cmp_gt_u32_e32 vcc_lo, 0x79, v69
	v_or_b32_e32 v72, 0x800000, v81
	v_cndmask_b32_e32 v62, 0, v62, vcc_lo
	v_cmp_eq_u32_e32 vcc_lo, 0, v69
	v_add_nc_u32_e32 v69, 0xffffff89, v69
	v_cndmask_b32_e64 v62, v62, 0x77, vcc_lo
	v_cndmask_b32_e32 v81, v72, v81, vcc_lo
	v_cndmask_b32_e64 v69, v69, 0xffffff8a, vcc_lo
	v_lshl_add_u32 v72, 0x100000, v62, -1
	v_lshrrev_b32_e32 v73, v62, v81
	v_lshlrev_b32_e64 v75, v62, 0x80000
	v_add_nc_u32_e32 v62, v62, v69
	v_and_b32_e32 v81, v72, v81
	v_bfe_u32 v74, v73, 20, 1
	v_cmp_eq_u32_e64 s16, v81, v75
	v_add_nc_u32_e32 v72, -1, v74
	v_cndmask_b32_e64 v81, 0, v72, s16
	v_lshrrev_b32_e32 v72, 23, v73
	s_mov_b32 s16, exec_lo
	v_add_nc_u32_e32 v81, v81, v73
	v_xor_b32_e32 v72, 1, v72
	v_and_b32_e32 v69, 0xfffff, v81
	v_add_nc_u32_e32 v81, v69, v73
                                        ; implicit-def: $vgpr69
	v_cmpx_ne_u32_e64 v62, v72
	s_xor_b32 s16, exec_lo, s16
; %bb.2018:                             ;   in Loop: Header=BB2_1771 Depth=4
	v_cmp_lt_u32_e32 vcc_lo, 0xffffff, v81
	v_sub_nc_u32_e32 v69, v62, v72
	v_cndmask_b32_e64 v62, 0, 1, vcc_lo
	v_add_co_ci_u32_e64 v69, null, 0, v69, vcc_lo
	v_lshrrev_b32_e32 v81, v62, v81
; %bb.2019:                             ;   in Loop: Header=BB2_1771 Depth=4
	s_andn2_saveexec_b32 s16, s16
; %bb.2020:                             ;   in Loop: Header=BB2_1771 Depth=4
	v_bfe_u32 v69, v81, 23, 1
; %bb.2021:                             ;   in Loop: Header=BB2_1771 Depth=4
	s_or_b32 exec_lo, exec_lo, s16
	v_lshrrev_b32_e32 v81, 20, v81
	v_cmp_gt_i32_e32 vcc_lo, 16, v69
	v_min_i32_e32 v62, 15, v69
	v_and_b32_sdwa v59, v59, v103 dst_sel:DWORD dst_unused:UNUSED_PAD src0_sel:BYTE_3 src1_sel:DWORD
	v_cndmask_b32_e32 v81, 7, v81, vcc_lo
	v_lshlrev_b32_e32 v62, 3, v62
	v_and_b32_e32 v72, 7, v81
	v_or_b32_e32 v69, v69, v81
	v_or3_b32 v81, v62, v59, v72
	v_cmp_ne_u32_e32 vcc_lo, 0, v69
	v_cndmask_b32_e32 v69, 0, v81, vcc_lo
.LBB2_2022:                             ;   in Loop: Header=BB2_1771 Depth=4
	s_or_b32 exec_lo, exec_lo, s74
.LBB2_2023:                             ;   in Loop: Header=BB2_1771 Depth=4
	s_or_b32 exec_lo, exec_lo, s73
	v_cmp_gt_i16_sdwa s73, v67, v102 src0_sel:BYTE_0 src1_sel:DWORD
	s_andn2_b32 vcc_lo, exec_lo, s63
	s_mov_b32 s16, -1
                                        ; implicit-def: $vgpr81
	s_cbranch_vccnz .LBB2_2037
; %bb.2024:                             ;   in Loop: Header=BB2_1771 Depth=4
	s_mov_b32 s16, 0
	s_and_saveexec_b32 s74, s73
	s_xor_b32 s73, exec_lo, s74
	s_cbranch_execz .LBB2_2113
; %bb.2025:                             ;   in Loop: Header=BB2_1771 Depth=4
	v_cmp_eq_u16_sdwa s75, v67, v103 src0_sel:BYTE_0 src1_sel:DWORD
	s_mov_b32 s16, -1
	s_and_saveexec_b32 s74, s75
; %bb.2026:                             ;   in Loop: Header=BB2_1771 Depth=4
	s_xor_b32 s16, exec_lo, -1
; %bb.2027:                             ;   in Loop: Header=BB2_1771 Depth=4
	s_or_b32 exec_lo, exec_lo, s74
	s_and_b32 s16, s16, exec_lo
	s_or_saveexec_b32 s73, s73
	v_mov_b32_e32 v81, 0x7f800001
	s_xor_b32 exec_lo, exec_lo, s73
	s_cbranch_execnz .LBB2_2114
.LBB2_2028:                             ;   in Loop: Header=BB2_1771 Depth=4
	s_or_b32 exec_lo, exec_lo, s73
	s_and_saveexec_b32 s73, s16
	s_cbranch_execz .LBB2_2030
.LBB2_2029:                             ;   in Loop: Header=BB2_1771 Depth=4
	v_and_b32_e32 v81, 7, v67
	v_lshrrev_b16 v62, 3, v67
	v_lshlrev_b32_e32 v73, 24, v67
	v_ffbh_u32_e32 v59, v81
	v_and_b32_e32 v62, 15, v62
	v_min_u32_e32 v59, 32, v59
	v_cmp_eq_u32_e32 vcc_lo, 0, v62
	v_subrev_nc_u32_e32 v72, 28, v59
	v_sub_nc_u32_e32 v59, 29, v59
	v_lshlrev_b32_e32 v72, v72, v67
	v_cndmask_b32_e32 v59, v62, v59, vcc_lo
	v_and_b32_e32 v62, 0x80000000, v73
	v_and_b32_e32 v72, 7, v72
	v_lshl_add_u32 v59, v59, 23, 0x3b800000
	v_cndmask_b32_e32 v81, v81, v72, vcc_lo
	v_lshlrev_b32_e32 v81, 20, v81
	v_or3_b32 v81, v62, v59, v81
.LBB2_2030:                             ;   in Loop: Header=BB2_1771 Depth=4
	s_or_b32 exec_lo, exec_lo, s73
	s_waitcnt vmcnt(0) lgkmcnt(0)
	v_cmp_gt_i16_sdwa s73, v66, v102 src0_sel:BYTE_0 src1_sel:DWORD
	s_mov_b32 s16, 0
	s_and_saveexec_b32 s74, s73
	s_xor_b32 s73, exec_lo, s74
	s_cbranch_execz .LBB2_2115
; %bb.2031:                             ;   in Loop: Header=BB2_1771 Depth=4
	v_cmp_eq_u16_sdwa s75, v66, v103 src0_sel:BYTE_0 src1_sel:DWORD
	s_mov_b32 s16, -1
	s_and_saveexec_b32 s74, s75
; %bb.2032:                             ;   in Loop: Header=BB2_1771 Depth=4
	s_xor_b32 s16, exec_lo, -1
; %bb.2033:                             ;   in Loop: Header=BB2_1771 Depth=4
	s_or_b32 exec_lo, exec_lo, s74
	s_and_b32 s16, s16, exec_lo
	s_or_saveexec_b32 s73, s73
	v_mov_b32_e32 v59, 0x7f800001
	s_xor_b32 exec_lo, exec_lo, s73
	s_cbranch_execnz .LBB2_2116
.LBB2_2034:                             ;   in Loop: Header=BB2_1771 Depth=4
	s_or_b32 exec_lo, exec_lo, s73
	s_and_saveexec_b32 s73, s16
	s_cbranch_execz .LBB2_2036
.LBB2_2035:                             ;   in Loop: Header=BB2_1771 Depth=4
	v_and_b32_e32 v59, 7, v66
	v_lshrrev_b16 v72, 3, v66
	v_lshlrev_b32_e32 v74, 24, v66
	v_ffbh_u32_e32 v62, v59
	v_and_b32_e32 v72, 15, v72
	v_min_u32_e32 v62, 32, v62
	v_cmp_eq_u32_e32 vcc_lo, 0, v72
	v_subrev_nc_u32_e32 v73, 28, v62
	v_sub_nc_u32_e32 v62, 29, v62
	v_lshlrev_b32_e32 v73, v73, v66
	v_cndmask_b32_e32 v62, v72, v62, vcc_lo
	v_and_b32_e32 v72, 0x80000000, v74
	v_and_b32_e32 v73, 7, v73
	v_lshl_add_u32 v62, v62, 23, 0x3b800000
	v_cndmask_b32_e32 v59, v59, v73, vcc_lo
	v_lshlrev_b32_e32 v59, 20, v59
	v_or3_b32 v59, v72, v62, v59
.LBB2_2036:                             ;   in Loop: Header=BB2_1771 Depth=4
	s_or_b32 exec_lo, exec_lo, s73
	v_max_f32_e32 v59, v59, v59
	v_max_f32_e32 v81, v81, v81
	s_mov_b32 s16, 0
	v_max_f32_e32 v81, v81, v59
.LBB2_2037:                             ;   in Loop: Header=BB2_1771 Depth=4
	s_and_b32 vcc_lo, exec_lo, s16
	s_cbranch_vccz .LBB2_2051
; %bb.2038:                             ;   in Loop: Header=BB2_1771 Depth=4
	v_cmp_gt_i16_sdwa s73, v67, v102 src0_sel:BYTE_0 src1_sel:DWORD
	s_mov_b32 s16, 0
	s_and_saveexec_b32 s74, s73
	s_xor_b32 s73, exec_lo, s74
	s_cbranch_execz .LBB2_2117
; %bb.2039:                             ;   in Loop: Header=BB2_1771 Depth=4
	v_cmp_eq_u16_sdwa s75, v67, v103 src0_sel:BYTE_0 src1_sel:DWORD
	s_mov_b32 s16, -1
	s_and_saveexec_b32 s74, s75
; %bb.2040:                             ;   in Loop: Header=BB2_1771 Depth=4
	s_xor_b32 s16, exec_lo, -1
; %bb.2041:                             ;   in Loop: Header=BB2_1771 Depth=4
	s_or_b32 exec_lo, exec_lo, s74
	s_and_b32 s16, s16, exec_lo
	s_or_saveexec_b32 s73, s73
	v_mov_b32_e32 v81, 0x7f800001
	s_xor_b32 exec_lo, exec_lo, s73
	s_cbranch_execnz .LBB2_2118
.LBB2_2042:                             ;   in Loop: Header=BB2_1771 Depth=4
	s_or_b32 exec_lo, exec_lo, s73
	s_and_saveexec_b32 s73, s16
	s_cbranch_execz .LBB2_2044
.LBB2_2043:                             ;   in Loop: Header=BB2_1771 Depth=4
	v_and_b32_e32 v81, 7, v67
	v_lshrrev_b16 v62, 3, v67
	v_ffbh_u32_e32 v59, v81
	v_and_b32_e32 v62, 15, v62
	v_min_u32_e32 v59, 32, v59
	v_cmp_eq_u32_e32 vcc_lo, 0, v62
	v_subrev_nc_u32_e32 v72, 28, v59
	v_sub_nc_u32_e32 v59, 29, v59
	v_lshlrev_b32_e32 v72, v72, v67
	v_lshlrev_b32_e32 v67, 24, v67
	v_cndmask_b32_e32 v59, v62, v59, vcc_lo
	v_and_b32_e32 v72, 7, v72
	v_and_b32_e32 v67, 0x80000000, v67
	v_lshl_add_u32 v59, v59, 23, 0x3b800000
	v_cndmask_b32_e32 v81, v81, v72, vcc_lo
	v_lshlrev_b32_e32 v81, 20, v81
	v_or3_b32 v81, v67, v59, v81
.LBB2_2044:                             ;   in Loop: Header=BB2_1771 Depth=4
	s_or_b32 exec_lo, exec_lo, s73
	s_waitcnt vmcnt(0) lgkmcnt(0)
	v_cmp_gt_i16_sdwa s73, v66, v102 src0_sel:BYTE_0 src1_sel:DWORD
	s_mov_b32 s16, 0
	s_and_saveexec_b32 s74, s73
	s_xor_b32 s73, exec_lo, s74
	s_cbranch_execz .LBB2_2119
; %bb.2045:                             ;   in Loop: Header=BB2_1771 Depth=4
	v_cmp_eq_u16_sdwa s75, v66, v103 src0_sel:BYTE_0 src1_sel:DWORD
	s_mov_b32 s16, -1
	s_and_saveexec_b32 s74, s75
; %bb.2046:                             ;   in Loop: Header=BB2_1771 Depth=4
	s_xor_b32 s16, exec_lo, -1
; %bb.2047:                             ;   in Loop: Header=BB2_1771 Depth=4
	s_or_b32 exec_lo, exec_lo, s74
	s_and_b32 s16, s16, exec_lo
	s_or_saveexec_b32 s73, s73
	v_mov_b32_e32 v67, 0x7f800001
	s_xor_b32 exec_lo, exec_lo, s73
	s_cbranch_execnz .LBB2_2120
.LBB2_2048:                             ;   in Loop: Header=BB2_1771 Depth=4
	s_or_b32 exec_lo, exec_lo, s73
	s_and_saveexec_b32 s73, s16
	s_cbranch_execz .LBB2_2050
.LBB2_2049:                             ;   in Loop: Header=BB2_1771 Depth=4
	v_and_b32_e32 v67, 7, v66
	v_lshrrev_b16 v62, 3, v66
	v_ffbh_u32_e32 v59, v67
	v_and_b32_e32 v62, 15, v62
	v_min_u32_e32 v59, 32, v59
	v_cmp_eq_u32_e32 vcc_lo, 0, v62
	v_subrev_nc_u32_e32 v72, 28, v59
	v_sub_nc_u32_e32 v59, 29, v59
	v_lshlrev_b32_e32 v72, v72, v66
	v_lshlrev_b32_e32 v66, 24, v66
	v_cndmask_b32_e32 v59, v62, v59, vcc_lo
	v_and_b32_e32 v72, 7, v72
	v_and_b32_e32 v66, 0x80000000, v66
	v_lshl_add_u32 v59, v59, 23, 0x3b800000
	v_cndmask_b32_e32 v67, v67, v72, vcc_lo
	v_lshlrev_b32_e32 v67, 20, v67
	v_or3_b32 v67, v66, v59, v67
.LBB2_2050:                             ;   in Loop: Header=BB2_1771 Depth=4
	s_or_b32 exec_lo, exec_lo, s73
	v_max_f32_e32 v66, v67, v67
	v_max_f32_e32 v67, v81, v81
	v_min_f32_e32 v81, v67, v66
.LBB2_2051:                             ;   in Loop: Header=BB2_1771 Depth=4
	s_waitcnt vmcnt(0) lgkmcnt(0)
	v_and_b32_e32 v66, 0x7f800000, v81
	v_cmp_ne_u32_e32 vcc_lo, 0x7f800000, v66
	v_mov_b32_e32 v66, 0x80
	s_and_saveexec_b32 s73, vcc_lo
	s_cbranch_execz .LBB2_1770
; %bb.2052:                             ;   in Loop: Header=BB2_1771 Depth=4
	v_mov_b32_e32 v66, 0
	s_mov_b32 s74, exec_lo
	v_cmpx_ne_u32_e32 0, v81
	s_cbranch_execz .LBB2_1769
; %bb.2053:                             ;   in Loop: Header=BB2_1771 Depth=4
	v_bfe_u32 v66, v81, 23, 8
	v_and_b32_e32 v67, 0x7fffff, v81
	v_sub_nc_u32_e32 v59, 0x78, v66
	v_cmp_gt_u32_e32 vcc_lo, 0x79, v66
	v_or_b32_e32 v62, 0x800000, v67
	v_cndmask_b32_e32 v59, 0, v59, vcc_lo
	v_cmp_eq_u32_e32 vcc_lo, 0, v66
	v_add_nc_u32_e32 v66, 0xffffff89, v66
	v_cndmask_b32_e64 v59, v59, 0x77, vcc_lo
	v_cndmask_b32_e32 v67, v62, v67, vcc_lo
	v_cndmask_b32_e64 v66, v66, 0xffffff8a, vcc_lo
	v_lshl_add_u32 v62, 0x100000, v59, -1
	v_lshrrev_b32_e32 v72, v59, v67
	v_lshlrev_b32_e64 v74, v59, 0x80000
	v_add_nc_u32_e32 v59, v59, v66
	v_and_b32_e32 v67, v62, v67
	v_bfe_u32 v73, v72, 20, 1
	v_cmp_eq_u32_e64 s16, v67, v74
	v_add_nc_u32_e32 v62, -1, v73
	v_cndmask_b32_e64 v67, 0, v62, s16
	v_lshrrev_b32_e32 v62, 23, v72
	s_mov_b32 s16, exec_lo
	v_add_nc_u32_e32 v67, v67, v72
	v_xor_b32_e32 v62, 1, v62
	v_and_b32_e32 v66, 0xfffff, v67
	v_add_nc_u32_e32 v67, v66, v72
                                        ; implicit-def: $vgpr66
	v_cmpx_ne_u32_e64 v59, v62
	s_xor_b32 s16, exec_lo, s16
; %bb.2054:                             ;   in Loop: Header=BB2_1771 Depth=4
	v_cmp_lt_u32_e32 vcc_lo, 0xffffff, v67
	v_sub_nc_u32_e32 v66, v59, v62
	v_cndmask_b32_e64 v59, 0, 1, vcc_lo
	v_add_co_ci_u32_e64 v66, null, 0, v66, vcc_lo
	v_lshrrev_b32_e32 v67, v59, v67
; %bb.2055:                             ;   in Loop: Header=BB2_1771 Depth=4
	s_andn2_saveexec_b32 s16, s16
	s_cbranch_execz .LBB2_1768
; %bb.2056:                             ;   in Loop: Header=BB2_1771 Depth=4
	v_bfe_u32 v66, v67, 23, 1
	s_branch .LBB2_1768
.LBB2_2057:                             ;   in Loop: Header=BB2_1771 Depth=4
	s_or_saveexec_b32 s73, s73
	v_mov_b32_e32 v76, 0x7f800001
	s_xor_b32 exec_lo, exec_lo, s73
	s_cbranch_execz .LBB2_1776
.LBB2_2058:                             ;   in Loop: Header=BB2_1771 Depth=4
	v_cmp_ne_u16_sdwa s74, v75, v2 src0_sel:BYTE_0 src1_sel:DWORD
	v_mov_b32_e32 v76, 0
	s_andn2_b32 s16, s16, exec_lo
	s_and_b32 s74, s74, exec_lo
	s_or_b32 s16, s16, s74
	s_or_b32 exec_lo, exec_lo, s73
	s_and_saveexec_b32 s73, s16
	s_cbranch_execnz .LBB2_1777
	s_branch .LBB2_1778
.LBB2_2059:                             ;   in Loop: Header=BB2_1771 Depth=4
	s_or_saveexec_b32 s73, s73
	v_mov_b32_e32 v77, 0x7f800001
	s_xor_b32 exec_lo, exec_lo, s73
	s_cbranch_execz .LBB2_1782
.LBB2_2060:                             ;   in Loop: Header=BB2_1771 Depth=4
	v_cmp_ne_u16_sdwa s74, v68, v2 src0_sel:BYTE_0 src1_sel:DWORD
	v_mov_b32_e32 v77, 0
	s_andn2_b32 s16, s16, exec_lo
	s_and_b32 s74, s74, exec_lo
	s_or_b32 s16, s16, s74
	s_or_b32 exec_lo, exec_lo, s73
	s_and_saveexec_b32 s73, s16
	s_cbranch_execnz .LBB2_1783
	s_branch .LBB2_1784
.LBB2_2061:                             ;   in Loop: Header=BB2_1771 Depth=4
	s_or_saveexec_b32 s73, s73
	v_mov_b32_e32 v76, 0x7f800001
	s_xor_b32 exec_lo, exec_lo, s73
	s_cbranch_execz .LBB2_1790
.LBB2_2062:                             ;   in Loop: Header=BB2_1771 Depth=4
	v_cmp_ne_u16_sdwa s74, v75, v2 src0_sel:BYTE_0 src1_sel:DWORD
	v_mov_b32_e32 v76, 0
	s_andn2_b32 s16, s16, exec_lo
	s_and_b32 s74, s74, exec_lo
	s_or_b32 s16, s16, s74
	s_or_b32 exec_lo, exec_lo, s73
	s_and_saveexec_b32 s73, s16
	s_cbranch_execnz .LBB2_1791
	s_branch .LBB2_1792
.LBB2_2063:                             ;   in Loop: Header=BB2_1771 Depth=4
	s_or_saveexec_b32 s73, s73
	v_mov_b32_e32 v75, 0x7f800001
	s_xor_b32 exec_lo, exec_lo, s73
	s_cbranch_execz .LBB2_1796
.LBB2_2064:                             ;   in Loop: Header=BB2_1771 Depth=4
	v_cmp_ne_u16_sdwa s74, v68, v2 src0_sel:BYTE_0 src1_sel:DWORD
	v_mov_b32_e32 v75, 0
	s_andn2_b32 s16, s16, exec_lo
	s_and_b32 s74, s74, exec_lo
	s_or_b32 s16, s16, s74
	s_or_b32 exec_lo, exec_lo, s73
	s_and_saveexec_b32 s73, s16
	s_cbranch_execnz .LBB2_1797
	s_branch .LBB2_1798
.LBB2_2065:                             ;   in Loop: Header=BB2_1771 Depth=4
	s_or_saveexec_b32 s73, s73
	v_mov_b32_e32 v75, 0x7f800001
	s_xor_b32 exec_lo, exec_lo, s73
	s_cbranch_execz .LBB2_1812
.LBB2_2066:                             ;   in Loop: Header=BB2_1771 Depth=4
	v_cmp_ne_u16_sdwa s74, v74, v2 src0_sel:BYTE_0 src1_sel:DWORD
	v_mov_b32_e32 v75, 0
	s_andn2_b32 s16, s16, exec_lo
	s_and_b32 s74, s74, exec_lo
	s_or_b32 s16, s16, s74
	s_or_b32 exec_lo, exec_lo, s73
	s_and_saveexec_b32 s73, s16
	s_cbranch_execnz .LBB2_1813
	s_branch .LBB2_1814
.LBB2_2067:                             ;   in Loop: Header=BB2_1771 Depth=4
	s_or_saveexec_b32 s73, s73
	v_mov_b32_e32 v76, 0x7f800001
	s_xor_b32 exec_lo, exec_lo, s73
	s_cbranch_execz .LBB2_1818
.LBB2_2068:                             ;   in Loop: Header=BB2_1771 Depth=4
	v_cmp_ne_u16_sdwa s74, v82, v2 src0_sel:BYTE_0 src1_sel:DWORD
	v_mov_b32_e32 v76, 0
	s_andn2_b32 s16, s16, exec_lo
	s_and_b32 s74, s74, exec_lo
	s_or_b32 s16, s16, s74
	s_or_b32 exec_lo, exec_lo, s73
	s_and_saveexec_b32 s73, s16
	s_cbranch_execnz .LBB2_1819
	s_branch .LBB2_1820
.LBB2_2069:                             ;   in Loop: Header=BB2_1771 Depth=4
	s_or_saveexec_b32 s73, s73
	v_mov_b32_e32 v75, 0x7f800001
	s_xor_b32 exec_lo, exec_lo, s73
	s_cbranch_execz .LBB2_1826
.LBB2_2070:                             ;   in Loop: Header=BB2_1771 Depth=4
	v_cmp_ne_u16_sdwa s74, v74, v2 src0_sel:BYTE_0 src1_sel:DWORD
	v_mov_b32_e32 v75, 0
	s_andn2_b32 s16, s16, exec_lo
	s_and_b32 s74, s74, exec_lo
	s_or_b32 s16, s16, s74
	s_or_b32 exec_lo, exec_lo, s73
	s_and_saveexec_b32 s73, s16
	s_cbranch_execnz .LBB2_1827
	s_branch .LBB2_1828
.LBB2_2071:                             ;   in Loop: Header=BB2_1771 Depth=4
	s_or_saveexec_b32 s73, s73
	v_mov_b32_e32 v74, 0x7f800001
	s_xor_b32 exec_lo, exec_lo, s73
	s_cbranch_execz .LBB2_1832
.LBB2_2072:                             ;   in Loop: Header=BB2_1771 Depth=4
	v_cmp_ne_u16_sdwa s74, v82, v2 src0_sel:BYTE_0 src1_sel:DWORD
	v_mov_b32_e32 v74, 0
	s_andn2_b32 s16, s16, exec_lo
	s_and_b32 s74, s74, exec_lo
	s_or_b32 s16, s16, s74
	s_or_b32 exec_lo, exec_lo, s73
	s_and_saveexec_b32 s73, s16
	s_cbranch_execnz .LBB2_1833
	s_branch .LBB2_1834
.LBB2_2073:                             ;   in Loop: Header=BB2_1771 Depth=4
	s_or_saveexec_b32 s73, s73
	v_mov_b32_e32 v74, 0x7f800001
	s_xor_b32 exec_lo, exec_lo, s73
	s_cbranch_execz .LBB2_1848
.LBB2_2074:                             ;   in Loop: Header=BB2_1771 Depth=4
	v_cmp_ne_u16_sdwa s74, v73, v2 src0_sel:BYTE_0 src1_sel:DWORD
	v_mov_b32_e32 v74, 0
	s_andn2_b32 s16, s16, exec_lo
	s_and_b32 s74, s74, exec_lo
	s_or_b32 s16, s16, s74
	s_or_b32 exec_lo, exec_lo, s73
	s_and_saveexec_b32 s73, s16
	s_cbranch_execnz .LBB2_1849
	s_branch .LBB2_1850
.LBB2_2075:                             ;   in Loop: Header=BB2_1771 Depth=4
	s_or_saveexec_b32 s73, s73
	v_mov_b32_e32 v75, 0x7f800001
	s_xor_b32 exec_lo, exec_lo, s73
	s_cbranch_execz .LBB2_1854
.LBB2_2076:                             ;   in Loop: Header=BB2_1771 Depth=4
	v_cmp_ne_u16_sdwa s74, v60, v2 src0_sel:BYTE_0 src1_sel:DWORD
	v_mov_b32_e32 v75, 0
	s_andn2_b32 s16, s16, exec_lo
	s_and_b32 s74, s74, exec_lo
	s_or_b32 s16, s16, s74
	s_or_b32 exec_lo, exec_lo, s73
	s_and_saveexec_b32 s73, s16
	s_cbranch_execnz .LBB2_1855
	s_branch .LBB2_1856
.LBB2_2077:                             ;   in Loop: Header=BB2_1771 Depth=4
	s_or_saveexec_b32 s73, s73
	v_mov_b32_e32 v74, 0x7f800001
	s_xor_b32 exec_lo, exec_lo, s73
	s_cbranch_execz .LBB2_1862
.LBB2_2078:                             ;   in Loop: Header=BB2_1771 Depth=4
	v_cmp_ne_u16_sdwa s74, v73, v2 src0_sel:BYTE_0 src1_sel:DWORD
	v_mov_b32_e32 v74, 0
	s_andn2_b32 s16, s16, exec_lo
	s_and_b32 s74, s74, exec_lo
	s_or_b32 s16, s16, s74
	s_or_b32 exec_lo, exec_lo, s73
	s_and_saveexec_b32 s73, s16
	s_cbranch_execnz .LBB2_1863
	s_branch .LBB2_1864
.LBB2_2079:                             ;   in Loop: Header=BB2_1771 Depth=4
	s_or_saveexec_b32 s73, s73
	v_mov_b32_e32 v73, 0x7f800001
	s_xor_b32 exec_lo, exec_lo, s73
	s_cbranch_execz .LBB2_1868
.LBB2_2080:                             ;   in Loop: Header=BB2_1771 Depth=4
	v_cmp_ne_u16_sdwa s74, v60, v2 src0_sel:BYTE_0 src1_sel:DWORD
	v_mov_b32_e32 v73, 0
	s_andn2_b32 s16, s16, exec_lo
	s_and_b32 s74, s74, exec_lo
	s_or_b32 s16, s16, s74
	s_or_b32 exec_lo, exec_lo, s73
	s_and_saveexec_b32 s73, s16
	s_cbranch_execnz .LBB2_1869
	s_branch .LBB2_1870
.LBB2_2081:                             ;   in Loop: Header=BB2_1771 Depth=4
	s_or_saveexec_b32 s73, s73
	v_mov_b32_e32 v73, 0x7f800001
	s_xor_b32 exec_lo, exec_lo, s73
	s_cbranch_execz .LBB2_1884
.LBB2_2082:                             ;   in Loop: Header=BB2_1771 Depth=4
	v_cmp_ne_u16_sdwa s74, v72, v2 src0_sel:BYTE_0 src1_sel:DWORD
	v_mov_b32_e32 v73, 0
	s_andn2_b32 s16, s16, exec_lo
	s_and_b32 s74, s74, exec_lo
	s_or_b32 s16, s16, s74
	s_or_b32 exec_lo, exec_lo, s73
	s_and_saveexec_b32 s73, s16
	s_cbranch_execnz .LBB2_1885
	s_branch .LBB2_1886
.LBB2_2083:                             ;   in Loop: Header=BB2_1771 Depth=4
	s_or_saveexec_b32 s73, s73
	v_mov_b32_e32 v74, 0x7f800001
	s_xor_b32 exec_lo, exec_lo, s73
	s_cbranch_execz .LBB2_1890
.LBB2_2084:                             ;   in Loop: Header=BB2_1771 Depth=4
	v_cmp_ne_u16_sdwa s74, v63, v2 src0_sel:BYTE_0 src1_sel:DWORD
	v_mov_b32_e32 v74, 0
	s_andn2_b32 s16, s16, exec_lo
	s_and_b32 s74, s74, exec_lo
	s_or_b32 s16, s16, s74
	s_or_b32 exec_lo, exec_lo, s73
	s_and_saveexec_b32 s73, s16
	s_cbranch_execnz .LBB2_1891
	s_branch .LBB2_1892
.LBB2_2085:                             ;   in Loop: Header=BB2_1771 Depth=4
	s_or_saveexec_b32 s73, s73
	v_mov_b32_e32 v73, 0x7f800001
	s_xor_b32 exec_lo, exec_lo, s73
	s_cbranch_execz .LBB2_1898
.LBB2_2086:                             ;   in Loop: Header=BB2_1771 Depth=4
	v_cmp_ne_u16_sdwa s74, v72, v2 src0_sel:BYTE_0 src1_sel:DWORD
	v_mov_b32_e32 v73, 0
	s_andn2_b32 s16, s16, exec_lo
	s_and_b32 s74, s74, exec_lo
	s_or_b32 s16, s16, s74
	s_or_b32 exec_lo, exec_lo, s73
	s_and_saveexec_b32 s73, s16
	s_cbranch_execnz .LBB2_1899
	s_branch .LBB2_1900
.LBB2_2087:                             ;   in Loop: Header=BB2_1771 Depth=4
	s_or_saveexec_b32 s73, s73
	v_mov_b32_e32 v72, 0x7f800001
	s_xor_b32 exec_lo, exec_lo, s73
	s_cbranch_execz .LBB2_1904
.LBB2_2088:                             ;   in Loop: Header=BB2_1771 Depth=4
	v_cmp_ne_u16_sdwa s74, v63, v2 src0_sel:BYTE_0 src1_sel:DWORD
	v_mov_b32_e32 v72, 0
	s_andn2_b32 s16, s16, exec_lo
	s_and_b32 s74, s74, exec_lo
	s_or_b32 s16, s16, s74
	s_or_b32 exec_lo, exec_lo, s73
	s_and_saveexec_b32 s73, s16
	s_cbranch_execnz .LBB2_1905
	s_branch .LBB2_1906
.LBB2_2089:                             ;   in Loop: Header=BB2_1771 Depth=4
	s_or_saveexec_b32 s73, s73
	v_mov_b32_e32 v72, 0x7f800001
	s_xor_b32 exec_lo, exec_lo, s73
	s_cbranch_execz .LBB2_1920
.LBB2_2090:                             ;   in Loop: Header=BB2_1771 Depth=4
	v_cmp_ne_u16_sdwa s74, v62, v2 src0_sel:BYTE_0 src1_sel:DWORD
	v_mov_b32_e32 v72, 0
	s_andn2_b32 s16, s16, exec_lo
	s_and_b32 s74, s74, exec_lo
	s_or_b32 s16, s16, s74
	s_or_b32 exec_lo, exec_lo, s73
	s_and_saveexec_b32 s73, s16
	s_cbranch_execnz .LBB2_1921
	s_branch .LBB2_1922
.LBB2_2091:                             ;   in Loop: Header=BB2_1771 Depth=4
	s_or_saveexec_b32 s73, s73
	v_mov_b32_e32 v73, 0x7f800001
	s_xor_b32 exec_lo, exec_lo, s73
	s_cbranch_execz .LBB2_1926
.LBB2_2092:                             ;   in Loop: Header=BB2_1771 Depth=4
	v_cmp_ne_u16_sdwa s74, v61, v2 src0_sel:BYTE_0 src1_sel:DWORD
	v_mov_b32_e32 v73, 0
	s_andn2_b32 s16, s16, exec_lo
	s_and_b32 s74, s74, exec_lo
	s_or_b32 s16, s16, s74
	s_or_b32 exec_lo, exec_lo, s73
	s_and_saveexec_b32 s73, s16
	s_cbranch_execnz .LBB2_1927
	s_branch .LBB2_1928
.LBB2_2093:                             ;   in Loop: Header=BB2_1771 Depth=4
	s_or_saveexec_b32 s73, s73
	v_mov_b32_e32 v72, 0x7f800001
	s_xor_b32 exec_lo, exec_lo, s73
	s_cbranch_execz .LBB2_1934
.LBB2_2094:                             ;   in Loop: Header=BB2_1771 Depth=4
	v_cmp_ne_u16_sdwa s74, v62, v2 src0_sel:BYTE_0 src1_sel:DWORD
	v_mov_b32_e32 v72, 0
	s_andn2_b32 s16, s16, exec_lo
	s_and_b32 s74, s74, exec_lo
	s_or_b32 s16, s16, s74
	s_or_b32 exec_lo, exec_lo, s73
	s_and_saveexec_b32 s73, s16
	s_cbranch_execnz .LBB2_1935
	s_branch .LBB2_1936
.LBB2_2095:                             ;   in Loop: Header=BB2_1771 Depth=4
	s_or_saveexec_b32 s73, s73
	v_mov_b32_e32 v62, 0x7f800001
	s_xor_b32 exec_lo, exec_lo, s73
	s_cbranch_execz .LBB2_1940
.LBB2_2096:                             ;   in Loop: Header=BB2_1771 Depth=4
	v_cmp_ne_u16_sdwa s74, v61, v2 src0_sel:BYTE_0 src1_sel:DWORD
	v_mov_b32_e32 v62, 0
	s_andn2_b32 s16, s16, exec_lo
	s_and_b32 s74, s74, exec_lo
	s_or_b32 s16, s16, s74
	s_or_b32 exec_lo, exec_lo, s73
	s_and_saveexec_b32 s73, s16
	s_cbranch_execnz .LBB2_1941
	s_branch .LBB2_1942
.LBB2_2097:                             ;   in Loop: Header=BB2_1771 Depth=4
	s_or_saveexec_b32 s73, s73
	v_mov_b32_e32 v62, 0x7f800001
	s_xor_b32 exec_lo, exec_lo, s73
	s_cbranch_execz .LBB2_1956
.LBB2_2098:                             ;   in Loop: Header=BB2_1771 Depth=4
	v_cmp_ne_u16_sdwa s74, v59, v2 src0_sel:BYTE_0 src1_sel:DWORD
	v_mov_b32_e32 v62, 0
	s_andn2_b32 s16, s16, exec_lo
	s_and_b32 s74, s74, exec_lo
	s_or_b32 s16, s16, s74
	s_or_b32 exec_lo, exec_lo, s73
	s_and_saveexec_b32 s73, s16
	s_cbranch_execnz .LBB2_1957
	s_branch .LBB2_1958
.LBB2_2099:                             ;   in Loop: Header=BB2_1771 Depth=4
	s_or_saveexec_b32 s73, s73
	v_mov_b32_e32 v72, 0x7f800001
	s_xor_b32 exec_lo, exec_lo, s73
	s_cbranch_execz .LBB2_1962
.LBB2_2100:                             ;   in Loop: Header=BB2_1771 Depth=4
	v_cmp_ne_u16_sdwa s74, v83, v2 src0_sel:BYTE_0 src1_sel:DWORD
	v_mov_b32_e32 v72, 0
	s_andn2_b32 s16, s16, exec_lo
	s_and_b32 s74, s74, exec_lo
	s_or_b32 s16, s16, s74
	s_or_b32 exec_lo, exec_lo, s73
	s_and_saveexec_b32 s73, s16
	s_cbranch_execnz .LBB2_1963
	s_branch .LBB2_1964
.LBB2_2101:                             ;   in Loop: Header=BB2_1771 Depth=4
	s_or_saveexec_b32 s73, s73
	v_mov_b32_e32 v62, 0x7f800001
	s_xor_b32 exec_lo, exec_lo, s73
	s_cbranch_execz .LBB2_1970
.LBB2_2102:                             ;   in Loop: Header=BB2_1771 Depth=4
	v_cmp_ne_u16_sdwa s74, v59, v2 src0_sel:BYTE_0 src1_sel:DWORD
	v_mov_b32_e32 v62, 0
	s_andn2_b32 s16, s16, exec_lo
	s_and_b32 s74, s74, exec_lo
	s_or_b32 s16, s16, s74
	s_or_b32 exec_lo, exec_lo, s73
	s_and_saveexec_b32 s73, s16
	s_cbranch_execnz .LBB2_1971
	s_branch .LBB2_1972
.LBB2_2103:                             ;   in Loop: Header=BB2_1771 Depth=4
	s_or_saveexec_b32 s73, s73
	v_mov_b32_e32 v59, 0x7f800001
	s_xor_b32 exec_lo, exec_lo, s73
	s_cbranch_execz .LBB2_1976
.LBB2_2104:                             ;   in Loop: Header=BB2_1771 Depth=4
	v_cmp_ne_u16_sdwa s74, v83, v2 src0_sel:BYTE_0 src1_sel:DWORD
	v_mov_b32_e32 v59, 0
	s_andn2_b32 s16, s16, exec_lo
	s_and_b32 s74, s74, exec_lo
	s_or_b32 s16, s16, s74
	s_or_b32 exec_lo, exec_lo, s73
	s_and_saveexec_b32 s73, s16
	s_cbranch_execnz .LBB2_1977
	s_branch .LBB2_1978
.LBB2_2105:                             ;   in Loop: Header=BB2_1771 Depth=4
	s_or_saveexec_b32 s73, s73
	v_mov_b32_e32 v59, 0x7f800001
	s_xor_b32 exec_lo, exec_lo, s73
	s_cbranch_execz .LBB2_1992
.LBB2_2106:                             ;   in Loop: Header=BB2_1771 Depth=4
	v_cmp_ne_u16_sdwa s74, v81, v2 src0_sel:BYTE_0 src1_sel:DWORD
	v_mov_b32_e32 v59, 0
	s_andn2_b32 s16, s16, exec_lo
	s_and_b32 s74, s74, exec_lo
	s_or_b32 s16, s16, s74
	s_or_b32 exec_lo, exec_lo, s73
	s_and_saveexec_b32 s73, s16
	s_cbranch_execnz .LBB2_1993
	s_branch .LBB2_1994
.LBB2_2107:                             ;   in Loop: Header=BB2_1771 Depth=4
	s_or_saveexec_b32 s73, s73
	v_mov_b32_e32 v62, 0x7f800001
	s_xor_b32 exec_lo, exec_lo, s73
	s_cbranch_execz .LBB2_1998
.LBB2_2108:                             ;   in Loop: Header=BB2_1771 Depth=4
	v_cmp_ne_u16_sdwa s74, v69, v2 src0_sel:BYTE_0 src1_sel:DWORD
	v_mov_b32_e32 v62, 0
	s_andn2_b32 s16, s16, exec_lo
	s_and_b32 s74, s74, exec_lo
	s_or_b32 s16, s16, s74
	s_or_b32 exec_lo, exec_lo, s73
	s_and_saveexec_b32 s73, s16
	s_cbranch_execnz .LBB2_1999
	s_branch .LBB2_2000
.LBB2_2109:                             ;   in Loop: Header=BB2_1771 Depth=4
	s_or_saveexec_b32 s73, s73
	v_mov_b32_e32 v59, 0x7f800001
	s_xor_b32 exec_lo, exec_lo, s73
	s_cbranch_execz .LBB2_2006
.LBB2_2110:                             ;   in Loop: Header=BB2_1771 Depth=4
	v_cmp_ne_u16_sdwa s74, v81, v2 src0_sel:BYTE_0 src1_sel:DWORD
	v_mov_b32_e32 v59, 0
	s_andn2_b32 s16, s16, exec_lo
	s_and_b32 s74, s74, exec_lo
	s_or_b32 s16, s16, s74
	s_or_b32 exec_lo, exec_lo, s73
	s_and_saveexec_b32 s73, s16
	s_cbranch_execnz .LBB2_2007
	s_branch .LBB2_2008
.LBB2_2111:                             ;   in Loop: Header=BB2_1771 Depth=4
	s_or_saveexec_b32 s73, s73
	v_mov_b32_e32 v81, 0x7f800001
	s_xor_b32 exec_lo, exec_lo, s73
	s_cbranch_execz .LBB2_2012
.LBB2_2112:                             ;   in Loop: Header=BB2_1771 Depth=4
	v_cmp_ne_u16_sdwa s74, v69, v2 src0_sel:BYTE_0 src1_sel:DWORD
	v_mov_b32_e32 v81, 0
	s_andn2_b32 s16, s16, exec_lo
	s_and_b32 s74, s74, exec_lo
	s_or_b32 s16, s16, s74
	s_or_b32 exec_lo, exec_lo, s73
	s_and_saveexec_b32 s73, s16
	s_cbranch_execnz .LBB2_2013
	s_branch .LBB2_2014
.LBB2_2113:                             ;   in Loop: Header=BB2_1771 Depth=4
	s_or_saveexec_b32 s73, s73
	v_mov_b32_e32 v81, 0x7f800001
	s_xor_b32 exec_lo, exec_lo, s73
	s_cbranch_execz .LBB2_2028
.LBB2_2114:                             ;   in Loop: Header=BB2_1771 Depth=4
	v_cmp_ne_u16_sdwa s74, v67, v2 src0_sel:BYTE_0 src1_sel:DWORD
	v_mov_b32_e32 v81, 0
	s_andn2_b32 s16, s16, exec_lo
	s_and_b32 s74, s74, exec_lo
	s_or_b32 s16, s16, s74
	s_or_b32 exec_lo, exec_lo, s73
	s_and_saveexec_b32 s73, s16
	s_cbranch_execnz .LBB2_2029
	s_branch .LBB2_2030
.LBB2_2115:                             ;   in Loop: Header=BB2_1771 Depth=4
	s_or_saveexec_b32 s73, s73
	v_mov_b32_e32 v59, 0x7f800001
	s_xor_b32 exec_lo, exec_lo, s73
	s_cbranch_execz .LBB2_2034
.LBB2_2116:                             ;   in Loop: Header=BB2_1771 Depth=4
	v_cmp_ne_u16_sdwa s74, v66, v2 src0_sel:BYTE_0 src1_sel:DWORD
	v_mov_b32_e32 v59, 0
	s_andn2_b32 s16, s16, exec_lo
	s_and_b32 s74, s74, exec_lo
	s_or_b32 s16, s16, s74
	s_or_b32 exec_lo, exec_lo, s73
	s_and_saveexec_b32 s73, s16
	s_cbranch_execnz .LBB2_2035
	s_branch .LBB2_2036
.LBB2_2117:                             ;   in Loop: Header=BB2_1771 Depth=4
	s_or_saveexec_b32 s73, s73
	v_mov_b32_e32 v81, 0x7f800001
	s_xor_b32 exec_lo, exec_lo, s73
	s_cbranch_execz .LBB2_2042
.LBB2_2118:                             ;   in Loop: Header=BB2_1771 Depth=4
	v_cmp_ne_u16_sdwa s74, v67, v2 src0_sel:BYTE_0 src1_sel:DWORD
	v_mov_b32_e32 v81, 0
	s_andn2_b32 s16, s16, exec_lo
	s_and_b32 s74, s74, exec_lo
	s_or_b32 s16, s16, s74
	s_or_b32 exec_lo, exec_lo, s73
	s_and_saveexec_b32 s73, s16
	s_cbranch_execnz .LBB2_2043
	s_branch .LBB2_2044
.LBB2_2119:                             ;   in Loop: Header=BB2_1771 Depth=4
	s_or_saveexec_b32 s73, s73
	v_mov_b32_e32 v67, 0x7f800001
	s_xor_b32 exec_lo, exec_lo, s73
	s_cbranch_execz .LBB2_2048
.LBB2_2120:                             ;   in Loop: Header=BB2_1771 Depth=4
	v_cmp_ne_u16_sdwa s74, v66, v2 src0_sel:BYTE_0 src1_sel:DWORD
	v_mov_b32_e32 v67, 0
	s_andn2_b32 s16, s16, exec_lo
	s_and_b32 s74, s74, exec_lo
	s_or_b32 s16, s16, s74
	s_or_b32 exec_lo, exec_lo, s73
	s_and_saveexec_b32 s73, s16
	s_cbranch_execnz .LBB2_2049
	s_branch .LBB2_2050
.LBB2_2121:                             ;   in Loop: Header=BB2_272 Depth=3
	s_or_b32 exec_lo, exec_lo, s72
.LBB2_2122:                             ;   in Loop: Header=BB2_272 Depth=3
	s_or_b32 exec_lo, exec_lo, s62
	v_lshlrev_b32_e32 v8, 8, v80
	v_cmp_ne_u32_e32 vcc_lo, v15, v8
	s_and_b32 exec_lo, exec_lo, vcc_lo
	s_cbranch_execz .LBB2_2170
; %bb.2123:                             ;   in Loop: Header=BB2_272 Depth=3
	v_lshlrev_b32_e32 v9, 5, v55
	v_lshlrev_b32_e32 v10, 5, v71
	v_sub_nc_u32_e32 v9, v70, v9
	v_sub_nc_u32_e32 v9, v9, v10
	v_add_nc_u32_e32 v8, v8, v9
	v_sub_nc_u32_e32 v15, v15, v8
	v_cmp_lt_i32_e32 vcc_lo, 0, v15
	s_and_b32 exec_lo, exec_lo, vcc_lo
	s_cbranch_execz .LBB2_2170
; %bb.2124:                             ;   in Loop: Header=BB2_272 Depth=3
	s_trap 2
	ds_read_b128 v[9:12], v0
	ds_read_b64 v[66:67], v0
	v_add_nc_u32_e32 v13, v8, v14
	s_bitcmp1_b32 s61, 0
	s_mov_b32 s61, 0
	s_cselect_b32 s62, -1, 0
	v_ashrrev_i32_e32 v14, 31, v13
	s_waitcnt lgkmcnt(1)
	v_add_co_u32 v8, vcc_lo, v9, v13
	v_add_co_ci_u32_e64 v9, null, v10, v14, vcc_lo
	v_add_co_u32 v10, vcc_lo, v11, v13
	v_add_co_ci_u32_e64 v11, null, v12, v14, vcc_lo
	s_waitcnt lgkmcnt(0)
	v_add_co_u32 v12, vcc_lo, v66, v13
	v_add_co_ci_u32_e64 v13, null, v67, v14, vcc_lo
	s_branch .LBB2_2128
.LBB2_2125:                             ;   in Loop: Header=BB2_2128 Depth=4
	s_or_b32 exec_lo, exec_lo, s16
	v_lshrrev_b32_e32 v55, 20, v55
	v_cmp_gt_i32_e32 vcc_lo, 16, v14
	v_min_i32_e32 v66, 15, v14
	v_and_b32_sdwa v67, v67, v103 dst_sel:DWORD dst_unused:UNUSED_PAD src0_sel:BYTE_3 src1_sel:DWORD
	v_cndmask_b32_e32 v55, 7, v55, vcc_lo
	v_lshlrev_b32_e32 v66, 3, v66
	v_and_b32_e32 v68, 7, v55
	v_or_b32_e32 v14, v14, v55
	v_or3_b32 v55, v66, v67, v68
	v_cmp_ne_u32_e32 vcc_lo, 0, v14
	v_cndmask_b32_e32 v14, 0, v55, vcc_lo
.LBB2_2126:                             ;   in Loop: Header=BB2_2128 Depth=4
	s_or_b32 exec_lo, exec_lo, s72
.LBB2_2127:                             ;   in Loop: Header=BB2_2128 Depth=4
	s_or_b32 exec_lo, exec_lo, s63
	v_sub_nc_u32_e32 v15, v15, v98
	v_add_co_u32 v8, vcc_lo, v8, v98
	v_add_co_ci_u32_e64 v9, null, 0, v9, vcc_lo
	v_add_co_u32 v10, vcc_lo, v10, v98
	flat_store_byte v[12:13], v14 glc slc
	v_add_co_ci_u32_e64 v11, null, 0, v11, vcc_lo
	v_cmp_gt_i32_e32 vcc_lo, 1, v15
	v_add_co_u32 v12, s16, v12, v98
	v_add_co_ci_u32_e64 v13, null, 0, v13, s16
	s_or_b32 s61, vcc_lo, s61
	s_andn2_b32 exec_lo, exec_lo, s61
	s_cbranch_execz .LBB2_2170
.LBB2_2128:                             ;   Parent Loop BB2_47 Depth=1
                                        ;     Parent Loop BB2_269 Depth=2
                                        ;       Parent Loop BB2_272 Depth=3
                                        ; =>      This Inner Loop Header: Depth=4
	flat_load_ubyte v55, v[10:11] slc
	flat_load_ubyte v66, v[8:9] slc
	s_mov_b32 s16, -1
	s_waitcnt vmcnt(1) lgkmcnt(1)
	v_and_b32_e32 v14, 7, v55
	v_bfe_u32 v69, v55, 3, 4
	v_lshlrev_b32_e32 v70, 24, v55
	s_waitcnt vmcnt(0) lgkmcnt(0)
	v_cmp_gt_i16_sdwa s63, v66, v102 src0_sel:BYTE_0 src1_sel:DWORD
	v_ffbh_u32_e32 v67, v14
	v_cmp_eq_u32_e32 vcc_lo, 0, v69
	v_min_u32_e32 v67, 32, v67
	v_subrev_nc_u32_e32 v68, 28, v67
	v_sub_nc_u32_e32 v67, 29, v67
	v_lshlrev_b32_e32 v68, v68, v55
	v_cndmask_b32_e32 v67, v69, v67, vcc_lo
	v_and_b32_e32 v68, 7, v68
	v_lshl_add_u32 v67, v67, 23, 0x3b800000
	v_cndmask_b32_e32 v14, v14, v68, vcc_lo
	v_and_b32_e32 v68, 0x80000000, v70
	s_and_b32 vcc_lo, exec_lo, s62
	v_lshlrev_b32_e32 v14, 20, v14
	v_or3_b32 v14, v68, v67, v14
                                        ; implicit-def: $vgpr67
	s_cbranch_vccz .LBB2_2142
; %bb.2129:                             ;   in Loop: Header=BB2_2128 Depth=4
	s_mov_b32 s16, 0
	s_and_saveexec_b32 s72, s63
	s_xor_b32 s63, exec_lo, s72
	s_cbranch_execz .LBB2_2162
; %bb.2130:                             ;   in Loop: Header=BB2_2128 Depth=4
	v_cmp_eq_u16_sdwa s73, v66, v103 src0_sel:BYTE_0 src1_sel:DWORD
	s_mov_b32 s16, -1
	s_and_saveexec_b32 s72, s73
; %bb.2131:                             ;   in Loop: Header=BB2_2128 Depth=4
	s_xor_b32 s16, exec_lo, -1
; %bb.2132:                             ;   in Loop: Header=BB2_2128 Depth=4
	s_or_b32 exec_lo, exec_lo, s72
	s_and_b32 s16, s16, exec_lo
	s_or_saveexec_b32 s63, s63
	v_mov_b32_e32 v67, 0x7f800001
	s_xor_b32 exec_lo, exec_lo, s63
	s_cbranch_execnz .LBB2_2163
.LBB2_2133:                             ;   in Loop: Header=BB2_2128 Depth=4
	s_or_b32 exec_lo, exec_lo, s63
	s_and_saveexec_b32 s63, s16
	s_cbranch_execz .LBB2_2135
.LBB2_2134:                             ;   in Loop: Header=BB2_2128 Depth=4
	v_and_b32_e32 v67, 7, v66
	v_lshrrev_b16 v69, 3, v66
	v_lshlrev_b32_e32 v71, 24, v66
	v_ffbh_u32_e32 v68, v67
	v_and_b32_e32 v69, 15, v69
	v_min_u32_e32 v68, 32, v68
	v_cmp_eq_u32_e32 vcc_lo, 0, v69
	v_subrev_nc_u32_e32 v70, 28, v68
	v_sub_nc_u32_e32 v68, 29, v68
	v_lshlrev_b32_e32 v70, v70, v66
	v_cndmask_b32_e32 v68, v69, v68, vcc_lo
	v_and_b32_e32 v69, 0x80000000, v71
	v_and_b32_e32 v70, 7, v70
	v_lshl_add_u32 v68, v68, 23, 0x3b800000
	v_cndmask_b32_e32 v67, v67, v70, vcc_lo
	v_lshlrev_b32_e32 v67, 20, v67
	v_or3_b32 v67, v69, v68, v67
.LBB2_2135:                             ;   in Loop: Header=BB2_2128 Depth=4
	s_or_b32 exec_lo, exec_lo, s63
	v_cmp_gt_i16_sdwa s63, v55, v102 src0_sel:BYTE_0 src1_sel:DWORD
	s_mov_b32 s16, 0
	s_and_saveexec_b32 s72, s63
	s_xor_b32 s63, exec_lo, s72
	s_cbranch_execz .LBB2_2164
; %bb.2136:                             ;   in Loop: Header=BB2_2128 Depth=4
	v_cmp_eq_u16_sdwa s73, v55, v103 src0_sel:BYTE_0 src1_sel:DWORD
	s_mov_b32 s16, -1
	s_and_saveexec_b32 s72, s73
; %bb.2137:                             ;   in Loop: Header=BB2_2128 Depth=4
	s_xor_b32 s16, exec_lo, -1
; %bb.2138:                             ;   in Loop: Header=BB2_2128 Depth=4
	s_or_b32 exec_lo, exec_lo, s72
	s_and_b32 s16, s16, exec_lo
	s_or_saveexec_b32 s63, s63
	v_mov_b32_e32 v68, 0x7f800001
	s_xor_b32 exec_lo, exec_lo, s63
	s_cbranch_execnz .LBB2_2165
.LBB2_2139:                             ;   in Loop: Header=BB2_2128 Depth=4
	s_or_b32 exec_lo, exec_lo, s63
	s_and_saveexec_b32 s63, s16
.LBB2_2140:                             ;   in Loop: Header=BB2_2128 Depth=4
	v_mov_b32_e32 v68, v14
.LBB2_2141:                             ;   in Loop: Header=BB2_2128 Depth=4
	s_or_b32 exec_lo, exec_lo, s63
	v_max_f32_e32 v68, v68, v68
	v_max_f32_e32 v67, v67, v67
	s_mov_b32 s16, 0
	v_max_f32_e32 v67, v67, v68
.LBB2_2142:                             ;   in Loop: Header=BB2_2128 Depth=4
	s_and_b32 vcc_lo, exec_lo, s16
	s_cbranch_vccz .LBB2_2156
; %bb.2143:                             ;   in Loop: Header=BB2_2128 Depth=4
	v_cmp_gt_i16_sdwa s63, v66, v102 src0_sel:BYTE_0 src1_sel:DWORD
	s_mov_b32 s16, 0
	s_and_saveexec_b32 s72, s63
	s_xor_b32 s63, exec_lo, s72
	s_cbranch_execz .LBB2_2166
; %bb.2144:                             ;   in Loop: Header=BB2_2128 Depth=4
	v_cmp_eq_u16_sdwa s73, v66, v103 src0_sel:BYTE_0 src1_sel:DWORD
	s_mov_b32 s16, -1
	s_and_saveexec_b32 s72, s73
; %bb.2145:                             ;   in Loop: Header=BB2_2128 Depth=4
	s_xor_b32 s16, exec_lo, -1
; %bb.2146:                             ;   in Loop: Header=BB2_2128 Depth=4
	s_or_b32 exec_lo, exec_lo, s72
	s_and_b32 s16, s16, exec_lo
	s_or_saveexec_b32 s63, s63
	v_mov_b32_e32 v67, 0x7f800001
	s_xor_b32 exec_lo, exec_lo, s63
	s_cbranch_execnz .LBB2_2167
.LBB2_2147:                             ;   in Loop: Header=BB2_2128 Depth=4
	s_or_b32 exec_lo, exec_lo, s63
	s_and_saveexec_b32 s63, s16
	s_cbranch_execz .LBB2_2149
.LBB2_2148:                             ;   in Loop: Header=BB2_2128 Depth=4
	v_and_b32_e32 v67, 7, v66
	v_lshrrev_b16 v69, 3, v66
	v_ffbh_u32_e32 v68, v67
	v_and_b32_e32 v69, 15, v69
	v_min_u32_e32 v68, 32, v68
	v_cmp_eq_u32_e32 vcc_lo, 0, v69
	v_subrev_nc_u32_e32 v70, 28, v68
	v_sub_nc_u32_e32 v68, 29, v68
	v_lshlrev_b32_e32 v70, v70, v66
	v_lshlrev_b32_e32 v66, 24, v66
	v_cndmask_b32_e32 v68, v69, v68, vcc_lo
	v_and_b32_e32 v70, 7, v70
	v_and_b32_e32 v66, 0x80000000, v66
	v_lshl_add_u32 v68, v68, 23, 0x3b800000
	v_cndmask_b32_e32 v67, v67, v70, vcc_lo
	v_lshlrev_b32_e32 v67, 20, v67
	v_or3_b32 v67, v66, v68, v67
.LBB2_2149:                             ;   in Loop: Header=BB2_2128 Depth=4
	s_or_b32 exec_lo, exec_lo, s63
	v_cmp_gt_i16_sdwa s63, v55, v102 src0_sel:BYTE_0 src1_sel:DWORD
	s_mov_b32 s16, 0
	s_and_saveexec_b32 s72, s63
	s_xor_b32 s63, exec_lo, s72
	s_cbranch_execz .LBB2_2168
; %bb.2150:                             ;   in Loop: Header=BB2_2128 Depth=4
	v_cmp_eq_u16_sdwa s73, v55, v103 src0_sel:BYTE_0 src1_sel:DWORD
	s_mov_b32 s16, -1
	s_and_saveexec_b32 s72, s73
; %bb.2151:                             ;   in Loop: Header=BB2_2128 Depth=4
	s_xor_b32 s16, exec_lo, -1
; %bb.2152:                             ;   in Loop: Header=BB2_2128 Depth=4
	s_or_b32 exec_lo, exec_lo, s72
	s_and_b32 s16, s16, exec_lo
                                        ; implicit-def: $vgpr55
	s_or_saveexec_b32 s63, s63
	v_mov_b32_e32 v66, 0x7f800001
	s_xor_b32 exec_lo, exec_lo, s63
	s_cbranch_execnz .LBB2_2169
.LBB2_2153:                             ;   in Loop: Header=BB2_2128 Depth=4
	s_or_b32 exec_lo, exec_lo, s63
	s_and_saveexec_b32 s63, s16
.LBB2_2154:                             ;   in Loop: Header=BB2_2128 Depth=4
	v_mov_b32_e32 v66, v14
.LBB2_2155:                             ;   in Loop: Header=BB2_2128 Depth=4
	s_or_b32 exec_lo, exec_lo, s63
	v_max_f32_e32 v14, v66, v66
	v_max_f32_e32 v55, v67, v67
	v_min_f32_e32 v67, v55, v14
.LBB2_2156:                             ;   in Loop: Header=BB2_2128 Depth=4
	v_and_b32_e32 v14, 0x7f800000, v67
	v_cmp_ne_u32_e32 vcc_lo, 0x7f800000, v14
	v_mov_b32_e32 v14, 0x80
	s_and_saveexec_b32 s63, vcc_lo
	s_cbranch_execz .LBB2_2127
; %bb.2157:                             ;   in Loop: Header=BB2_2128 Depth=4
	v_mov_b32_e32 v14, 0
	s_mov_b32 s72, exec_lo
	v_cmpx_ne_u32_e32 0, v67
	s_cbranch_execz .LBB2_2126
; %bb.2158:                             ;   in Loop: Header=BB2_2128 Depth=4
	v_bfe_u32 v14, v67, 23, 8
	v_and_b32_e32 v55, 0x7fffff, v67
	v_sub_nc_u32_e32 v66, 0x78, v14
	v_cmp_gt_u32_e32 vcc_lo, 0x79, v14
	v_or_b32_e32 v68, 0x800000, v55
	v_cndmask_b32_e32 v66, 0, v66, vcc_lo
	v_cmp_eq_u32_e32 vcc_lo, 0, v14
	v_add_nc_u32_e32 v14, 0xffffff89, v14
	v_cndmask_b32_e64 v66, v66, 0x77, vcc_lo
	v_cndmask_b32_e32 v55, v68, v55, vcc_lo
	v_cndmask_b32_e64 v14, v14, 0xffffff8a, vcc_lo
	v_lshl_add_u32 v68, 0x100000, v66, -1
	v_lshrrev_b32_e32 v69, v66, v55
	v_lshlrev_b32_e64 v71, v66, 0x80000
	v_add_nc_u32_e32 v66, v66, v14
	v_and_b32_e32 v55, v68, v55
	v_bfe_u32 v70, v69, 20, 1
	v_cmp_eq_u32_e64 s16, v55, v71
	v_add_nc_u32_e32 v68, -1, v70
	v_cndmask_b32_e64 v55, 0, v68, s16
	v_lshrrev_b32_e32 v68, 23, v69
	s_mov_b32 s16, exec_lo
	v_add_nc_u32_e32 v55, v55, v69
	v_xor_b32_e32 v68, 1, v68
	v_and_b32_e32 v14, 0xfffff, v55
	v_add_nc_u32_e32 v55, v14, v69
                                        ; implicit-def: $vgpr14
	v_cmpx_ne_u32_e64 v66, v68
	s_xor_b32 s16, exec_lo, s16
; %bb.2159:                             ;   in Loop: Header=BB2_2128 Depth=4
	v_cmp_lt_u32_e32 vcc_lo, 0xffffff, v55
	v_sub_nc_u32_e32 v14, v66, v68
	v_cndmask_b32_e64 v66, 0, 1, vcc_lo
	v_add_co_ci_u32_e64 v14, null, 0, v14, vcc_lo
	v_lshrrev_b32_e32 v55, v66, v55
; %bb.2160:                             ;   in Loop: Header=BB2_2128 Depth=4
	s_andn2_saveexec_b32 s16, s16
	s_cbranch_execz .LBB2_2125
; %bb.2161:                             ;   in Loop: Header=BB2_2128 Depth=4
	v_bfe_u32 v14, v55, 23, 1
	s_branch .LBB2_2125
.LBB2_2162:                             ;   in Loop: Header=BB2_2128 Depth=4
	s_or_saveexec_b32 s63, s63
	v_mov_b32_e32 v67, 0x7f800001
	s_xor_b32 exec_lo, exec_lo, s63
	s_cbranch_execz .LBB2_2133
.LBB2_2163:                             ;   in Loop: Header=BB2_2128 Depth=4
	v_cmp_ne_u16_sdwa s72, v66, v2 src0_sel:BYTE_0 src1_sel:DWORD
	v_mov_b32_e32 v67, 0
	s_andn2_b32 s16, s16, exec_lo
	s_and_b32 s72, s72, exec_lo
	s_or_b32 s16, s16, s72
	s_or_b32 exec_lo, exec_lo, s63
	s_and_saveexec_b32 s63, s16
	s_cbranch_execnz .LBB2_2134
	s_branch .LBB2_2135
.LBB2_2164:                             ;   in Loop: Header=BB2_2128 Depth=4
	s_or_saveexec_b32 s63, s63
	v_mov_b32_e32 v68, 0x7f800001
	s_xor_b32 exec_lo, exec_lo, s63
	s_cbranch_execz .LBB2_2139
.LBB2_2165:                             ;   in Loop: Header=BB2_2128 Depth=4
	v_cmp_ne_u16_sdwa s72, v55, v2 src0_sel:BYTE_0 src1_sel:DWORD
	v_mov_b32_e32 v68, 0
	s_andn2_b32 s16, s16, exec_lo
	s_and_b32 s72, s72, exec_lo
	s_or_b32 s16, s16, s72
	s_or_b32 exec_lo, exec_lo, s63
	s_and_saveexec_b32 s63, s16
	s_cbranch_execnz .LBB2_2140
	s_branch .LBB2_2141
.LBB2_2166:                             ;   in Loop: Header=BB2_2128 Depth=4
	s_or_saveexec_b32 s63, s63
	v_mov_b32_e32 v67, 0x7f800001
	s_xor_b32 exec_lo, exec_lo, s63
	s_cbranch_execz .LBB2_2147
.LBB2_2167:                             ;   in Loop: Header=BB2_2128 Depth=4
	v_cmp_ne_u16_sdwa s72, v66, v2 src0_sel:BYTE_0 src1_sel:DWORD
	v_mov_b32_e32 v67, 0
	s_andn2_b32 s16, s16, exec_lo
	s_and_b32 s72, s72, exec_lo
	s_or_b32 s16, s16, s72
	s_or_b32 exec_lo, exec_lo, s63
	s_and_saveexec_b32 s63, s16
	s_cbranch_execnz .LBB2_2148
	s_branch .LBB2_2149
.LBB2_2168:                             ;   in Loop: Header=BB2_2128 Depth=4
	s_or_saveexec_b32 s63, s63
	v_mov_b32_e32 v66, 0x7f800001
	s_xor_b32 exec_lo, exec_lo, s63
	s_cbranch_execz .LBB2_2153
.LBB2_2169:                             ;   in Loop: Header=BB2_2128 Depth=4
	v_cmp_ne_u16_sdwa s72, v55, v2 src0_sel:BYTE_0 src1_sel:DWORD
	v_mov_b32_e32 v66, 0
	s_andn2_b32 s16, s16, exec_lo
	s_and_b32 s72, s72, exec_lo
	s_or_b32 s16, s16, s72
	s_or_b32 exec_lo, exec_lo, s63
	s_and_saveexec_b32 s63, s16
	s_cbranch_execnz .LBB2_2154
	s_branch .LBB2_2155
.LBB2_2170:                             ;   in Loop: Header=BB2_272 Depth=3
	s_or_b32 exec_lo, exec_lo, s17
	v_cmp_lt_i32_e64 s16, 0, v3
	s_and_saveexec_b32 s17, s6
	s_cbranch_execz .LBB2_2189
.LBB2_2171:                             ;   in Loop: Header=BB2_272 Depth=3
	s_and_saveexec_b32 s61, s29
	s_xor_b32 s61, exec_lo, s61
	s_cbranch_execz .LBB2_2186
; %bb.2172:                             ;   in Loop: Header=BB2_272 Depth=3
	s_and_saveexec_b32 s62, s11
	s_cbranch_execz .LBB2_2185
; %bb.2173:                             ;   in Loop: Header=BB2_272 Depth=3
	s_mov_b32 s72, exec_lo
	s_mov_b32 s63, exec_lo
	v_mbcnt_lo_u32_b32 v3, s72, 0
	s_waitcnt vmcnt(0) lgkmcnt(0)
	s_waitcnt_vscnt null, 0x0
	buffer_gl1_inv
	buffer_gl0_inv
	v_cmpx_eq_u32_e32 0, v3
	s_cbranch_execz .LBB2_2175
; %bb.2174:                             ;   in Loop: Header=BB2_272 Depth=3
	s_bcnt1_i32_b32 s72, s72
	v_mov_b32_e32 v9, v2
	v_mov_b32_e32 v8, s72
	ds_add_u64 v0, v[8:9]
	s_trap 2
.LBB2_2175:                             ;   in Loop: Header=BB2_272 Depth=3
	s_or_b32 exec_lo, exec_lo, s63
	s_trap 2
	ds_read_b64 v[8:9], v0
	s_waitcnt lgkmcnt(0)
	buffer_gl0_inv
	v_add_co_u32 v28, vcc_lo, v28, v87
	v_add_co_ci_u32_e64 v29, null, 0, v29, vcc_lo
	s_mov_b32 s63, exec_lo
	v_cmpx_lt_u64_e64 v[8:9], v[28:29]
	s_cbranch_execz .LBB2_2184
; %bb.2176:                             ;   in Loop: Header=BB2_272 Depth=3
	s_mov_b32 s72, 0
	s_mov_b32 s75, 0
                                        ; implicit-def: $sgpr73
                                        ; implicit-def: $sgpr74
	s_inst_prefetch 0x1
	s_branch .LBB2_2178
	.p2align	6
.LBB2_2177:                             ;   in Loop: Header=BB2_2178 Depth=4
	s_or_b32 exec_lo, exec_lo, s77
	s_and_b32 s76, exec_lo, s78
	s_or_b32 s72, s76, s72
	s_andn2_b32 s73, s73, exec_lo
	s_and_b32 s76, s74, exec_lo
	s_or_b32 s73, s73, s76
	s_andn2_b32 exec_lo, exec_lo, s72
	s_cbranch_execz .LBB2_2182
.LBB2_2178:                             ;   Parent Loop BB2_47 Depth=1
                                        ;     Parent Loop BB2_269 Depth=2
                                        ;       Parent Loop BB2_272 Depth=3
                                        ; =>      This Inner Loop Header: Depth=4
	s_add_i32 s75, s75, 1
	s_cmpk_lg_i32 s75, 0x2710
	s_cselect_b32 s76, -1, 0
	s_and_b32 vcc_lo, exec_lo, s76
	s_cbranch_vccz .LBB2_2180
; %bb.2179:                             ;   in Loop: Header=BB2_2178 Depth=4
	s_mov_b32 s78, -1
	s_or_b32 s74, s74, exec_lo
	s_and_saveexec_b32 s77, s76
	s_cbranch_execz .LBB2_2177
	s_branch .LBB2_2181
	.p2align	6
.LBB2_2180:                             ;   in Loop: Header=BB2_2178 Depth=4
	s_trap 2
	ds_read_b64 v[8:9], v0
	s_andn2_b32 s76, s76, exec_lo
	s_mov_b32 s75, 0
	s_waitcnt lgkmcnt(0)
	flat_load_dword v3, v[8:9] glc dlc
	s_waitcnt vmcnt(0) lgkmcnt(0)
	buffer_gl1_inv
	buffer_gl0_inv
	v_cmp_eq_u32_e32 vcc_lo, 0, v3
	s_and_b32 s77, vcc_lo, exec_lo
	s_or_b32 s76, s76, s77
	s_mov_b32 s78, -1
	s_or_b32 s74, s74, exec_lo
	s_and_saveexec_b32 s77, s76
	s_cbranch_execz .LBB2_2177
.LBB2_2181:                             ;   in Loop: Header=BB2_2178 Depth=4
	s_sleep 1
	s_trap 2
	ds_read_b64 v[8:9], v0
	s_waitcnt lgkmcnt(0)
	buffer_gl0_inv
	s_andn2_b32 s74, s74, exec_lo
	v_cmp_ge_u64_e32 vcc_lo, v[8:9], v[28:29]
	s_orn2_b32 s78, vcc_lo, exec_lo
	s_branch .LBB2_2177
.LBB2_2182:                             ;   in Loop: Header=BB2_272 Depth=3
	s_inst_prefetch 0x2
	s_or_b32 exec_lo, exec_lo, s72
	s_and_saveexec_b32 s72, s73
	s_xor_b32 s72, exec_lo, s72
	s_cbranch_execz .LBB2_2184
; %bb.2183:                             ;   in Loop: Header=BB2_272 Depth=3
	ds_write_b32 v0, v100
	s_trap 2
.LBB2_2184:                             ;   in Loop: Header=BB2_272 Depth=3
	s_or_b32 exec_lo, exec_lo, s63
	;;#ASMSTART
	s_wakeup
	;;#ASMEND
.LBB2_2185:                             ;   in Loop: Header=BB2_272 Depth=3
	s_or_b32 exec_lo, exec_lo, s62
.LBB2_2186:                             ;   in Loop: Header=BB2_272 Depth=3
	s_andn2_saveexec_b32 s61, s61
	s_cbranch_execz .LBB2_2188
; %bb.2187:                             ;   in Loop: Header=BB2_272 Depth=3
	s_waitcnt vmcnt(0) lgkmcnt(0)
	s_waitcnt_vscnt null, 0x0
	buffer_gl1_inv
	buffer_gl0_inv
	s_barrier
.LBB2_2188:                             ;   in Loop: Header=BB2_272 Depth=3
	s_or_b32 exec_lo, exec_lo, s61
.LBB2_2189:                             ;   in Loop: Header=BB2_272 Depth=3
	s_or_b32 exec_lo, exec_lo, s17
	v_and_b32_e32 v3, 16, v84
	s_and_saveexec_b32 s17, s15
	s_xor_b32 s17, exec_lo, s17
	s_cbranch_execz .LBB2_2193
; %bb.2190:                             ;   in Loop: Header=BB2_272 Depth=3
	v_and_b32_e32 v3, 16, v84
	v_cmp_ne_u32_e32 vcc_lo, 0, v3
	v_and_b32_e32 v3, 16, v84
	s_and_b32 s61, vcc_lo, s16
	s_and_saveexec_b32 s16, s61
	s_cbranch_execz .LBB2_2192
; %bb.2191:                             ;   in Loop: Header=BB2_272 Depth=3
	v_mov_b32_e32 v3, 1
	s_waitcnt vmcnt(0) lgkmcnt(0)
	s_waitcnt_vscnt null, 0x0
	buffer_gl1_inv
	buffer_gl0_inv
.LBB2_2192:                             ;   in Loop: Header=BB2_272 Depth=3
	s_or_b32 exec_lo, exec_lo, s16
.LBB2_2193:                             ;   in Loop: Header=BB2_272 Depth=3
	s_andn2_saveexec_b32 s16, s17
	s_cbranch_execz .LBB2_2212
; %bb.2194:                             ;   in Loop: Header=BB2_272 Depth=3
	s_and_saveexec_b32 s17, s29
	s_xor_b32 s17, exec_lo, s17
	s_cbranch_execz .LBB2_2209
; %bb.2195:                             ;   in Loop: Header=BB2_272 Depth=3
	s_and_saveexec_b32 s61, s11
	s_cbranch_execz .LBB2_2208
; %bb.2196:                             ;   in Loop: Header=BB2_272 Depth=3
	s_mov_b32 s63, exec_lo
	s_mov_b32 s62, exec_lo
	v_mbcnt_lo_u32_b32 v8, s63, 0
	;;#ASMSTART
	s_waitcnt lgkmcnt(0) vmcnt(0)
	;;#ASMEND
	v_cmpx_eq_u32_e32 0, v8
	s_cbranch_execz .LBB2_2198
; %bb.2197:                             ;   in Loop: Header=BB2_272 Depth=3
	s_bcnt1_i32_b32 s63, s63
	v_mov_b32_e32 v9, v2
	v_mov_b32_e32 v8, s63
	s_waitcnt vmcnt(0) lgkmcnt(0)
	s_waitcnt_vscnt null, 0x0
	ds_add_u64 v0, v[8:9]
	s_trap 2
.LBB2_2198:                             ;   in Loop: Header=BB2_272 Depth=3
	s_or_b32 exec_lo, exec_lo, s62
	s_trap 2
	ds_read_b64 v[8:9], v0
	s_waitcnt vmcnt(0) lgkmcnt(0)
	buffer_gl0_inv
	v_add_co_u32 v28, vcc_lo, v28, v87
	v_add_co_ci_u32_e64 v29, null, 0, v29, vcc_lo
	s_mov_b32 s62, exec_lo
	v_cmpx_lt_u64_e64 v[8:9], v[28:29]
	s_cbranch_execz .LBB2_2207
; %bb.2199:                             ;   in Loop: Header=BB2_272 Depth=3
	s_mov_b32 s63, 0
	s_mov_b32 s74, 0
                                        ; implicit-def: $sgpr72
                                        ; implicit-def: $sgpr73
	s_inst_prefetch 0x1
	s_branch .LBB2_2201
	.p2align	6
.LBB2_2200:                             ;   in Loop: Header=BB2_2201 Depth=4
	s_or_b32 exec_lo, exec_lo, s76
	s_and_b32 s75, exec_lo, s77
	s_or_b32 s63, s75, s63
	s_andn2_b32 s72, s72, exec_lo
	s_and_b32 s75, s73, exec_lo
	s_or_b32 s72, s72, s75
	s_andn2_b32 exec_lo, exec_lo, s63
	s_cbranch_execz .LBB2_2205
.LBB2_2201:                             ;   Parent Loop BB2_47 Depth=1
                                        ;     Parent Loop BB2_269 Depth=2
                                        ;       Parent Loop BB2_272 Depth=3
                                        ; =>      This Inner Loop Header: Depth=4
	s_add_i32 s74, s74, 1
	s_cmpk_lg_i32 s74, 0x2710
	s_cselect_b32 s75, -1, 0
	s_and_b32 vcc_lo, exec_lo, s75
	s_cbranch_vccz .LBB2_2203
; %bb.2202:                             ;   in Loop: Header=BB2_2201 Depth=4
	s_mov_b32 s77, -1
	s_or_b32 s73, s73, exec_lo
	s_and_saveexec_b32 s76, s75
	s_cbranch_execz .LBB2_2200
	s_branch .LBB2_2204
	.p2align	6
.LBB2_2203:                             ;   in Loop: Header=BB2_2201 Depth=4
	s_trap 2
	ds_read_b64 v[8:9], v0
	s_andn2_b32 s75, s75, exec_lo
	s_mov_b32 s74, 0
	s_waitcnt lgkmcnt(0)
	s_waitcnt_vscnt null, 0x0
	flat_load_dword v8, v[8:9] glc dlc
	s_waitcnt vmcnt(0) lgkmcnt(0)
	buffer_gl1_inv
	buffer_gl0_inv
	v_cmp_eq_u32_e32 vcc_lo, 0, v8
	s_and_b32 s76, vcc_lo, exec_lo
	s_or_b32 s75, s75, s76
	s_mov_b32 s77, -1
	s_or_b32 s73, s73, exec_lo
	s_and_saveexec_b32 s76, s75
	s_cbranch_execz .LBB2_2200
.LBB2_2204:                             ;   in Loop: Header=BB2_2201 Depth=4
	s_sleep 1
	s_trap 2
	ds_read_b64 v[8:9], v0
	s_waitcnt lgkmcnt(0)
	buffer_gl0_inv
	s_andn2_b32 s73, s73, exec_lo
	v_cmp_ge_u64_e32 vcc_lo, v[8:9], v[28:29]
	s_orn2_b32 s77, vcc_lo, exec_lo
	s_branch .LBB2_2200
.LBB2_2205:                             ;   in Loop: Header=BB2_272 Depth=3
	s_inst_prefetch 0x2
	s_or_b32 exec_lo, exec_lo, s63
	s_and_saveexec_b32 s63, s72
	s_xor_b32 s63, exec_lo, s63
	s_cbranch_execz .LBB2_2207
; %bb.2206:                             ;   in Loop: Header=BB2_272 Depth=3
	ds_write_b32 v0, v100
	s_trap 2
.LBB2_2207:                             ;   in Loop: Header=BB2_272 Depth=3
	s_or_b32 exec_lo, exec_lo, s62
	;;#ASMSTART
	s_wakeup
	;;#ASMEND
.LBB2_2208:                             ;   in Loop: Header=BB2_272 Depth=3
	s_or_b32 exec_lo, exec_lo, s61
.LBB2_2209:                             ;   in Loop: Header=BB2_272 Depth=3
	s_andn2_saveexec_b32 s17, s17
	s_cbranch_execz .LBB2_2211
; %bb.2210:                             ;   in Loop: Header=BB2_272 Depth=3
	;;#ASMSTART
	s_waitcnt lgkmcnt(0) vmcnt(0)
	;;#ASMEND
	s_barrier
.LBB2_2211:                             ;   in Loop: Header=BB2_272 Depth=3
	s_or_b32 exec_lo, exec_lo, s17
.LBB2_2212:                             ;   in Loop: Header=BB2_272 Depth=3
	s_or_b32 exec_lo, exec_lo, s16
	v_cmp_ne_u32_e32 vcc_lo, 0, v3
	s_xor_b32 s16, s7, -1
	s_and_b32 s17, vcc_lo, s16
	s_and_saveexec_b32 s16, s17
	s_cbranch_execz .LBB2_2214
; %bb.2213:                             ;   in Loop: Header=BB2_272 Depth=3
	s_waitcnt vmcnt(0) lgkmcnt(0)
	s_waitcnt_vscnt null, 0x0
	flat_store_dword v[26:27], v100
.LBB2_2214:                             ;   in Loop: Header=BB2_272 Depth=3
	s_or_b32 exec_lo, exec_lo, s16
	v_and_b32_e32 v3, 48, v84
	s_mov_b32 s16, exec_lo
	v_cmpx_ne_u32_e32 0, v3
	s_cbranch_execz .LBB2_271
; %bb.2215:                             ;   in Loop: Header=BB2_272 Depth=3
	v_add_co_u32 v50, vcc_lo, v50, 2
	v_add_co_ci_u32_e64 v51, null, 0, v51, vcc_lo
	s_waitcnt vmcnt(0) lgkmcnt(0)
	s_waitcnt_vscnt null, 0x0
	flat_store_dwordx2 v[22:23], v[50:51]
	s_branch .LBB2_271
.LBB2_2216:                             ;   in Loop: Header=BB2_269 Depth=2
	s_or_b32 exec_lo, exec_lo, s21
.LBB2_2217:                             ;   in Loop: Header=BB2_269 Depth=2
	s_or_b32 exec_lo, exec_lo, s19
	s_mov_b32 s17, exec_lo
	v_cmpx_gt_i32_e32 2, v3
	s_cbranch_execz .LBB2_268
; %bb.2218:                             ;   in Loop: Header=BB2_269 Depth=2
	v_cmp_eq_u32_e64 s21, 0, v3
	s_mov_b32 s19, 0
	s_branch .LBB2_2220
.LBB2_2219:                             ;   in Loop: Header=BB2_2220 Depth=3
	s_or_b32 exec_lo, exec_lo, s16
	v_add_nc_u32_e32 v58, v54, v58
	s_mov_b32 s21, 0
	s_andn2_b32 exec_lo, exec_lo, s19
	s_cbranch_execz .LBB2_267
.LBB2_2220:                             ;   Parent Loop BB2_47 Depth=1
                                        ;     Parent Loop BB2_269 Depth=2
                                        ; =>    This Loop Header: Depth=3
                                        ;         Child Loop BB2_2226 Depth 4
                                        ;         Child Loop BB2_2254 Depth 4
	;; [unrolled: 1-line block ×3, first 2 shown]
	v_sub_nc_u32_e32 v3, v57, v58
	v_and_b32_e32 v8, 12, v84
	s_mov_b32 s22, exec_lo
	v_min_i32_e32 v54, v54, v3
	v_cmpx_ne_u32_e32 0, v8
	s_cbranch_execz .LBB2_2246
; %bb.2221:                             ;   in Loop: Header=BB2_2220 Depth=3
	v_and_b32_e32 v3, 8, v84
	s_mov_b32 s23, exec_lo
	s_waitcnt vmcnt(0) lgkmcnt(1)
	v_add_co_u32 v10, vcc_lo, v32, v3
	v_add_co_ci_u32_e64 v11, null, 0, v33, vcc_lo
	v_add_co_u32 v8, vcc_lo, v50, 2
	v_add_co_ci_u32_e64 v9, null, 0, v51, vcc_lo
	v_cmpx_lt_u64_e64 v[10:11], v[8:9]
	s_cbranch_execz .LBB2_2233
; %bb.2222:                             ;   in Loop: Header=BB2_2220 Depth=3
	v_and_b32_e32 v10, 64, v84
	s_mov_b32 s61, 0
	s_mov_b32 s73, 0
                                        ; implicit-def: $sgpr62
                                        ; implicit-def: $sgpr63
                                        ; implicit-def: $sgpr72
	v_cmp_eq_u32_e32 vcc_lo, 0, v10
	s_branch .LBB2_2226
.LBB2_2223:                             ;   in Loop: Header=BB2_2226 Depth=4
	s_waitcnt vmcnt(0) lgkmcnt(0)
	v_add_co_u32 v11, s16, v32, v3
	v_add_co_ci_u32_e64 v12, null, 0, v33, s16
	s_or_b32 s76, s76, exec_lo
	v_cmp_ge_u64_e64 s16, v[11:12], v[8:9]
	s_orn2_b32 s75, s16, exec_lo
.LBB2_2224:                             ;   in Loop: Header=BB2_2226 Depth=4
	s_or_b32 exec_lo, exec_lo, s78
	s_andn2_b32 s16, s72, exec_lo
	s_and_b32 s72, s76, exec_lo
	s_andn2_b32 s63, s63, exec_lo
	s_and_b32 s75, s75, exec_lo
	s_or_b32 s72, s16, s72
	s_or_b32 s63, s63, s75
.LBB2_2225:                             ;   in Loop: Header=BB2_2226 Depth=4
	s_or_b32 exec_lo, exec_lo, s74
	s_and_b32 s16, exec_lo, s63
	s_or_b32 s61, s16, s61
	s_andn2_b32 s16, s62, exec_lo
	s_and_b32 s62, s72, exec_lo
	s_or_b32 s62, s16, s62
	s_andn2_b32 exec_lo, exec_lo, s61
	s_cbranch_execz .LBB2_2230
.LBB2_2226:                             ;   Parent Loop BB2_47 Depth=1
                                        ;     Parent Loop BB2_269 Depth=2
                                        ;       Parent Loop BB2_2220 Depth=3
                                        ; =>      This Inner Loop Header: Depth=4
	s_sleep 1
	s_waitcnt vmcnt(0) lgkmcnt(0)
	flat_load_dwordx2 v[32:33], v[22:23] glc dlc
	s_or_b32 s72, s72, exec_lo
	s_or_b32 s63, s63, exec_lo
                                        ; implicit-def: $vgpr10
	s_and_saveexec_b32 s74, vcc_lo
	s_cbranch_execz .LBB2_2225
; %bb.2227:                             ;   in Loop: Header=BB2_2226 Depth=4
	s_cmpk_lt_i32 s73, 0x270f
	s_mov_b32 s75, -1
	s_cselect_b32 s77, -1, 0
	s_cmpk_gt_i32 s73, 0x270e
	s_cbranch_scc0 .LBB2_2229
; %bb.2228:                             ;   in Loop: Header=BB2_2226 Depth=4
	s_trap 2
	ds_read_b64 v[10:11], v0
	s_andn2_b32 s73, s77, exec_lo
	s_mov_b32 s76, 0
	s_waitcnt vmcnt(0) lgkmcnt(0)
	s_waitcnt_vscnt null, 0x0
	flat_load_dword v10, v[10:11] glc dlc
	s_waitcnt vmcnt(0) lgkmcnt(0)
	buffer_gl1_inv
	buffer_gl0_inv
	v_cmp_eq_u32_e64 s16, 0, v10
	s_and_b32 s16, s16, exec_lo
	s_or_b32 s77, s73, s16
	s_mov_b32 s73, 0
	s_and_saveexec_b32 s78, s77
	s_cbranch_execz .LBB2_2224
	s_branch .LBB2_2223
.LBB2_2229:                             ;   in Loop: Header=BB2_2226 Depth=4
	s_add_i32 s73, s73, 1
	s_mov_b32 s76, -1
                                        ; implicit-def: $vgpr10
	s_and_saveexec_b32 s78, s77
	s_cbranch_execz .LBB2_2224
	s_branch .LBB2_2223
.LBB2_2230:                             ;   in Loop: Header=BB2_2220 Depth=3
	s_or_b32 exec_lo, exec_lo, s61
	s_xor_b32 s16, s62, -1
	s_and_saveexec_b32 s61, s16
	s_xor_b32 s16, exec_lo, s61
	s_cbranch_execz .LBB2_2232
; %bb.2231:                             ;   in Loop: Header=BB2_2220 Depth=3
	v_or_b32_e32 v84, 64, v84
	s_waitcnt vmcnt(0) lgkmcnt(0)
	s_waitcnt_vscnt null, 0x0
	ds_write_b32 v0, v10
	s_trap 2
.LBB2_2232:                             ;   in Loop: Header=BB2_2220 Depth=3
	s_or_b32 exec_lo, exec_lo, s16
.LBB2_2233:                             ;   in Loop: Header=BB2_2220 Depth=3
	s_or_b32 exec_lo, exec_lo, s23
	v_and_b32_e32 v10, 0x108, v84
	;;#ASMSTART
	s_wakeup
	;;#ASMEND
	v_cmp_ne_u32_e32 vcc_lo, 0x108, v10
                                        ; implicit-def: $vgpr10_vgpr11
	s_and_saveexec_b32 s16, vcc_lo
	s_xor_b32 s16, exec_lo, s16
; %bb.2234:                             ;   in Loop: Header=BB2_2220 Depth=3
	v_and_b32_e32 v10, 7, v50
	v_mov_b32_e32 v11, v2
                                        ; implicit-def: $vgpr50_vgpr51
; %bb.2235:                             ;   in Loop: Header=BB2_2220 Depth=3
	s_andn2_saveexec_b32 s16, s16
	s_cbranch_execz .LBB2_2237
; %bb.2236:                             ;   in Loop: Header=BB2_2220 Depth=3
	v_and_b32_e32 v10, 7, v50
	v_ashrrev_i32_e32 v55, 31, v54
	v_mov_b32_e32 v11, v2
	v_mad_u64_u32 v[12:13], null, v10, 24, v[6:7]
	flat_store_dwordx2 v[12:13], v[54:55] offset:8
.LBB2_2237:                             ;   in Loop: Header=BB2_2220 Depth=3
	s_or_b32 exec_lo, exec_lo, s16
	v_and_b32_e32 v12, 0x100, v84
	s_mov_b32 s16, -1
	v_cmp_ne_u32_e32 vcc_lo, 0, v12
                                        ; implicit-def: $vgpr12_vgpr13
	s_and_saveexec_b32 s23, vcc_lo
	s_cbranch_execz .LBB2_2241
; %bb.2238:                             ;   in Loop: Header=BB2_2220 Depth=3
	v_mad_u64_u32 v[14:15], null, v10, 24, v[6:7]
	v_mov_b32_e32 v12, v15
	v_mad_u64_u32 v[12:13], null, v11, 24, v[12:13]
	v_mov_b32_e32 v15, v12
	flat_load_dword v12, v[14:15]
	s_waitcnt vmcnt(0) lgkmcnt(0)
	v_cmp_eq_u32_e64 s16, 1, v12
	v_cmp_ne_u32_e32 vcc_lo, 1, v12
                                        ; implicit-def: $vgpr12_vgpr13
	s_and_saveexec_b32 s61, s16
	s_cbranch_execz .LBB2_2240
; %bb.2239:                             ;   in Loop: Header=BB2_2220 Depth=3
	flat_load_dword v12, v[14:15] offset:4 glc dlc
	s_waitcnt vmcnt(0) lgkmcnt(0)
	v_ashrrev_i32_e32 v13, 31, v12
.LBB2_2240:                             ;   in Loop: Header=BB2_2220 Depth=3
	s_or_b32 exec_lo, exec_lo, s61
	s_orn2_b32 s16, vcc_lo, exec_lo
.LBB2_2241:                             ;   in Loop: Header=BB2_2220 Depth=3
	s_or_b32 exec_lo, exec_lo, s23
	s_and_saveexec_b32 s23, s16
; %bb.2242:                             ;   in Loop: Header=BB2_2220 Depth=3
	v_mul_lo_u32 v11, v11, v85
	v_mul_lo_u32 v14, v10, v86
	v_mad_u64_u32 v[12:13], null, v10, v85, 0
	v_add3_u32 v13, v13, v14, v11
; %bb.2243:                             ;   in Loop: Header=BB2_2220 Depth=3
	s_or_b32 exec_lo, exec_lo, s23
	v_cmp_eq_u32_e32 vcc_lo, 0, v3
	v_and_b32_e32 v14, 0x2000, v84
	s_mov_b32 s16, exec_lo
	v_cndmask_b32_e32 v3, 0xc8, v101, vcc_lo
	v_add_co_u32 v10, vcc_lo, v24, v12
	v_add_co_ci_u32_e64 v11, null, v25, v13, vcc_lo
	v_add_nc_u32_e32 v3, v0, v3
	ds_write_b64 v3, v[10:11] offset:584
	v_cmpx_ne_u32_e32 0, v14
	s_cbranch_execz .LBB2_2245
; %bb.2244:                             ;   in Loop: Header=BB2_2220 Depth=3
	ds_read_b64 v[10:11], v0 offset:872
	s_waitcnt lgkmcnt(0)
	v_add_co_u32 v10, vcc_lo, v10, 1
	v_add_co_ci_u32_e64 v11, null, 0, v11, vcc_lo
	ds_write_b64 v0, v[10:11] offset:872
.LBB2_2245:                             ;   in Loop: Header=BB2_2220 Depth=3
	s_or_b32 exec_lo, exec_lo, s16
	v_mov_b32_e32 v51, v9
	v_mov_b32_e32 v50, v8
.LBB2_2246:                             ;   in Loop: Header=BB2_2220 Depth=3
	s_or_b32 exec_lo, exec_lo, s22
	s_xor_b32 s16, s21, -1
	s_and_b32 s16, exec_lo, s16
	s_or_b32 s19, s16, s19
	s_and_saveexec_b32 s16, s6
	s_cbranch_execz .LBB2_2265
; %bb.2247:                             ;   in Loop: Header=BB2_2220 Depth=3
	s_and_saveexec_b32 s21, s29
	s_xor_b32 s21, exec_lo, s21
	s_cbranch_execz .LBB2_2262
; %bb.2248:                             ;   in Loop: Header=BB2_2220 Depth=3
	s_and_saveexec_b32 s22, s11
	s_cbranch_execz .LBB2_2261
; %bb.2249:                             ;   in Loop: Header=BB2_2220 Depth=3
	s_mov_b32 s61, exec_lo
	s_mov_b32 s23, exec_lo
	v_mbcnt_lo_u32_b32 v3, s61, 0
	s_waitcnt vmcnt(0) lgkmcnt(0)
	s_waitcnt_vscnt null, 0x0
	buffer_gl1_inv
	buffer_gl0_inv
	v_cmpx_eq_u32_e32 0, v3
	s_cbranch_execz .LBB2_2251
; %bb.2250:                             ;   in Loop: Header=BB2_2220 Depth=3
	s_bcnt1_i32_b32 s61, s61
	v_mov_b32_e32 v9, v2
	v_mov_b32_e32 v8, s61
	ds_add_u64 v0, v[8:9]
	s_trap 2
.LBB2_2251:                             ;   in Loop: Header=BB2_2220 Depth=3
	s_or_b32 exec_lo, exec_lo, s23
	s_trap 2
	ds_read_b64 v[8:9], v0
	s_waitcnt lgkmcnt(0)
	buffer_gl0_inv
	v_add_co_u32 v28, vcc_lo, v28, v87
	v_add_co_ci_u32_e64 v29, null, 0, v29, vcc_lo
	s_mov_b32 s23, exec_lo
	v_cmpx_lt_u64_e64 v[8:9], v[28:29]
	s_cbranch_execz .LBB2_2260
; %bb.2252:                             ;   in Loop: Header=BB2_2220 Depth=3
	s_mov_b32 s61, 0
	s_mov_b32 s72, 0
                                        ; implicit-def: $sgpr62
                                        ; implicit-def: $sgpr63
	s_inst_prefetch 0x1
	s_branch .LBB2_2254
	.p2align	6
.LBB2_2253:                             ;   in Loop: Header=BB2_2254 Depth=4
	s_or_b32 exec_lo, exec_lo, s74
	s_and_b32 s73, exec_lo, s75
	s_or_b32 s61, s73, s61
	s_andn2_b32 s62, s62, exec_lo
	s_and_b32 s73, s63, exec_lo
	s_or_b32 s62, s62, s73
	s_andn2_b32 exec_lo, exec_lo, s61
	s_cbranch_execz .LBB2_2258
.LBB2_2254:                             ;   Parent Loop BB2_47 Depth=1
                                        ;     Parent Loop BB2_269 Depth=2
                                        ;       Parent Loop BB2_2220 Depth=3
                                        ; =>      This Inner Loop Header: Depth=4
	s_add_i32 s72, s72, 1
	s_cmpk_lg_i32 s72, 0x2710
	s_cselect_b32 s73, -1, 0
	s_and_b32 vcc_lo, exec_lo, s73
	s_cbranch_vccz .LBB2_2256
; %bb.2255:                             ;   in Loop: Header=BB2_2254 Depth=4
	s_mov_b32 s75, -1
	s_or_b32 s63, s63, exec_lo
	s_and_saveexec_b32 s74, s73
	s_cbranch_execz .LBB2_2253
	s_branch .LBB2_2257
	.p2align	6
.LBB2_2256:                             ;   in Loop: Header=BB2_2254 Depth=4
	s_trap 2
	ds_read_b64 v[8:9], v0
	s_andn2_b32 s73, s73, exec_lo
	s_mov_b32 s72, 0
	s_waitcnt lgkmcnt(0)
	flat_load_dword v3, v[8:9] glc dlc
	s_waitcnt vmcnt(0) lgkmcnt(0)
	buffer_gl1_inv
	buffer_gl0_inv
	v_cmp_eq_u32_e32 vcc_lo, 0, v3
	s_and_b32 s74, vcc_lo, exec_lo
	s_or_b32 s73, s73, s74
	s_mov_b32 s75, -1
	s_or_b32 s63, s63, exec_lo
	s_and_saveexec_b32 s74, s73
	s_cbranch_execz .LBB2_2253
.LBB2_2257:                             ;   in Loop: Header=BB2_2254 Depth=4
	s_sleep 1
	s_trap 2
	ds_read_b64 v[8:9], v0
	s_waitcnt lgkmcnt(0)
	buffer_gl0_inv
	s_andn2_b32 s63, s63, exec_lo
	v_cmp_ge_u64_e32 vcc_lo, v[8:9], v[28:29]
	s_orn2_b32 s75, vcc_lo, exec_lo
	s_branch .LBB2_2253
.LBB2_2258:                             ;   in Loop: Header=BB2_2220 Depth=3
	s_inst_prefetch 0x2
	s_or_b32 exec_lo, exec_lo, s61
	s_and_saveexec_b32 s61, s62
	s_xor_b32 s61, exec_lo, s61
	s_cbranch_execz .LBB2_2260
; %bb.2259:                             ;   in Loop: Header=BB2_2220 Depth=3
	ds_write_b32 v0, v100
	s_trap 2
.LBB2_2260:                             ;   in Loop: Header=BB2_2220 Depth=3
	s_or_b32 exec_lo, exec_lo, s23
	;;#ASMSTART
	s_wakeup
	;;#ASMEND
.LBB2_2261:                             ;   in Loop: Header=BB2_2220 Depth=3
	s_or_b32 exec_lo, exec_lo, s22
.LBB2_2262:                             ;   in Loop: Header=BB2_2220 Depth=3
	s_andn2_saveexec_b32 s21, s21
	s_cbranch_execz .LBB2_2264
; %bb.2263:                             ;   in Loop: Header=BB2_2220 Depth=3
	s_waitcnt vmcnt(0) lgkmcnt(0)
	s_waitcnt_vscnt null, 0x0
	buffer_gl1_inv
	buffer_gl0_inv
	s_barrier
.LBB2_2264:                             ;   in Loop: Header=BB2_2220 Depth=3
	s_or_b32 exec_lo, exec_lo, s21
.LBB2_2265:                             ;   in Loop: Header=BB2_2220 Depth=3
	s_or_b32 exec_lo, exec_lo, s16
                                        ; implicit-def: $vgpr3
	s_and_saveexec_b32 s16, s47
	s_xor_b32 s16, exec_lo, s16
	s_cbranch_execz .LBB2_2277
; %bb.2266:                             ;   in Loop: Header=BB2_2220 Depth=3
	s_and_saveexec_b32 s21, s29
	s_xor_b32 s21, exec_lo, s21
	s_cbranch_execz .LBB2_2282
; %bb.2267:                             ;   in Loop: Header=BB2_2220 Depth=3
	s_and_saveexec_b32 s22, s11
	s_cbranch_execz .LBB2_2281
; %bb.2268:                             ;   in Loop: Header=BB2_2220 Depth=3
	s_mov_b32 s61, exec_lo
	s_mov_b32 s23, exec_lo
	v_mbcnt_lo_u32_b32 v3, s61, 0
	;;#ASMSTART
	s_waitcnt lgkmcnt(0) vmcnt(0)
	;;#ASMEND
	v_cmpx_eq_u32_e32 0, v3
	s_cbranch_execz .LBB2_2270
; %bb.2269:                             ;   in Loop: Header=BB2_2220 Depth=3
	s_bcnt1_i32_b32 s61, s61
	v_mov_b32_e32 v9, v2
	v_mov_b32_e32 v8, s61
	s_waitcnt vmcnt(0) lgkmcnt(0)
	s_waitcnt_vscnt null, 0x0
	ds_add_u64 v0, v[8:9]
	s_trap 2
.LBB2_2270:                             ;   in Loop: Header=BB2_2220 Depth=3
	s_or_b32 exec_lo, exec_lo, s23
	s_trap 2
	ds_read_b64 v[8:9], v0
	s_waitcnt vmcnt(0) lgkmcnt(0)
	buffer_gl0_inv
	v_add_co_u32 v28, vcc_lo, v28, v87
	v_add_co_ci_u32_e64 v29, null, 0, v29, vcc_lo
	s_mov_b32 s23, exec_lo
	v_cmpx_lt_u64_e64 v[8:9], v[28:29]
	s_cbranch_execz .LBB2_2280
; %bb.2271:                             ;   in Loop: Header=BB2_2220 Depth=3
	s_mov_b32 s61, 0
	s_mov_b32 s72, 0
                                        ; implicit-def: $sgpr62
                                        ; implicit-def: $sgpr63
	s_inst_prefetch 0x1
	s_branch .LBB2_2273
	.p2align	6
.LBB2_2272:                             ;   in Loop: Header=BB2_2273 Depth=4
	s_or_b32 exec_lo, exec_lo, s74
	s_and_b32 s73, exec_lo, s75
	s_or_b32 s61, s73, s61
	s_andn2_b32 s62, s62, exec_lo
	s_and_b32 s73, s63, exec_lo
	s_or_b32 s62, s62, s73
	s_andn2_b32 exec_lo, exec_lo, s61
	s_cbranch_execz .LBB2_2278
.LBB2_2273:                             ;   Parent Loop BB2_47 Depth=1
                                        ;     Parent Loop BB2_269 Depth=2
                                        ;       Parent Loop BB2_2220 Depth=3
                                        ; =>      This Inner Loop Header: Depth=4
	s_add_i32 s72, s72, 1
	s_cmpk_lg_i32 s72, 0x2710
	s_cselect_b32 s73, -1, 0
	s_and_b32 vcc_lo, exec_lo, s73
	s_cbranch_vccz .LBB2_2275
; %bb.2274:                             ;   in Loop: Header=BB2_2273 Depth=4
	s_mov_b32 s75, -1
	s_or_b32 s63, s63, exec_lo
	s_and_saveexec_b32 s74, s73
	s_cbranch_execz .LBB2_2272
	s_branch .LBB2_2276
	.p2align	6
.LBB2_2275:                             ;   in Loop: Header=BB2_2273 Depth=4
	s_trap 2
	ds_read_b64 v[8:9], v0
	s_andn2_b32 s73, s73, exec_lo
	s_mov_b32 s72, 0
	s_waitcnt lgkmcnt(0)
	s_waitcnt_vscnt null, 0x0
	flat_load_dword v3, v[8:9] glc dlc
	s_waitcnt vmcnt(0) lgkmcnt(0)
	buffer_gl1_inv
	buffer_gl0_inv
	v_cmp_eq_u32_e32 vcc_lo, 0, v3
	s_and_b32 s74, vcc_lo, exec_lo
	s_or_b32 s73, s73, s74
	s_mov_b32 s75, -1
	s_or_b32 s63, s63, exec_lo
	s_and_saveexec_b32 s74, s73
	s_cbranch_execz .LBB2_2272
.LBB2_2276:                             ;   in Loop: Header=BB2_2273 Depth=4
	s_sleep 1
	s_trap 2
	ds_read_b64 v[8:9], v0
	s_waitcnt lgkmcnt(0)
	buffer_gl0_inv
	s_andn2_b32 s63, s63, exec_lo
	v_cmp_ge_u64_e32 vcc_lo, v[8:9], v[28:29]
	s_orn2_b32 s75, vcc_lo, exec_lo
	s_branch .LBB2_2272
.LBB2_2277:                             ;   in Loop: Header=BB2_2220 Depth=3
	s_andn2_saveexec_b32 s21, s16
	s_cbranch_execnz .LBB2_2285
	s_branch .LBB2_2288
.LBB2_2278:                             ;   in Loop: Header=BB2_2220 Depth=3
	s_inst_prefetch 0x2
	s_or_b32 exec_lo, exec_lo, s61
	s_and_saveexec_b32 s61, s62
	s_xor_b32 s61, exec_lo, s61
	s_cbranch_execz .LBB2_2280
; %bb.2279:                             ;   in Loop: Header=BB2_2220 Depth=3
	ds_write_b32 v0, v100
	s_trap 2
.LBB2_2280:                             ;   in Loop: Header=BB2_2220 Depth=3
	s_or_b32 exec_lo, exec_lo, s23
	;;#ASMSTART
	s_wakeup
	;;#ASMEND
.LBB2_2281:                             ;   in Loop: Header=BB2_2220 Depth=3
	s_or_b32 exec_lo, exec_lo, s22
.LBB2_2282:                             ;   in Loop: Header=BB2_2220 Depth=3
	s_andn2_saveexec_b32 s21, s21
	s_cbranch_execz .LBB2_2284
; %bb.2283:                             ;   in Loop: Header=BB2_2220 Depth=3
	;;#ASMSTART
	s_waitcnt lgkmcnt(0) vmcnt(0)
	;;#ASMEND
	s_barrier
.LBB2_2284:                             ;   in Loop: Header=BB2_2220 Depth=3
	s_or_b32 exec_lo, exec_lo, s21
	v_and_b32_e32 v3, 16, v84
	s_andn2_saveexec_b32 s21, s16
	s_cbranch_execz .LBB2_2288
.LBB2_2285:                             ;   in Loop: Header=BB2_2220 Depth=3
	s_trap 2
	ds_read_b32 v3, v0
	v_cmp_lt_i32_e32 vcc_lo, 0, v54
	s_waitcnt lgkmcnt(0)
	v_readfirstlane_b32 s16, v3
	v_and_b32_e32 v3, 16, v84
	s_cmp_eq_u32 s16, 0
	v_cmp_ne_u32_e64 s16, 0, v3
	s_cselect_b32 s22, -1, 0
	v_and_b32_e32 v3, 16, v84
	s_and_b32 s22, vcc_lo, s22
	s_and_b32 s22, s16, s22
	s_and_saveexec_b32 s16, s22
	s_cbranch_execz .LBB2_2287
; %bb.2286:                             ;   in Loop: Header=BB2_2220 Depth=3
	v_mov_b32_e32 v3, 1
	s_waitcnt vmcnt(0)
	s_waitcnt_vscnt null, 0x0
	buffer_gl1_inv
	buffer_gl0_inv
.LBB2_2287:                             ;   in Loop: Header=BB2_2220 Depth=3
	s_or_b32 exec_lo, exec_lo, s16
.LBB2_2288:                             ;   in Loop: Header=BB2_2220 Depth=3
	s_or_b32 exec_lo, exec_lo, s21
	v_cmp_ne_u32_e32 vcc_lo, 0, v3
	s_xor_b32 s16, s7, -1
	s_and_b32 s21, vcc_lo, s16
	s_and_saveexec_b32 s16, s21
	s_cbranch_execz .LBB2_2290
; %bb.2289:                             ;   in Loop: Header=BB2_2220 Depth=3
	s_waitcnt vmcnt(0) lgkmcnt(0)
	s_waitcnt_vscnt null, 0x0
	flat_store_dword v[26:27], v100
.LBB2_2290:                             ;   in Loop: Header=BB2_2220 Depth=3
	s_or_b32 exec_lo, exec_lo, s16
	v_and_b32_e32 v3, 48, v84
	s_mov_b32 s16, exec_lo
	v_cmpx_ne_u32_e32 0, v3
	s_cbranch_execz .LBB2_2219
; %bb.2291:                             ;   in Loop: Header=BB2_2220 Depth=3
	v_add_co_u32 v50, vcc_lo, v50, 2
	v_add_co_ci_u32_e64 v51, null, 0, v51, vcc_lo
	s_waitcnt vmcnt(0) lgkmcnt(0)
	s_waitcnt_vscnt null, 0x0
	flat_store_dwordx2 v[22:23], v[50:51]
	s_branch .LBB2_2219
.LBB2_2292:                             ;   in Loop: Header=BB2_47 Depth=1
	v_mul_lo_u32 v3, v49, s25
	v_mul_lo_u32 v10, v48, s28
	v_mad_u64_u32 v[8:9], null, v48, s25, 0
	v_mov_b32_e32 v82, 0
	v_add3_u32 v9, v9, v10, v3
	v_sub_co_u32 v10, vcc_lo, v52, v8
	v_sub_co_ci_u32_e64 v11, null, v53, v9, vcc_lo
	v_cmp_lt_i64_e32 vcc_lo, v[48:49], v[10:11]
	v_cndmask_b32_e32 v11, v10, v48, vcc_lo
	v_max_i32_e32 v3, 0, v11
	v_cmp_lt_i32_e32 vcc_lo, 0, v11
	v_add_nc_u32_e32 v10, 31, v3
	s_and_b32 s16, s57, vcc_lo
	v_lshrrev_b32_e32 v10, 1, v10
	v_and_b32_e32 v12, 0x3ffffff0, v10
	v_mov_b32_e32 v10, 0
	v_max_i32_e32 v54, s45, v12
	s_and_saveexec_b32 s21, s16
	s_cbranch_execz .LBB2_6079
; %bb.2293:                             ;   in Loop: Header=BB2_47 Depth=1
	v_add_co_u32 v83, vcc_lo, v8, v47
	v_add_co_ci_u32_e64 v57, null, v9, v56, vcc_lo
	v_mov_b32_e32 v82, 0
	s_mov_b32 s63, 1
	s_mov_b32 s62, -1
	s_mov_b32 s61, 0
	s_branch .LBB2_2295
.LBB2_2294:                             ;   in Loop: Header=BB2_2295 Depth=2
	s_or_b32 exec_lo, exec_lo, s16
	v_add_nc_u32_e32 v82, v54, v82
	s_xor_b32 s16, s62, -1
	v_mov_b32_e32 v10, s63
	s_mov_b32 s62, 0
	s_mov_b32 s63, 2
	v_cmp_ge_i32_e32 vcc_lo, v82, v3
	s_or_b32 s16, s16, vcc_lo
	s_and_b32 s16, exec_lo, s16
	s_or_b32 s61, s16, s61
	s_andn2_b32 exec_lo, exec_lo, s61
	s_cbranch_execz .LBB2_6078
.LBB2_2295:                             ;   Parent Loop BB2_47 Depth=1
                                        ; =>  This Loop Header: Depth=2
                                        ;       Child Loop BB2_2303 Depth 3
                                        ;       Child Loop BB2_2331 Depth 3
                                        ;       Child Loop BB2_2350 Depth 3
                                        ;       Child Loop BB2_2373 Depth 3
                                        ;         Child Loop BB2_2950 Depth 4
                                        ;       Child Loop BB2_3084 Depth 3
                                        ;         Child Loop BB2_3661 Depth 4
                                        ;       Child Loop BB2_3799 Depth 3
                                        ;       Child Loop BB2_4153 Depth 3
                                        ;         Child Loop BB2_4190 Depth 4
                                        ;       Child Loop BB2_4213 Depth 3
                                        ;       Child Loop BB2_4922 Depth 3
                                        ;       Child Loop BB2_5632 Depth 3
                                        ;       Child Loop BB2_5989 Depth 3
                                        ;       Child Loop BB2_6040 Depth 3
                                        ;       Child Loop BB2_6063 Depth 3
	s_and_saveexec_b32 s17, s4
	s_cbranch_execz .LBB2_2297
; %bb.2296:                             ;   in Loop: Header=BB2_2295 Depth=2
	s_trap 2
	ds_read2_b64 v[8:11], v0 offset1:1
	ds_read_b64 v[12:13], v0
	v_ashrrev_i32_e32 v14, 31, v82
	s_waitcnt lgkmcnt(1)
	v_add_co_u32 v8, vcc_lo, v8, v83
	v_add_co_ci_u32_e64 v9, null, v9, v57, vcc_lo
	v_add_co_u32 v10, vcc_lo, v10, v83
	v_add_co_ci_u32_e64 v11, null, v11, v57, vcc_lo
	s_waitcnt lgkmcnt(0)
	v_add_co_u32 v15, vcc_lo, v12, v83
	v_add_co_ci_u32_e64 v55, null, v13, v57, vcc_lo
	v_add_co_u32 v8, vcc_lo, v8, v82
	v_add_co_ci_u32_e64 v9, null, v9, v14, vcc_lo
	;; [unrolled: 2-line block ×3, first 2 shown]
	v_cmp_ne_u64_e32 vcc_lo, 0, v[12:13]
	v_add_co_u32 v10, s16, v10, v82
	v_add_co_ci_u32_e64 v11, null, v11, v14, s16
	v_cndmask_b32_e32 v13, 0, v55, vcc_lo
	v_cndmask_b32_e32 v12, 0, v15, vcc_lo
	ds_write_b64 v0, v[8:9]
	ds_write_b64 v0, v[10:11]
	;; [unrolled: 1-line block ×3, first 2 shown]
.LBB2_2297:                             ;   in Loop: Header=BB2_2295 Depth=2
	s_or_b32 exec_lo, exec_lo, s17
	v_sub_nc_u32_e32 v8, v3, v82
	v_and_b32_e32 v9, 12, v84
	s_mov_b32 s17, exec_lo
	v_min_i32_e32 v54, v54, v8
	v_cmpx_ne_u32_e32 0, v9
	s_cbranch_execz .LBB2_2323
; %bb.2298:                             ;   in Loop: Header=BB2_2295 Depth=2
	v_and_b32_e32 v64, 8, v84
	s_mov_b32 s18, exec_lo
	s_waitcnt vmcnt(0) lgkmcnt(1)
	v_add_co_u32 v10, vcc_lo, v32, v64
	v_add_co_ci_u32_e64 v11, null, 0, v33, vcc_lo
	v_add_co_u32 v8, vcc_lo, v50, 2
	v_add_co_ci_u32_e64 v9, null, 0, v51, vcc_lo
	v_cmpx_lt_u64_e64 v[10:11], v[8:9]
	s_cbranch_execz .LBB2_2310
; %bb.2299:                             ;   in Loop: Header=BB2_2295 Depth=2
	v_and_b32_e32 v10, 64, v84
	s_mov_b32 s19, 0
	s_mov_b32 s73, 0
                                        ; implicit-def: $sgpr22
                                        ; implicit-def: $sgpr23
                                        ; implicit-def: $sgpr72
	v_cmp_eq_u32_e32 vcc_lo, 0, v10
	s_branch .LBB2_2303
.LBB2_2300:                             ;   in Loop: Header=BB2_2303 Depth=3
	s_waitcnt vmcnt(0) lgkmcnt(0)
	v_add_co_u32 v11, s16, v32, v64
	v_add_co_ci_u32_e64 v12, null, 0, v33, s16
	s_or_b32 s76, s76, exec_lo
	v_cmp_ge_u64_e64 s16, v[11:12], v[8:9]
	s_orn2_b32 s75, s16, exec_lo
.LBB2_2301:                             ;   in Loop: Header=BB2_2303 Depth=3
	s_or_b32 exec_lo, exec_lo, s78
	s_andn2_b32 s16, s72, exec_lo
	s_and_b32 s72, s76, exec_lo
	s_andn2_b32 s23, s23, exec_lo
	s_and_b32 s75, s75, exec_lo
	s_or_b32 s72, s16, s72
	s_or_b32 s23, s23, s75
.LBB2_2302:                             ;   in Loop: Header=BB2_2303 Depth=3
	s_or_b32 exec_lo, exec_lo, s74
	s_and_b32 s16, exec_lo, s23
	s_or_b32 s19, s16, s19
	s_andn2_b32 s16, s22, exec_lo
	s_and_b32 s22, s72, exec_lo
	s_or_b32 s22, s16, s22
	s_andn2_b32 exec_lo, exec_lo, s19
	s_cbranch_execz .LBB2_2307
.LBB2_2303:                             ;   Parent Loop BB2_47 Depth=1
                                        ;     Parent Loop BB2_2295 Depth=2
                                        ; =>    This Inner Loop Header: Depth=3
	s_sleep 1
	s_waitcnt vmcnt(0) lgkmcnt(0)
	flat_load_dwordx2 v[32:33], v[22:23] glc dlc
	s_or_b32 s72, s72, exec_lo
	s_or_b32 s23, s23, exec_lo
                                        ; implicit-def: $vgpr10
	s_and_saveexec_b32 s74, vcc_lo
	s_cbranch_execz .LBB2_2302
; %bb.2304:                             ;   in Loop: Header=BB2_2303 Depth=3
	s_cmpk_lt_i32 s73, 0x270f
	s_mov_b32 s75, -1
	s_cselect_b32 s77, -1, 0
	s_cmpk_gt_i32 s73, 0x270e
	s_cbranch_scc0 .LBB2_2306
; %bb.2305:                             ;   in Loop: Header=BB2_2303 Depth=3
	s_trap 2
	ds_read_b64 v[10:11], v0
	s_andn2_b32 s73, s77, exec_lo
	s_mov_b32 s76, 0
	s_waitcnt vmcnt(0) lgkmcnt(0)
	s_waitcnt_vscnt null, 0x0
	flat_load_dword v10, v[10:11] glc dlc
	s_waitcnt vmcnt(0) lgkmcnt(0)
	buffer_gl1_inv
	buffer_gl0_inv
	v_cmp_eq_u32_e64 s16, 0, v10
	s_and_b32 s16, s16, exec_lo
	s_or_b32 s77, s73, s16
	s_mov_b32 s73, 0
	s_and_saveexec_b32 s78, s77
	s_cbranch_execz .LBB2_2301
	s_branch .LBB2_2300
.LBB2_2306:                             ;   in Loop: Header=BB2_2303 Depth=3
	s_add_i32 s73, s73, 1
	s_mov_b32 s76, -1
                                        ; implicit-def: $vgpr10
	s_and_saveexec_b32 s78, s77
	s_cbranch_execz .LBB2_2301
	s_branch .LBB2_2300
.LBB2_2307:                             ;   in Loop: Header=BB2_2295 Depth=2
	s_or_b32 exec_lo, exec_lo, s19
	s_xor_b32 s16, s22, -1
	s_and_saveexec_b32 s19, s16
	s_xor_b32 s16, exec_lo, s19
	s_cbranch_execz .LBB2_2309
; %bb.2308:                             ;   in Loop: Header=BB2_2295 Depth=2
	v_or_b32_e32 v84, 64, v84
	s_waitcnt vmcnt(0) lgkmcnt(0)
	s_waitcnt_vscnt null, 0x0
	ds_write_b32 v0, v10
	s_trap 2
.LBB2_2309:                             ;   in Loop: Header=BB2_2295 Depth=2
	s_or_b32 exec_lo, exec_lo, s16
.LBB2_2310:                             ;   in Loop: Header=BB2_2295 Depth=2
	s_or_b32 exec_lo, exec_lo, s18
	v_and_b32_e32 v10, 0x108, v84
	;;#ASMSTART
	s_wakeup
	;;#ASMEND
	v_cmp_ne_u32_e32 vcc_lo, 0x108, v10
                                        ; implicit-def: $vgpr10_vgpr11
	s_and_saveexec_b32 s16, vcc_lo
	s_xor_b32 s16, exec_lo, s16
; %bb.2311:                             ;   in Loop: Header=BB2_2295 Depth=2
	v_and_b32_e32 v10, 7, v50
	v_mov_b32_e32 v11, v2
                                        ; implicit-def: $vgpr50_vgpr51
; %bb.2312:                             ;   in Loop: Header=BB2_2295 Depth=2
	s_andn2_saveexec_b32 s16, s16
	s_cbranch_execz .LBB2_2314
; %bb.2313:                             ;   in Loop: Header=BB2_2295 Depth=2
	v_and_b32_e32 v10, 7, v50
	v_ashrrev_i32_e32 v55, 31, v54
	v_mov_b32_e32 v11, v2
	v_mad_u64_u32 v[12:13], null, v10, 24, v[6:7]
	flat_store_dwordx2 v[12:13], v[54:55] offset:8
.LBB2_2314:                             ;   in Loop: Header=BB2_2295 Depth=2
	s_or_b32 exec_lo, exec_lo, s16
	v_and_b32_e32 v12, 0x100, v84
	s_mov_b32 s16, -1
	v_cmp_ne_u32_e32 vcc_lo, 0, v12
                                        ; implicit-def: $vgpr12_vgpr13
	s_and_saveexec_b32 s18, vcc_lo
	s_cbranch_execz .LBB2_2318
; %bb.2315:                             ;   in Loop: Header=BB2_2295 Depth=2
	v_mad_u64_u32 v[14:15], null, v10, 24, v[6:7]
	v_mov_b32_e32 v12, v15
	v_mad_u64_u32 v[12:13], null, v11, 24, v[12:13]
	v_mov_b32_e32 v15, v12
	flat_load_dword v12, v[14:15]
	s_waitcnt vmcnt(0) lgkmcnt(0)
	v_cmp_eq_u32_e64 s16, 1, v12
	v_cmp_ne_u32_e32 vcc_lo, 1, v12
                                        ; implicit-def: $vgpr12_vgpr13
	s_and_saveexec_b32 s19, s16
	s_cbranch_execz .LBB2_2317
; %bb.2316:                             ;   in Loop: Header=BB2_2295 Depth=2
	flat_load_dword v12, v[14:15] offset:4 glc dlc
	s_waitcnt vmcnt(0) lgkmcnt(0)
	v_ashrrev_i32_e32 v13, 31, v12
.LBB2_2317:                             ;   in Loop: Header=BB2_2295 Depth=2
	s_or_b32 exec_lo, exec_lo, s19
	s_orn2_b32 s16, vcc_lo, exec_lo
.LBB2_2318:                             ;   in Loop: Header=BB2_2295 Depth=2
	s_or_b32 exec_lo, exec_lo, s18
	s_and_saveexec_b32 s18, s16
; %bb.2319:                             ;   in Loop: Header=BB2_2295 Depth=2
	v_mul_lo_u32 v11, v11, v85
	v_mul_lo_u32 v14, v10, v86
	v_mad_u64_u32 v[12:13], null, v10, v85, 0
	v_add3_u32 v13, v13, v14, v11
; %bb.2320:                             ;   in Loop: Header=BB2_2295 Depth=2
	s_or_b32 exec_lo, exec_lo, s18
	v_cmp_eq_u32_e32 vcc_lo, 0, v64
	v_and_b32_e32 v15, 0x2000, v84
	s_mov_b32 s16, exec_lo
	v_cndmask_b32_e32 v14, 0xd0, v101, vcc_lo
	v_add_co_u32 v10, vcc_lo, v24, v12
	v_add_co_ci_u32_e64 v11, null, v25, v13, vcc_lo
	v_add_nc_u32_e32 v12, v0, v14
	ds_write_b64 v12, v[10:11] offset:584
	v_cmpx_ne_u32_e32 0, v15
	s_cbranch_execz .LBB2_2322
; %bb.2321:                             ;   in Loop: Header=BB2_2295 Depth=2
	ds_read_b64 v[10:11], v0 offset:872
	s_waitcnt lgkmcnt(0)
	v_add_co_u32 v10, vcc_lo, v10, 1
	v_add_co_ci_u32_e64 v11, null, 0, v11, vcc_lo
	ds_write_b64 v0, v[10:11] offset:872
.LBB2_2322:                             ;   in Loop: Header=BB2_2295 Depth=2
	s_or_b32 exec_lo, exec_lo, s16
	v_mov_b32_e32 v51, v9
	v_mov_b32_e32 v50, v8
.LBB2_2323:                             ;   in Loop: Header=BB2_2295 Depth=2
	s_or_b32 exec_lo, exec_lo, s17
	s_and_saveexec_b32 s16, s6
	s_cbranch_execz .LBB2_2342
; %bb.2324:                             ;   in Loop: Header=BB2_2295 Depth=2
	s_and_saveexec_b32 s17, s29
	s_xor_b32 s17, exec_lo, s17
	s_cbranch_execz .LBB2_2339
; %bb.2325:                             ;   in Loop: Header=BB2_2295 Depth=2
	s_and_saveexec_b32 s18, s11
	s_cbranch_execz .LBB2_2338
; %bb.2326:                             ;   in Loop: Header=BB2_2295 Depth=2
	s_mov_b32 s22, exec_lo
	s_mov_b32 s19, exec_lo
	v_mbcnt_lo_u32_b32 v8, s22, 0
	s_waitcnt vmcnt(0) lgkmcnt(0)
	s_waitcnt_vscnt null, 0x0
	buffer_gl1_inv
	buffer_gl0_inv
	v_cmpx_eq_u32_e32 0, v8
	s_cbranch_execz .LBB2_2328
; %bb.2327:                             ;   in Loop: Header=BB2_2295 Depth=2
	s_bcnt1_i32_b32 s22, s22
	v_mov_b32_e32 v9, v2
	v_mov_b32_e32 v8, s22
	ds_add_u64 v0, v[8:9]
	s_trap 2
.LBB2_2328:                             ;   in Loop: Header=BB2_2295 Depth=2
	s_or_b32 exec_lo, exec_lo, s19
	s_trap 2
	ds_read_b64 v[8:9], v0
	s_waitcnt lgkmcnt(0)
	buffer_gl0_inv
	v_add_co_u32 v28, vcc_lo, v28, v87
	v_add_co_ci_u32_e64 v29, null, 0, v29, vcc_lo
	s_mov_b32 s19, exec_lo
	v_cmpx_lt_u64_e64 v[8:9], v[28:29]
	s_cbranch_execz .LBB2_2337
; %bb.2329:                             ;   in Loop: Header=BB2_2295 Depth=2
	s_mov_b32 s22, 0
	s_mov_b32 s73, 0
                                        ; implicit-def: $sgpr23
                                        ; implicit-def: $sgpr72
	s_inst_prefetch 0x1
	s_branch .LBB2_2331
	.p2align	6
.LBB2_2330:                             ;   in Loop: Header=BB2_2331 Depth=3
	s_or_b32 exec_lo, exec_lo, s75
	s_and_b32 s74, exec_lo, s76
	s_or_b32 s22, s74, s22
	s_andn2_b32 s23, s23, exec_lo
	s_and_b32 s74, s72, exec_lo
	s_or_b32 s23, s23, s74
	s_andn2_b32 exec_lo, exec_lo, s22
	s_cbranch_execz .LBB2_2335
.LBB2_2331:                             ;   Parent Loop BB2_47 Depth=1
                                        ;     Parent Loop BB2_2295 Depth=2
                                        ; =>    This Inner Loop Header: Depth=3
	s_add_i32 s73, s73, 1
	s_cmpk_lg_i32 s73, 0x2710
	s_cselect_b32 s74, -1, 0
	s_and_b32 vcc_lo, exec_lo, s74
	s_cbranch_vccz .LBB2_2333
; %bb.2332:                             ;   in Loop: Header=BB2_2331 Depth=3
	s_mov_b32 s76, -1
	s_or_b32 s72, s72, exec_lo
	s_and_saveexec_b32 s75, s74
	s_cbranch_execz .LBB2_2330
	s_branch .LBB2_2334
	.p2align	6
.LBB2_2333:                             ;   in Loop: Header=BB2_2331 Depth=3
	s_trap 2
	ds_read_b64 v[8:9], v0
	s_andn2_b32 s74, s74, exec_lo
	s_mov_b32 s73, 0
	s_waitcnt lgkmcnt(0)
	flat_load_dword v8, v[8:9] glc dlc
	s_waitcnt vmcnt(0) lgkmcnt(0)
	buffer_gl1_inv
	buffer_gl0_inv
	v_cmp_eq_u32_e32 vcc_lo, 0, v8
	s_and_b32 s75, vcc_lo, exec_lo
	s_or_b32 s74, s74, s75
	s_mov_b32 s76, -1
	s_or_b32 s72, s72, exec_lo
	s_and_saveexec_b32 s75, s74
	s_cbranch_execz .LBB2_2330
.LBB2_2334:                             ;   in Loop: Header=BB2_2331 Depth=3
	s_sleep 1
	s_trap 2
	ds_read_b64 v[8:9], v0
	s_waitcnt lgkmcnt(0)
	buffer_gl0_inv
	s_andn2_b32 s72, s72, exec_lo
	v_cmp_ge_u64_e32 vcc_lo, v[8:9], v[28:29]
	s_orn2_b32 s76, vcc_lo, exec_lo
	s_branch .LBB2_2330
.LBB2_2335:                             ;   in Loop: Header=BB2_2295 Depth=2
	s_inst_prefetch 0x2
	s_or_b32 exec_lo, exec_lo, s22
	s_and_saveexec_b32 s22, s23
	s_xor_b32 s22, exec_lo, s22
	s_cbranch_execz .LBB2_2337
; %bb.2336:                             ;   in Loop: Header=BB2_2295 Depth=2
	ds_write_b32 v0, v100
	s_trap 2
.LBB2_2337:                             ;   in Loop: Header=BB2_2295 Depth=2
	s_or_b32 exec_lo, exec_lo, s19
	;;#ASMSTART
	s_wakeup
	;;#ASMEND
.LBB2_2338:                             ;   in Loop: Header=BB2_2295 Depth=2
	s_or_b32 exec_lo, exec_lo, s18
.LBB2_2339:                             ;   in Loop: Header=BB2_2295 Depth=2
	s_andn2_saveexec_b32 s17, s17
	s_cbranch_execz .LBB2_2341
; %bb.2340:                             ;   in Loop: Header=BB2_2295 Depth=2
	s_waitcnt vmcnt(0) lgkmcnt(0)
	s_waitcnt_vscnt null, 0x0
	buffer_gl1_inv
	buffer_gl0_inv
	s_barrier
.LBB2_2341:                             ;   in Loop: Header=BB2_2295 Depth=2
	s_or_b32 exec_lo, exec_lo, s17
.LBB2_2342:                             ;   in Loop: Header=BB2_2295 Depth=2
	s_or_b32 exec_lo, exec_lo, s16
	s_trap 2
	ds_read_b32 v8, v0
	v_and_b32_e32 v9, 0x4000, v84
	s_xor_b32 s16, s5, -1
	v_cmp_ne_u32_e32 vcc_lo, 0, v9
	s_and_b32 s17, s16, vcc_lo
	s_and_saveexec_b32 s16, s17
	s_cbranch_execz .LBB2_2361
; %bb.2343:                             ;   in Loop: Header=BB2_2295 Depth=2
	s_and_saveexec_b32 s17, s29
	s_xor_b32 s17, exec_lo, s17
	s_cbranch_execz .LBB2_2358
; %bb.2344:                             ;   in Loop: Header=BB2_2295 Depth=2
	s_and_saveexec_b32 s18, s11
	s_cbranch_execz .LBB2_2357
; %bb.2345:                             ;   in Loop: Header=BB2_2295 Depth=2
	s_mov_b32 s22, exec_lo
	s_mov_b32 s19, exec_lo
	v_mbcnt_lo_u32_b32 v9, s22, 0
	s_waitcnt vmcnt(0) lgkmcnt(0)
	s_waitcnt_vscnt null, 0x0
	buffer_gl1_inv
	buffer_gl0_inv
	v_cmpx_eq_u32_e32 0, v9
	s_cbranch_execz .LBB2_2347
; %bb.2346:                             ;   in Loop: Header=BB2_2295 Depth=2
	s_bcnt1_i32_b32 s22, s22
	v_mov_b32_e32 v10, v2
	v_mov_b32_e32 v9, s22
	ds_add_u64 v0, v[9:10]
	s_trap 2
.LBB2_2347:                             ;   in Loop: Header=BB2_2295 Depth=2
	s_or_b32 exec_lo, exec_lo, s19
	s_trap 2
	ds_read_b64 v[9:10], v0
	s_waitcnt lgkmcnt(0)
	buffer_gl0_inv
	v_add_co_u32 v28, vcc_lo, v28, v87
	v_add_co_ci_u32_e64 v29, null, 0, v29, vcc_lo
	s_mov_b32 s19, exec_lo
	v_cmpx_lt_u64_e64 v[9:10], v[28:29]
	s_cbranch_execz .LBB2_2356
; %bb.2348:                             ;   in Loop: Header=BB2_2295 Depth=2
	s_mov_b32 s22, 0
	s_mov_b32 s73, 0
                                        ; implicit-def: $sgpr23
                                        ; implicit-def: $sgpr72
	s_inst_prefetch 0x1
	s_branch .LBB2_2350
	.p2align	6
.LBB2_2349:                             ;   in Loop: Header=BB2_2350 Depth=3
	s_or_b32 exec_lo, exec_lo, s75
	s_and_b32 s74, exec_lo, s76
	s_or_b32 s22, s74, s22
	s_andn2_b32 s23, s23, exec_lo
	s_and_b32 s74, s72, exec_lo
	s_or_b32 s23, s23, s74
	s_andn2_b32 exec_lo, exec_lo, s22
	s_cbranch_execz .LBB2_2354
.LBB2_2350:                             ;   Parent Loop BB2_47 Depth=1
                                        ;     Parent Loop BB2_2295 Depth=2
                                        ; =>    This Inner Loop Header: Depth=3
	s_add_i32 s73, s73, 1
	s_cmpk_lg_i32 s73, 0x2710
	s_cselect_b32 s74, -1, 0
	s_and_b32 vcc_lo, exec_lo, s74
	s_cbranch_vccz .LBB2_2352
; %bb.2351:                             ;   in Loop: Header=BB2_2350 Depth=3
	s_mov_b32 s76, -1
	s_or_b32 s72, s72, exec_lo
	s_and_saveexec_b32 s75, s74
	s_cbranch_execz .LBB2_2349
	s_branch .LBB2_2353
	.p2align	6
.LBB2_2352:                             ;   in Loop: Header=BB2_2350 Depth=3
	s_trap 2
	ds_read_b64 v[9:10], v0
	s_andn2_b32 s74, s74, exec_lo
	s_mov_b32 s73, 0
	s_waitcnt lgkmcnt(0)
	flat_load_dword v9, v[9:10] glc dlc
	s_waitcnt vmcnt(0) lgkmcnt(0)
	buffer_gl1_inv
	buffer_gl0_inv
	v_cmp_eq_u32_e32 vcc_lo, 0, v9
	s_and_b32 s75, vcc_lo, exec_lo
	s_or_b32 s74, s74, s75
	s_mov_b32 s76, -1
	s_or_b32 s72, s72, exec_lo
	s_and_saveexec_b32 s75, s74
	s_cbranch_execz .LBB2_2349
.LBB2_2353:                             ;   in Loop: Header=BB2_2350 Depth=3
	s_sleep 1
	s_trap 2
	ds_read_b64 v[9:10], v0
	s_waitcnt lgkmcnt(0)
	buffer_gl0_inv
	s_andn2_b32 s72, s72, exec_lo
	v_cmp_ge_u64_e32 vcc_lo, v[9:10], v[28:29]
	s_orn2_b32 s76, vcc_lo, exec_lo
	s_branch .LBB2_2349
.LBB2_2354:                             ;   in Loop: Header=BB2_2295 Depth=2
	s_inst_prefetch 0x2
	s_or_b32 exec_lo, exec_lo, s22
	s_and_saveexec_b32 s22, s23
	s_xor_b32 s22, exec_lo, s22
	s_cbranch_execz .LBB2_2356
; %bb.2355:                             ;   in Loop: Header=BB2_2295 Depth=2
	ds_write_b32 v0, v100
	s_trap 2
.LBB2_2356:                             ;   in Loop: Header=BB2_2295 Depth=2
	s_or_b32 exec_lo, exec_lo, s19
	;;#ASMSTART
	s_wakeup
	;;#ASMEND
.LBB2_2357:                             ;   in Loop: Header=BB2_2295 Depth=2
	s_or_b32 exec_lo, exec_lo, s18
.LBB2_2358:                             ;   in Loop: Header=BB2_2295 Depth=2
	s_andn2_saveexec_b32 s17, s17
	s_cbranch_execz .LBB2_2360
; %bb.2359:                             ;   in Loop: Header=BB2_2295 Depth=2
	s_waitcnt vmcnt(0) lgkmcnt(0)
	s_waitcnt_vscnt null, 0x0
	buffer_gl1_inv
	buffer_gl0_inv
	s_barrier
.LBB2_2360:                             ;   in Loop: Header=BB2_2295 Depth=2
	s_or_b32 exec_lo, exec_lo, s17
.LBB2_2361:                             ;   in Loop: Header=BB2_2295 Depth=2
	s_or_b32 exec_lo, exec_lo, s16
	s_trap 2
	s_waitcnt vmcnt(0) lgkmcnt(2)
	ds_read_b64 v[64:65], v0
	s_waitcnt lgkmcnt(0)
	v_cmp_eq_u64_e32 vcc_lo, 0, v[64:65]
	s_cbranch_vccnz .LBB2_2370
; %bb.2362:                             ;   in Loop: Header=BB2_2295 Depth=2
	s_trap 2
	ds_read_b64 v[66:67], v0
	s_waitcnt lgkmcnt(0)
	v_cmp_eq_u64_e32 vcc_lo, 0, v[66:67]
	s_cbranch_vccnz .LBB2_2370
; %bb.2363:                             ;   in Loop: Header=BB2_2295 Depth=2
	s_trap 2
	ds_read_b64 v[68:69], v0
	v_cmp_eq_u32_e64 s16, 0, v8
	v_cndmask_b32_e64 v55, 0, v54, s16
	s_mov_b32 s16, -1
	s_waitcnt lgkmcnt(0)
	v_cmp_ne_u64_e32 vcc_lo, 0, v[68:69]
	v_readfirstlane_b32 s72, v68
	s_cbranch_vccz .LBB2_4201
; %bb.2364:                             ;   in Loop: Header=BB2_2295 Depth=2
	s_and_saveexec_b32 s17, s14
	s_cbranch_execz .LBB2_2366
; %bb.2365:                             ;   in Loop: Header=BB2_2295 Depth=2
	ds_read_b32 v8, v0 offset:720
	s_waitcnt lgkmcnt(0)
	v_and_b32_e32 v8, 15, v8
	v_cmp_eq_u32_e32 vcc_lo, 0, v8
	s_orn2_b32 s16, vcc_lo, exec_lo
.LBB2_2366:                             ;   in Loop: Header=BB2_2295 Depth=2
	s_or_b32 exec_lo, exec_lo, s17
	s_and_saveexec_b32 s17, s14
	s_cbranch_execz .LBB2_2368
; %bb.2367:                             ;   in Loop: Header=BB2_2295 Depth=2
	ds_read_b32 v8, v0 offset:784
	s_waitcnt lgkmcnt(0)
	v_and_b32_e32 v8, 15, v8
	v_cmp_eq_u32_e32 vcc_lo, 0, v8
	s_and_b32 s18, s16, vcc_lo
	s_andn2_b32 s16, s16, exec_lo
	s_and_b32 s18, s18, exec_lo
	s_or_b32 s16, s16, s18
.LBB2_2368:                             ;   in Loop: Header=BB2_2295 Depth=2
	s_or_b32 exec_lo, exec_lo, s17
	s_xor_b32 s16, s16, -1
	v_mov_b32_e32 v70, 0
	v_cndmask_b32_e64 v8, 0, 1, s16
	v_mov_b32_e32 v71, v55
	v_mov_b32_e32 v80, v0
	s_mov_b32 s17, -1
	v_cmp_ne_u32_e32 vcc_lo, 0, v8
	s_cbranch_vccz .LBB2_2371
; %bb.2369:                             ;   in Loop: Header=BB2_2295 Depth=2
	s_and_saveexec_b32 s22, s17
	s_cbranch_execz .LBB2_4200
	s_branch .LBB2_3794
.LBB2_2370:                             ;   in Loop: Header=BB2_2295 Depth=2
	s_mov_b32 s16, 0
	s_and_saveexec_b32 s17, s6
	s_cbranch_execnz .LBB2_6033
	s_branch .LBB2_6051
.LBB2_2371:                             ;   in Loop: Header=BB2_2295 Depth=2
	v_ashrrev_i32_e32 v8, 31, v55
	v_sub_nc_u32_e32 v59, v55, v99
	s_mov_b32 s19, exec_lo
	v_lshrrev_b32_e32 v8, 23, v8
	v_add_nc_u32_e32 v8, v55, v8
	v_and_b32_e32 v58, 0xfffffe00, v8
	v_ashrrev_i32_e32 v8, 9, v8
	v_sub_nc_u32_e32 v60, v55, v58
	v_sub_nc_u32_e32 v8, v8, v97
	v_cmp_lt_i32_e64 s16, 15, v60
	v_add_co_ci_u32_e64 v61, null, 0, v8, s16
	v_cmpx_lt_i32_e32 15, v59
	s_cbranch_execz .LBB2_3081
; %bb.2372:                             ;   in Loop: Header=BB2_2295 Depth=2
	s_trap 2
	ds_read_b64 v[8:9], v0
	v_add_co_u32 v62, vcc_lo, v66, v99
	v_add_co_ci_u32_e64 v63, null, 0, v67, vcc_lo
	v_add_co_u32 v72, vcc_lo, v68, v99
	v_add_co_ci_u32_e64 v73, null, 0, v69, vcc_lo
	;; [unrolled: 2-line block ×3, first 2 shown]
	s_bitcmp1_b32 s72, 0
	s_mov_b32 s73, 0
	s_cselect_b32 s74, -1, 0
	s_waitcnt lgkmcnt(0)
	v_add_co_u32 v80, vcc_lo, v8, v99
	v_add_co_ci_u32_e64 v81, null, 0, v9, vcc_lo
.LBB2_2373:                             ;   Parent Loop BB2_47 Depth=1
                                        ;     Parent Loop BB2_2295 Depth=2
                                        ; =>    This Loop Header: Depth=3
                                        ;         Child Loop BB2_2950 Depth 4
	global_load_dwordx4 v[8:11], v[80:81], off slc
	global_load_dwordx4 v[12:15], v[70:71], off slc
	s_mov_b32 s17, -1
	s_waitcnt vmcnt(1)
	v_and_b32_e32 v74, 7, v8
	v_bfe_u32 v77, v8, 3, 4
	v_lshlrev_b32_e32 v78, 24, v8
	s_waitcnt vmcnt(0)
	v_cmp_gt_i16_sdwa s18, v12, v102 src0_sel:BYTE_0 src1_sel:DWORD
	v_ffbh_u32_e32 v75, v74
	v_cmp_eq_u32_e32 vcc_lo, 0, v77
	v_min_u32_e32 v75, 32, v75
	v_subrev_nc_u32_e32 v76, 28, v75
	v_sub_nc_u32_e32 v75, 29, v75
	v_lshlrev_b32_e32 v76, v76, v8
	v_cndmask_b32_e32 v75, v77, v75, vcc_lo
	v_and_b32_e32 v76, 7, v76
	v_lshl_add_u32 v75, v75, 23, 0x3b800000
	v_cndmask_b32_e32 v74, v74, v76, vcc_lo
	v_and_b32_e32 v76, 0x80000000, v78
	s_and_b32 vcc_lo, exec_lo, s74
	v_lshlrev_b32_e32 v74, 20, v74
	v_or3_b32 v74, v76, v75, v74
                                        ; implicit-def: $vgpr75
	s_cbranch_vccz .LBB2_2387
; %bb.2374:                             ;   in Loop: Header=BB2_2373 Depth=3
	s_mov_b32 s17, 0
	s_and_saveexec_b32 s22, s18
	s_xor_b32 s18, exec_lo, s22
	s_cbranch_execz .LBB2_2952
; %bb.2375:                             ;   in Loop: Header=BB2_2373 Depth=3
	v_cmp_eq_u16_sdwa s23, v12, v103 src0_sel:BYTE_0 src1_sel:DWORD
	s_mov_b32 s17, -1
	s_and_saveexec_b32 s22, s23
; %bb.2376:                             ;   in Loop: Header=BB2_2373 Depth=3
	s_xor_b32 s17, exec_lo, -1
; %bb.2377:                             ;   in Loop: Header=BB2_2373 Depth=3
	s_or_b32 exec_lo, exec_lo, s22
	s_and_b32 s17, s17, exec_lo
	s_or_saveexec_b32 s18, s18
	v_mov_b32_e32 v75, 0x7f800001
	s_xor_b32 exec_lo, exec_lo, s18
	s_cbranch_execnz .LBB2_2953
.LBB2_2378:                             ;   in Loop: Header=BB2_2373 Depth=3
	s_or_b32 exec_lo, exec_lo, s18
	s_and_saveexec_b32 s18, s17
	s_cbranch_execz .LBB2_2380
.LBB2_2379:                             ;   in Loop: Header=BB2_2373 Depth=3
	v_and_b32_e32 v75, 7, v12
	v_bfe_u32 v78, v12, 3, 4
	v_lshlrev_b32_e32 v79, 24, v12
	v_ffbh_u32_e32 v76, v75
	v_cmp_eq_u32_e32 vcc_lo, 0, v78
	v_min_u32_e32 v76, 32, v76
	v_subrev_nc_u32_e32 v77, 28, v76
	v_sub_nc_u32_e32 v76, 29, v76
	v_lshlrev_b32_e32 v77, v77, v12
	v_cndmask_b32_e32 v76, v78, v76, vcc_lo
	v_and_b32_e32 v77, 7, v77
	v_lshl_add_u32 v76, v76, 23, 0x3b800000
	v_cndmask_b32_e32 v75, v75, v77, vcc_lo
	v_and_b32_e32 v77, 0x80000000, v79
	v_lshlrev_b32_e32 v75, 20, v75
	v_or3_b32 v75, v77, v76, v75
.LBB2_2380:                             ;   in Loop: Header=BB2_2373 Depth=3
	s_or_b32 exec_lo, exec_lo, s18
	v_cmp_gt_i16_sdwa s18, v8, v102 src0_sel:BYTE_0 src1_sel:DWORD
	s_mov_b32 s17, 0
	s_and_saveexec_b32 s22, s18
	s_xor_b32 s18, exec_lo, s22
	s_cbranch_execz .LBB2_2954
; %bb.2381:                             ;   in Loop: Header=BB2_2373 Depth=3
	v_cmp_eq_u16_sdwa s23, v8, v103 src0_sel:BYTE_0 src1_sel:DWORD
	s_mov_b32 s17, -1
	s_and_saveexec_b32 s22, s23
; %bb.2382:                             ;   in Loop: Header=BB2_2373 Depth=3
	s_xor_b32 s17, exec_lo, -1
; %bb.2383:                             ;   in Loop: Header=BB2_2373 Depth=3
	s_or_b32 exec_lo, exec_lo, s22
	s_and_b32 s17, s17, exec_lo
	s_or_saveexec_b32 s18, s18
	v_mov_b32_e32 v76, 0x7f800001
	s_xor_b32 exec_lo, exec_lo, s18
	s_cbranch_execnz .LBB2_2955
.LBB2_2384:                             ;   in Loop: Header=BB2_2373 Depth=3
	s_or_b32 exec_lo, exec_lo, s18
	s_and_saveexec_b32 s18, s17
.LBB2_2385:                             ;   in Loop: Header=BB2_2373 Depth=3
	v_mov_b32_e32 v76, v74
.LBB2_2386:                             ;   in Loop: Header=BB2_2373 Depth=3
	s_or_b32 exec_lo, exec_lo, s18
	v_max_f32_e32 v76, v76, v76
	v_max_f32_e32 v75, v75, v75
	s_mov_b32 s17, 0
	v_max_f32_e32 v75, v75, v76
.LBB2_2387:                             ;   in Loop: Header=BB2_2373 Depth=3
	s_and_b32 vcc_lo, exec_lo, s17
	s_cbranch_vccz .LBB2_2401
; %bb.2388:                             ;   in Loop: Header=BB2_2373 Depth=3
	v_cmp_gt_i16_sdwa s18, v12, v102 src0_sel:BYTE_0 src1_sel:DWORD
	s_mov_b32 s17, 0
	s_and_saveexec_b32 s22, s18
	s_xor_b32 s18, exec_lo, s22
	s_cbranch_execz .LBB2_2956
; %bb.2389:                             ;   in Loop: Header=BB2_2373 Depth=3
	v_cmp_eq_u16_sdwa s23, v12, v103 src0_sel:BYTE_0 src1_sel:DWORD
	s_mov_b32 s17, -1
	s_and_saveexec_b32 s22, s23
; %bb.2390:                             ;   in Loop: Header=BB2_2373 Depth=3
	s_xor_b32 s17, exec_lo, -1
; %bb.2391:                             ;   in Loop: Header=BB2_2373 Depth=3
	s_or_b32 exec_lo, exec_lo, s22
	s_and_b32 s17, s17, exec_lo
	s_or_saveexec_b32 s18, s18
	v_mov_b32_e32 v75, 0x7f800001
	s_xor_b32 exec_lo, exec_lo, s18
	s_cbranch_execnz .LBB2_2957
.LBB2_2392:                             ;   in Loop: Header=BB2_2373 Depth=3
	s_or_b32 exec_lo, exec_lo, s18
	s_and_saveexec_b32 s18, s17
	s_cbranch_execz .LBB2_2394
.LBB2_2393:                             ;   in Loop: Header=BB2_2373 Depth=3
	v_and_b32_e32 v75, 7, v12
	v_bfe_u32 v78, v12, 3, 4
	v_lshlrev_b32_e32 v79, 24, v12
	v_ffbh_u32_e32 v76, v75
	v_cmp_eq_u32_e32 vcc_lo, 0, v78
	v_min_u32_e32 v76, 32, v76
	v_subrev_nc_u32_e32 v77, 28, v76
	v_sub_nc_u32_e32 v76, 29, v76
	v_lshlrev_b32_e32 v77, v77, v12
	v_cndmask_b32_e32 v76, v78, v76, vcc_lo
	v_and_b32_e32 v77, 7, v77
	v_lshl_add_u32 v76, v76, 23, 0x3b800000
	v_cndmask_b32_e32 v75, v75, v77, vcc_lo
	v_and_b32_e32 v77, 0x80000000, v79
	v_lshlrev_b32_e32 v75, 20, v75
	v_or3_b32 v75, v77, v76, v75
.LBB2_2394:                             ;   in Loop: Header=BB2_2373 Depth=3
	s_or_b32 exec_lo, exec_lo, s18
	v_cmp_gt_i16_sdwa s18, v8, v102 src0_sel:BYTE_0 src1_sel:DWORD
	s_mov_b32 s17, 0
	s_and_saveexec_b32 s22, s18
	s_xor_b32 s18, exec_lo, s22
	s_cbranch_execz .LBB2_2958
; %bb.2395:                             ;   in Loop: Header=BB2_2373 Depth=3
	v_cmp_eq_u16_sdwa s23, v8, v103 src0_sel:BYTE_0 src1_sel:DWORD
	s_mov_b32 s17, -1
	s_and_saveexec_b32 s22, s23
; %bb.2396:                             ;   in Loop: Header=BB2_2373 Depth=3
	s_xor_b32 s17, exec_lo, -1
; %bb.2397:                             ;   in Loop: Header=BB2_2373 Depth=3
	s_or_b32 exec_lo, exec_lo, s22
	s_and_b32 s17, s17, exec_lo
	s_or_saveexec_b32 s18, s18
	v_mov_b32_e32 v76, 0x7f800001
	s_xor_b32 exec_lo, exec_lo, s18
	s_cbranch_execnz .LBB2_2959
.LBB2_2398:                             ;   in Loop: Header=BB2_2373 Depth=3
	s_or_b32 exec_lo, exec_lo, s18
	s_and_saveexec_b32 s18, s17
.LBB2_2399:                             ;   in Loop: Header=BB2_2373 Depth=3
	v_mov_b32_e32 v76, v74
.LBB2_2400:                             ;   in Loop: Header=BB2_2373 Depth=3
	s_or_b32 exec_lo, exec_lo, s18
	v_max_f32_e32 v74, v76, v76
	v_max_f32_e32 v75, v75, v75
	v_min_f32_e32 v75, v75, v74
.LBB2_2401:                             ;   in Loop: Header=BB2_2373 Depth=3
	v_and_b32_e32 v74, 0x7f800000, v75
	v_cmp_ne_u32_e32 vcc_lo, 0x7f800000, v74
	v_mov_b32_e32 v74, 0x80
	s_and_saveexec_b32 s18, vcc_lo
	s_cbranch_execz .LBB2_2409
; %bb.2402:                             ;   in Loop: Header=BB2_2373 Depth=3
	v_mov_b32_e32 v74, 0
	s_mov_b32 s22, exec_lo
	v_cmpx_ne_u32_e32 0, v75
	s_cbranch_execz .LBB2_2408
; %bb.2403:                             ;   in Loop: Header=BB2_2373 Depth=3
	v_bfe_u32 v74, v75, 23, 8
	v_and_b32_e32 v76, 0x7fffff, v75
	v_sub_nc_u32_e32 v77, 0x78, v74
	v_cmp_gt_u32_e32 vcc_lo, 0x79, v74
	v_or_b32_e32 v78, 0x800000, v76
	v_cndmask_b32_e32 v77, 0, v77, vcc_lo
	v_cmp_eq_u32_e32 vcc_lo, 0, v74
	v_add_nc_u32_e32 v74, 0xffffff89, v74
	v_cndmask_b32_e64 v77, v77, 0x77, vcc_lo
	v_cndmask_b32_e32 v76, v78, v76, vcc_lo
	v_cndmask_b32_e64 v74, v74, 0xffffff8a, vcc_lo
	v_lshl_add_u32 v78, 0x100000, v77, -1
	v_lshrrev_b32_e32 v79, v77, v76
	v_lshlrev_b32_e64 v89, v77, 0x80000
	v_add_nc_u32_e32 v77, v77, v74
	v_and_b32_e32 v76, v78, v76
	v_bfe_u32 v88, v79, 20, 1
	v_cmp_eq_u32_e64 s17, v76, v89
	v_add_nc_u32_e32 v78, -1, v88
	v_cndmask_b32_e64 v76, 0, v78, s17
	v_lshrrev_b32_e32 v78, 23, v79
	s_mov_b32 s17, exec_lo
	v_add_nc_u32_e32 v76, v76, v79
	v_xor_b32_e32 v78, 1, v78
	v_and_b32_e32 v74, 0xfffff, v76
	v_add_nc_u32_e32 v76, v74, v79
                                        ; implicit-def: $vgpr74
	v_cmpx_ne_u32_e64 v77, v78
	s_xor_b32 s17, exec_lo, s17
; %bb.2404:                             ;   in Loop: Header=BB2_2373 Depth=3
	v_cmp_lt_u32_e32 vcc_lo, 0xffffff, v76
	v_sub_nc_u32_e32 v74, v77, v78
	v_cndmask_b32_e64 v77, 0, 1, vcc_lo
	v_add_co_ci_u32_e64 v74, null, 0, v74, vcc_lo
	v_lshrrev_b32_e32 v76, v77, v76
; %bb.2405:                             ;   in Loop: Header=BB2_2373 Depth=3
	s_andn2_saveexec_b32 s17, s17
; %bb.2406:                             ;   in Loop: Header=BB2_2373 Depth=3
	v_bfe_u32 v74, v76, 23, 1
; %bb.2407:                             ;   in Loop: Header=BB2_2373 Depth=3
	s_or_b32 exec_lo, exec_lo, s17
	v_lshrrev_b32_e32 v76, 20, v76
	v_min_i32_e32 v77, 15, v74
	v_cmp_gt_i32_e32 vcc_lo, 16, v74
	v_and_b32_sdwa v75, v75, v103 dst_sel:DWORD dst_unused:UNUSED_PAD src0_sel:BYTE_3 src1_sel:DWORD
	v_lshlrev_b32_e32 v77, 3, v77
	v_cndmask_b32_e32 v76, 7, v76, vcc_lo
	v_and_b32_e32 v77, 0xf8, v77
	v_and_b32_e32 v78, 7, v76
	v_or_b32_e32 v74, v74, v76
	v_or3_b32 v75, v77, v75, v78
	v_cmp_ne_u32_e32 vcc_lo, 0, v74
	v_cndmask_b32_e32 v74, 0, v75, vcc_lo
.LBB2_2408:                             ;   in Loop: Header=BB2_2373 Depth=3
	s_or_b32 exec_lo, exec_lo, s22
.LBB2_2409:                             ;   in Loop: Header=BB2_2373 Depth=3
	s_or_b32 exec_lo, exec_lo, s18
	v_and_b32_sdwa v75, v112, v8 dst_sel:DWORD dst_unused:UNUSED_PAD src0_sel:DWORD src1_sel:BYTE_1
	v_cmp_gt_i16_sdwa s18, v12, v102 src0_sel:BYTE_1 src1_sel:DWORD
	s_mov_b32 s17, -1
	v_and_b32_e32 v76, 7, v75
	v_bfe_u32 v79, v75, 3, 4
	v_ffbh_u32_e32 v77, v76
	v_cmp_eq_u32_e32 vcc_lo, 0, v79
	v_min_u32_e32 v77, 32, v77
	v_subrev_nc_u32_e32 v78, 28, v77
	v_sub_nc_u32_e32 v77, 29, v77
	v_lshlrev_b32_e32 v75, v78, v75
	v_lshlrev_b32_sdwa v78, v113, v8 dst_sel:DWORD dst_unused:UNUSED_PAD src0_sel:DWORD src1_sel:BYTE_1
	v_cndmask_b32_e32 v77, v79, v77, vcc_lo
	v_and_b32_e32 v75, 7, v75
	v_lshl_add_u32 v77, v77, 23, 0x3b800000
	v_cndmask_b32_e32 v75, v76, v75, vcc_lo
	v_and_b32_e32 v76, 0x80000000, v78
	s_and_b32 vcc_lo, exec_lo, s74
	v_lshlrev_b32_e32 v75, 20, v75
	v_or3_b32 v75, v76, v77, v75
                                        ; implicit-def: $vgpr76
	s_cbranch_vccz .LBB2_2423
; %bb.2410:                             ;   in Loop: Header=BB2_2373 Depth=3
	s_mov_b32 s17, 0
	s_and_saveexec_b32 s22, s18
	s_xor_b32 s18, exec_lo, s22
	s_cbranch_execz .LBB2_2960
; %bb.2411:                             ;   in Loop: Header=BB2_2373 Depth=3
	v_cmp_eq_u16_sdwa s23, v12, v103 src0_sel:BYTE_1 src1_sel:DWORD
	s_mov_b32 s17, -1
	s_and_saveexec_b32 s22, s23
; %bb.2412:                             ;   in Loop: Header=BB2_2373 Depth=3
	s_xor_b32 s17, exec_lo, -1
; %bb.2413:                             ;   in Loop: Header=BB2_2373 Depth=3
	s_or_b32 exec_lo, exec_lo, s22
	s_and_b32 s17, s17, exec_lo
	s_or_saveexec_b32 s18, s18
	v_mov_b32_e32 v76, 0x7f800001
	s_xor_b32 exec_lo, exec_lo, s18
	s_cbranch_execnz .LBB2_2961
.LBB2_2414:                             ;   in Loop: Header=BB2_2373 Depth=3
	s_or_b32 exec_lo, exec_lo, s18
	s_and_saveexec_b32 s18, s17
	s_cbranch_execz .LBB2_2416
.LBB2_2415:                             ;   in Loop: Header=BB2_2373 Depth=3
	v_and_b32_sdwa v76, v112, v12 dst_sel:DWORD dst_unused:UNUSED_PAD src0_sel:DWORD src1_sel:BYTE_1
	v_and_b32_e32 v77, 7, v76
	v_bfe_u32 v88, v76, 3, 4
	v_ffbh_u32_e32 v78, v77
	v_cmp_eq_u32_e32 vcc_lo, 0, v88
	v_min_u32_e32 v78, 32, v78
	v_subrev_nc_u32_e32 v79, 28, v78
	v_sub_nc_u32_e32 v78, 29, v78
	v_lshlrev_b32_e32 v76, v79, v76
	v_lshlrev_b32_e32 v79, 16, v12
	v_cndmask_b32_e32 v78, v88, v78, vcc_lo
	v_and_b32_e32 v76, 7, v76
	v_lshl_add_u32 v78, v78, 23, 0x3b800000
	v_cndmask_b32_e32 v76, v77, v76, vcc_lo
	v_and_b32_e32 v77, 0x80000000, v79
	v_lshlrev_b32_e32 v76, 20, v76
	v_or3_b32 v76, v77, v78, v76
.LBB2_2416:                             ;   in Loop: Header=BB2_2373 Depth=3
	s_or_b32 exec_lo, exec_lo, s18
	v_cmp_gt_i16_sdwa s18, v8, v102 src0_sel:BYTE_1 src1_sel:DWORD
	s_mov_b32 s17, 0
	s_and_saveexec_b32 s22, s18
	s_xor_b32 s18, exec_lo, s22
	s_cbranch_execz .LBB2_2962
; %bb.2417:                             ;   in Loop: Header=BB2_2373 Depth=3
	v_cmp_eq_u16_sdwa s23, v8, v103 src0_sel:BYTE_1 src1_sel:DWORD
	s_mov_b32 s17, -1
	s_and_saveexec_b32 s22, s23
; %bb.2418:                             ;   in Loop: Header=BB2_2373 Depth=3
	s_xor_b32 s17, exec_lo, -1
; %bb.2419:                             ;   in Loop: Header=BB2_2373 Depth=3
	s_or_b32 exec_lo, exec_lo, s22
	s_and_b32 s17, s17, exec_lo
	s_or_saveexec_b32 s18, s18
	v_mov_b32_e32 v77, 0x7f800001
	s_xor_b32 exec_lo, exec_lo, s18
	s_cbranch_execnz .LBB2_2963
.LBB2_2420:                             ;   in Loop: Header=BB2_2373 Depth=3
	s_or_b32 exec_lo, exec_lo, s18
	s_and_saveexec_b32 s18, s17
.LBB2_2421:                             ;   in Loop: Header=BB2_2373 Depth=3
	v_mov_b32_e32 v77, v75
.LBB2_2422:                             ;   in Loop: Header=BB2_2373 Depth=3
	s_or_b32 exec_lo, exec_lo, s18
	v_max_f32_e32 v77, v77, v77
	v_max_f32_e32 v76, v76, v76
	s_mov_b32 s17, 0
	v_max_f32_e32 v76, v76, v77
.LBB2_2423:                             ;   in Loop: Header=BB2_2373 Depth=3
	s_and_b32 vcc_lo, exec_lo, s17
	s_cbranch_vccz .LBB2_2437
; %bb.2424:                             ;   in Loop: Header=BB2_2373 Depth=3
	v_cmp_gt_i16_sdwa s18, v12, v102 src0_sel:BYTE_1 src1_sel:DWORD
	s_mov_b32 s17, 0
	s_and_saveexec_b32 s22, s18
	s_xor_b32 s18, exec_lo, s22
	s_cbranch_execz .LBB2_2964
; %bb.2425:                             ;   in Loop: Header=BB2_2373 Depth=3
	v_cmp_eq_u16_sdwa s23, v12, v103 src0_sel:BYTE_1 src1_sel:DWORD
	s_mov_b32 s17, -1
	s_and_saveexec_b32 s22, s23
; %bb.2426:                             ;   in Loop: Header=BB2_2373 Depth=3
	s_xor_b32 s17, exec_lo, -1
; %bb.2427:                             ;   in Loop: Header=BB2_2373 Depth=3
	s_or_b32 exec_lo, exec_lo, s22
	s_and_b32 s17, s17, exec_lo
	s_or_saveexec_b32 s18, s18
	v_mov_b32_e32 v76, 0x7f800001
	s_xor_b32 exec_lo, exec_lo, s18
	s_cbranch_execnz .LBB2_2965
.LBB2_2428:                             ;   in Loop: Header=BB2_2373 Depth=3
	s_or_b32 exec_lo, exec_lo, s18
	s_and_saveexec_b32 s18, s17
	s_cbranch_execz .LBB2_2430
.LBB2_2429:                             ;   in Loop: Header=BB2_2373 Depth=3
	v_and_b32_sdwa v76, v112, v12 dst_sel:DWORD dst_unused:UNUSED_PAD src0_sel:DWORD src1_sel:BYTE_1
	v_and_b32_e32 v77, 7, v76
	v_bfe_u32 v88, v76, 3, 4
	v_ffbh_u32_e32 v78, v77
	v_cmp_eq_u32_e32 vcc_lo, 0, v88
	v_min_u32_e32 v78, 32, v78
	v_subrev_nc_u32_e32 v79, 28, v78
	v_sub_nc_u32_e32 v78, 29, v78
	v_lshlrev_b32_e32 v76, v79, v76
	v_lshlrev_b32_e32 v79, 16, v12
	v_cndmask_b32_e32 v78, v88, v78, vcc_lo
	v_and_b32_e32 v76, 7, v76
	v_lshl_add_u32 v78, v78, 23, 0x3b800000
	v_cndmask_b32_e32 v76, v77, v76, vcc_lo
	v_and_b32_e32 v77, 0x80000000, v79
	v_lshlrev_b32_e32 v76, 20, v76
	v_or3_b32 v76, v77, v78, v76
.LBB2_2430:                             ;   in Loop: Header=BB2_2373 Depth=3
	s_or_b32 exec_lo, exec_lo, s18
	v_cmp_gt_i16_sdwa s18, v8, v102 src0_sel:BYTE_1 src1_sel:DWORD
	s_mov_b32 s17, 0
	s_and_saveexec_b32 s22, s18
	s_xor_b32 s18, exec_lo, s22
	s_cbranch_execz .LBB2_2966
; %bb.2431:                             ;   in Loop: Header=BB2_2373 Depth=3
	v_cmp_eq_u16_sdwa s23, v8, v103 src0_sel:BYTE_1 src1_sel:DWORD
	s_mov_b32 s17, -1
	s_and_saveexec_b32 s22, s23
; %bb.2432:                             ;   in Loop: Header=BB2_2373 Depth=3
	s_xor_b32 s17, exec_lo, -1
; %bb.2433:                             ;   in Loop: Header=BB2_2373 Depth=3
	s_or_b32 exec_lo, exec_lo, s22
	s_and_b32 s17, s17, exec_lo
	s_or_saveexec_b32 s18, s18
	v_mov_b32_e32 v77, 0x7f800001
	s_xor_b32 exec_lo, exec_lo, s18
	s_cbranch_execnz .LBB2_2967
.LBB2_2434:                             ;   in Loop: Header=BB2_2373 Depth=3
	s_or_b32 exec_lo, exec_lo, s18
	s_and_saveexec_b32 s18, s17
.LBB2_2435:                             ;   in Loop: Header=BB2_2373 Depth=3
	v_mov_b32_e32 v77, v75
.LBB2_2436:                             ;   in Loop: Header=BB2_2373 Depth=3
	s_or_b32 exec_lo, exec_lo, s18
	v_max_f32_e32 v75, v77, v77
	v_max_f32_e32 v76, v76, v76
	v_min_f32_e32 v76, v76, v75
.LBB2_2437:                             ;   in Loop: Header=BB2_2373 Depth=3
	v_and_b32_e32 v75, 0x7f800000, v76
	v_cmp_ne_u32_e32 vcc_lo, 0x7f800000, v75
	v_mov_b32_e32 v75, 0x8000
	s_and_saveexec_b32 s18, vcc_lo
	s_cbranch_execz .LBB2_2445
; %bb.2438:                             ;   in Loop: Header=BB2_2373 Depth=3
	v_mov_b32_e32 v75, 0
	s_mov_b32 s22, exec_lo
	v_cmpx_ne_u32_e32 0, v76
	s_cbranch_execz .LBB2_2444
; %bb.2439:                             ;   in Loop: Header=BB2_2373 Depth=3
	v_bfe_u32 v75, v76, 23, 8
	v_and_b32_e32 v77, 0x7fffff, v76
	v_sub_nc_u32_e32 v78, 0x78, v75
	v_cmp_gt_u32_e32 vcc_lo, 0x79, v75
	v_or_b32_e32 v79, 0x800000, v77
	v_cndmask_b32_e32 v78, 0, v78, vcc_lo
	v_cmp_eq_u32_e32 vcc_lo, 0, v75
	v_add_nc_u32_e32 v75, 0xffffff89, v75
	v_cndmask_b32_e64 v78, v78, 0x77, vcc_lo
	v_cndmask_b32_e32 v77, v79, v77, vcc_lo
	v_cndmask_b32_e64 v75, v75, 0xffffff8a, vcc_lo
	v_lshl_add_u32 v79, 0x100000, v78, -1
	v_lshrrev_b32_e32 v88, v78, v77
	v_lshlrev_b32_e64 v90, v78, 0x80000
	v_add_nc_u32_e32 v78, v78, v75
	v_and_b32_e32 v77, v79, v77
	v_bfe_u32 v89, v88, 20, 1
	v_cmp_eq_u32_e64 s17, v77, v90
	v_add_nc_u32_e32 v79, -1, v89
	v_cndmask_b32_e64 v77, 0, v79, s17
	v_lshrrev_b32_e32 v79, 23, v88
	s_mov_b32 s17, exec_lo
	v_add_nc_u32_e32 v77, v77, v88
	v_xor_b32_e32 v79, 1, v79
	v_and_b32_e32 v75, 0xfffff, v77
	v_add_nc_u32_e32 v77, v75, v88
                                        ; implicit-def: $vgpr75
	v_cmpx_ne_u32_e64 v78, v79
	s_xor_b32 s17, exec_lo, s17
; %bb.2440:                             ;   in Loop: Header=BB2_2373 Depth=3
	v_cmp_lt_u32_e32 vcc_lo, 0xffffff, v77
	v_sub_nc_u32_e32 v75, v78, v79
	v_cndmask_b32_e64 v78, 0, 1, vcc_lo
	v_add_co_ci_u32_e64 v75, null, 0, v75, vcc_lo
	v_lshrrev_b32_e32 v77, v78, v77
; %bb.2441:                             ;   in Loop: Header=BB2_2373 Depth=3
	s_andn2_saveexec_b32 s17, s17
; %bb.2442:                             ;   in Loop: Header=BB2_2373 Depth=3
	v_bfe_u32 v75, v77, 23, 1
; %bb.2443:                             ;   in Loop: Header=BB2_2373 Depth=3
	s_or_b32 exec_lo, exec_lo, s17
	v_lshrrev_b32_e32 v77, 20, v77
	v_min_i32_e32 v78, 15, v75
	v_cmp_gt_i32_e32 vcc_lo, 16, v75
	v_and_b32_sdwa v76, v76, v103 dst_sel:DWORD dst_unused:UNUSED_PAD src0_sel:BYTE_3 src1_sel:DWORD
	v_lshlrev_b32_e32 v78, 3, v78
	v_cndmask_b32_e32 v77, 7, v77, vcc_lo
	v_and_b32_e32 v78, 0xf8, v78
	v_and_b32_e32 v79, 7, v77
	v_or_b32_e32 v75, v75, v77
	v_or3_b32 v76, v76, v78, v79
	v_cmp_ne_u32_e32 vcc_lo, 0, v75
	v_lshlrev_b32_e32 v76, 8, v76
	v_cndmask_b32_e32 v75, 0, v76, vcc_lo
.LBB2_2444:                             ;   in Loop: Header=BB2_2373 Depth=3
	s_or_b32 exec_lo, exec_lo, s22
.LBB2_2445:                             ;   in Loop: Header=BB2_2373 Depth=3
	s_or_b32 exec_lo, exec_lo, s18
	v_bfe_u32 v76, v8, 16, 3
	v_bfe_u32 v79, v8, 19, 4
	v_lshlrev_b32_e32 v88, 8, v8
	s_mov_b32 s18, -1
	v_ffbh_u32_e32 v77, v76
	v_cmp_eq_u32_e32 vcc_lo, 0, v79
	v_min_u32_e32 v77, 32, v77
	v_subrev_nc_u32_e32 v78, 28, v77
	v_sub_nc_u32_e32 v77, 29, v77
	v_lshlrev_b32_sdwa v78, v78, v8 dst_sel:DWORD dst_unused:UNUSED_PAD src0_sel:DWORD src1_sel:WORD_1
	v_cndmask_b32_e32 v77, v79, v77, vcc_lo
	v_and_b32_e32 v78, 7, v78
	v_lshl_add_u32 v79, v77, 23, 0x3b800000
	v_and_b32_sdwa v77, v12, v114 dst_sel:DWORD dst_unused:UNUSED_PAD src0_sel:WORD_1 src1_sel:DWORD
	v_cndmask_b32_e32 v76, v76, v78, vcc_lo
	v_and_b32_e32 v78, 0x80000000, v88
	v_cmp_lt_i16_e64 s17, 0x7f, v77
	s_and_b32 vcc_lo, exec_lo, s74
	v_lshlrev_b32_e32 v76, 20, v76
	v_or3_b32 v76, v78, v79, v76
                                        ; implicit-def: $vgpr78
	s_cbranch_vccz .LBB2_2459
; %bb.2446:                             ;   in Loop: Header=BB2_2373 Depth=3
	s_mov_b32 s18, 0
	s_and_saveexec_b32 s22, s17
	s_xor_b32 s17, exec_lo, s22
	s_cbranch_execz .LBB2_2968
; %bb.2447:                             ;   in Loop: Header=BB2_2373 Depth=3
	s_mov_b32 s18, -1
	s_mov_b32 s22, exec_lo
	v_cmpx_eq_u16_e32 0x80, v77
; %bb.2448:                             ;   in Loop: Header=BB2_2373 Depth=3
	s_xor_b32 s18, exec_lo, -1
; %bb.2449:                             ;   in Loop: Header=BB2_2373 Depth=3
	s_or_b32 exec_lo, exec_lo, s22
	s_and_b32 s18, s18, exec_lo
	s_or_saveexec_b32 s17, s17
	v_mov_b32_e32 v78, 0x7f800001
	s_xor_b32 exec_lo, exec_lo, s17
	s_cbranch_execnz .LBB2_2969
.LBB2_2450:                             ;   in Loop: Header=BB2_2373 Depth=3
	s_or_b32 exec_lo, exec_lo, s17
	s_and_saveexec_b32 s17, s18
	s_cbranch_execz .LBB2_2452
.LBB2_2451:                             ;   in Loop: Header=BB2_2373 Depth=3
	v_bfe_u32 v78, v12, 16, 3
	v_bfe_u32 v89, v12, 19, 4
	v_lshlrev_b32_sdwa v90, v113, v12 dst_sel:DWORD dst_unused:UNUSED_PAD src0_sel:DWORD src1_sel:WORD_1
	v_ffbh_u32_e32 v79, v78
	v_cmp_eq_u32_e32 vcc_lo, 0, v89
	v_min_u32_e32 v79, 32, v79
	v_subrev_nc_u32_e32 v88, 28, v79
	v_sub_nc_u32_e32 v79, 29, v79
	v_lshlrev_b32_sdwa v88, v88, v12 dst_sel:DWORD dst_unused:UNUSED_PAD src0_sel:DWORD src1_sel:WORD_1
	v_cndmask_b32_e32 v79, v89, v79, vcc_lo
	v_and_b32_e32 v88, 7, v88
	v_lshl_add_u32 v79, v79, 23, 0x3b800000
	v_cndmask_b32_e32 v78, v78, v88, vcc_lo
	v_and_b32_e32 v88, 0x80000000, v90
	v_lshlrev_b32_e32 v78, 20, v78
	v_or3_b32 v78, v88, v79, v78
.LBB2_2452:                             ;   in Loop: Header=BB2_2373 Depth=3
	s_or_b32 exec_lo, exec_lo, s17
	v_and_b32_sdwa v88, v8, v114 dst_sel:DWORD dst_unused:UNUSED_PAD src0_sel:WORD_1 src1_sel:DWORD
	s_mov_b32 s17, 0
	s_mov_b32 s18, exec_lo
	v_cmpx_lt_i16_e32 0x7f, v88
	s_xor_b32 s18, exec_lo, s18
	s_cbranch_execz .LBB2_2970
; %bb.2453:                             ;   in Loop: Header=BB2_2373 Depth=3
	s_mov_b32 s17, -1
	s_mov_b32 s22, exec_lo
	v_cmpx_eq_u16_e32 0x80, v88
; %bb.2454:                             ;   in Loop: Header=BB2_2373 Depth=3
	s_xor_b32 s17, exec_lo, -1
; %bb.2455:                             ;   in Loop: Header=BB2_2373 Depth=3
	s_or_b32 exec_lo, exec_lo, s22
	s_and_b32 s17, s17, exec_lo
                                        ; implicit-def: $vgpr88
	s_or_saveexec_b32 s18, s18
	v_mov_b32_e32 v79, 0x7f800001
	s_xor_b32 exec_lo, exec_lo, s18
	s_cbranch_execnz .LBB2_2971
.LBB2_2456:                             ;   in Loop: Header=BB2_2373 Depth=3
	s_or_b32 exec_lo, exec_lo, s18
	s_and_saveexec_b32 s18, s17
.LBB2_2457:                             ;   in Loop: Header=BB2_2373 Depth=3
	v_mov_b32_e32 v79, v76
.LBB2_2458:                             ;   in Loop: Header=BB2_2373 Depth=3
	s_or_b32 exec_lo, exec_lo, s18
	v_max_f32_e32 v79, v79, v79
	v_max_f32_e32 v78, v78, v78
	s_mov_b32 s18, 0
	v_max_f32_e32 v78, v78, v79
.LBB2_2459:                             ;   in Loop: Header=BB2_2373 Depth=3
	s_and_b32 vcc_lo, exec_lo, s18
	s_cbranch_vccz .LBB2_2473
; %bb.2460:                             ;   in Loop: Header=BB2_2373 Depth=3
	s_mov_b32 s17, 0
	s_mov_b32 s18, exec_lo
	v_cmpx_lt_i16_e32 0x7f, v77
	s_xor_b32 s18, exec_lo, s18
	s_cbranch_execz .LBB2_2972
; %bb.2461:                             ;   in Loop: Header=BB2_2373 Depth=3
	s_mov_b32 s17, -1
	s_mov_b32 s22, exec_lo
	v_cmpx_eq_u16_e32 0x80, v77
; %bb.2462:                             ;   in Loop: Header=BB2_2373 Depth=3
	s_xor_b32 s17, exec_lo, -1
; %bb.2463:                             ;   in Loop: Header=BB2_2373 Depth=3
	s_or_b32 exec_lo, exec_lo, s22
	s_and_b32 s17, s17, exec_lo
                                        ; implicit-def: $vgpr77
	s_or_saveexec_b32 s18, s18
	v_mov_b32_e32 v78, 0x7f800001
	s_xor_b32 exec_lo, exec_lo, s18
	s_cbranch_execnz .LBB2_2973
.LBB2_2464:                             ;   in Loop: Header=BB2_2373 Depth=3
	s_or_b32 exec_lo, exec_lo, s18
	s_and_saveexec_b32 s18, s17
	s_cbranch_execz .LBB2_2466
.LBB2_2465:                             ;   in Loop: Header=BB2_2373 Depth=3
	v_bfe_u32 v77, v12, 16, 3
	v_bfe_u32 v88, v12, 19, 4
	v_lshlrev_b32_sdwa v89, v113, v12 dst_sel:DWORD dst_unused:UNUSED_PAD src0_sel:DWORD src1_sel:WORD_1
	v_ffbh_u32_e32 v78, v77
	v_cmp_eq_u32_e32 vcc_lo, 0, v88
	v_min_u32_e32 v78, 32, v78
	v_subrev_nc_u32_e32 v79, 28, v78
	v_sub_nc_u32_e32 v78, 29, v78
	v_lshlrev_b32_sdwa v79, v79, v12 dst_sel:DWORD dst_unused:UNUSED_PAD src0_sel:DWORD src1_sel:WORD_1
	v_cndmask_b32_e32 v78, v88, v78, vcc_lo
	v_and_b32_e32 v79, 7, v79
	v_lshl_add_u32 v78, v78, 23, 0x3b800000
	v_cndmask_b32_e32 v77, v77, v79, vcc_lo
	v_and_b32_e32 v79, 0x80000000, v89
	v_lshlrev_b32_e32 v77, 20, v77
	v_or3_b32 v78, v79, v78, v77
.LBB2_2466:                             ;   in Loop: Header=BB2_2373 Depth=3
	s_or_b32 exec_lo, exec_lo, s18
	v_and_b32_sdwa v79, v8, v114 dst_sel:DWORD dst_unused:UNUSED_PAD src0_sel:WORD_1 src1_sel:DWORD
	s_mov_b32 s17, 0
	s_mov_b32 s18, exec_lo
	v_cmpx_lt_i16_e32 0x7f, v79
	s_xor_b32 s18, exec_lo, s18
	s_cbranch_execz .LBB2_2974
; %bb.2467:                             ;   in Loop: Header=BB2_2373 Depth=3
	s_mov_b32 s17, -1
	s_mov_b32 s22, exec_lo
	v_cmpx_eq_u16_e32 0x80, v79
; %bb.2468:                             ;   in Loop: Header=BB2_2373 Depth=3
	s_xor_b32 s17, exec_lo, -1
; %bb.2469:                             ;   in Loop: Header=BB2_2373 Depth=3
	s_or_b32 exec_lo, exec_lo, s22
	s_and_b32 s17, s17, exec_lo
                                        ; implicit-def: $vgpr79
	s_or_saveexec_b32 s18, s18
	v_mov_b32_e32 v77, 0x7f800001
	s_xor_b32 exec_lo, exec_lo, s18
	s_cbranch_execnz .LBB2_2975
.LBB2_2470:                             ;   in Loop: Header=BB2_2373 Depth=3
	s_or_b32 exec_lo, exec_lo, s18
	s_and_saveexec_b32 s18, s17
.LBB2_2471:                             ;   in Loop: Header=BB2_2373 Depth=3
	v_mov_b32_e32 v77, v76
.LBB2_2472:                             ;   in Loop: Header=BB2_2373 Depth=3
	s_or_b32 exec_lo, exec_lo, s18
	v_max_f32_e32 v76, v77, v77
	v_max_f32_e32 v77, v78, v78
	v_min_f32_e32 v78, v77, v76
.LBB2_2473:                             ;   in Loop: Header=BB2_2373 Depth=3
	v_and_b32_e32 v76, 0x7f800000, v78
	v_cmp_ne_u32_e32 vcc_lo, 0x7f800000, v76
	v_mov_b32_e32 v76, 0x80
	s_and_saveexec_b32 s18, vcc_lo
	s_cbranch_execz .LBB2_2481
; %bb.2474:                             ;   in Loop: Header=BB2_2373 Depth=3
	v_mov_b32_e32 v76, 0
	s_mov_b32 s22, exec_lo
	v_cmpx_ne_u32_e32 0, v78
	s_cbranch_execz .LBB2_2480
; %bb.2475:                             ;   in Loop: Header=BB2_2373 Depth=3
	v_bfe_u32 v76, v78, 23, 8
	v_and_b32_e32 v77, 0x7fffff, v78
	v_sub_nc_u32_e32 v79, 0x78, v76
	v_cmp_gt_u32_e32 vcc_lo, 0x79, v76
	v_or_b32_e32 v88, 0x800000, v77
	v_cndmask_b32_e32 v79, 0, v79, vcc_lo
	v_cmp_eq_u32_e32 vcc_lo, 0, v76
	v_add_nc_u32_e32 v76, 0xffffff89, v76
	v_cndmask_b32_e64 v79, v79, 0x77, vcc_lo
	v_cndmask_b32_e32 v77, v88, v77, vcc_lo
	v_cndmask_b32_e64 v76, v76, 0xffffff8a, vcc_lo
	v_lshl_add_u32 v88, 0x100000, v79, -1
	v_lshrrev_b32_e32 v89, v79, v77
	v_lshlrev_b32_e64 v91, v79, 0x80000
	v_add_nc_u32_e32 v79, v79, v76
	v_and_b32_e32 v77, v88, v77
	v_bfe_u32 v90, v89, 20, 1
	v_cmp_eq_u32_e64 s17, v77, v91
	v_add_nc_u32_e32 v88, -1, v90
	v_cndmask_b32_e64 v77, 0, v88, s17
	v_lshrrev_b32_e32 v88, 23, v89
	s_mov_b32 s17, exec_lo
	v_add_nc_u32_e32 v77, v77, v89
	v_xor_b32_e32 v88, 1, v88
	v_and_b32_e32 v76, 0xfffff, v77
	v_add_nc_u32_e32 v77, v76, v89
                                        ; implicit-def: $vgpr76
	v_cmpx_ne_u32_e64 v79, v88
	s_xor_b32 s17, exec_lo, s17
; %bb.2476:                             ;   in Loop: Header=BB2_2373 Depth=3
	v_cmp_lt_u32_e32 vcc_lo, 0xffffff, v77
	v_sub_nc_u32_e32 v76, v79, v88
	v_cndmask_b32_e64 v79, 0, 1, vcc_lo
	v_add_co_ci_u32_e64 v76, null, 0, v76, vcc_lo
	v_lshrrev_b32_e32 v77, v79, v77
; %bb.2477:                             ;   in Loop: Header=BB2_2373 Depth=3
	s_andn2_saveexec_b32 s17, s17
; %bb.2478:                             ;   in Loop: Header=BB2_2373 Depth=3
	v_bfe_u32 v76, v77, 23, 1
; %bb.2479:                             ;   in Loop: Header=BB2_2373 Depth=3
	s_or_b32 exec_lo, exec_lo, s17
	v_lshrrev_b32_e32 v77, 20, v77
	v_min_i32_e32 v79, 15, v76
	v_cmp_gt_i32_e32 vcc_lo, 16, v76
	v_and_b32_sdwa v78, v78, v103 dst_sel:DWORD dst_unused:UNUSED_PAD src0_sel:BYTE_3 src1_sel:DWORD
	v_lshlrev_b32_e32 v79, 3, v79
	v_cndmask_b32_e32 v77, 7, v77, vcc_lo
	v_and_b32_e32 v79, 0xf8, v79
	v_and_b32_e32 v88, 7, v77
	v_or_b32_e32 v76, v76, v77
	v_or3_b32 v77, v79, v78, v88
	v_cmp_ne_u32_e32 vcc_lo, 0, v76
	v_cndmask_b32_e32 v76, 0, v77, vcc_lo
.LBB2_2480:                             ;   in Loop: Header=BB2_2373 Depth=3
	s_or_b32 exec_lo, exec_lo, s22
.LBB2_2481:                             ;   in Loop: Header=BB2_2373 Depth=3
	s_or_b32 exec_lo, exec_lo, s18
	v_bfe_u32 v77, v8, 24, 3
	v_bfe_u32 v88, v8, 27, 4
	v_cmp_gt_i16_sdwa s18, v12, v102 src0_sel:BYTE_3 src1_sel:DWORD
	s_mov_b32 s17, -1
	v_ffbh_u32_e32 v78, v77
	v_cmp_eq_u32_e32 vcc_lo, 0, v88
	v_min_u32_e32 v78, 32, v78
	v_subrev_nc_u32_e32 v79, 28, v78
	v_sub_nc_u32_e32 v78, 29, v78
	v_lshlrev_b32_sdwa v79, v79, v8 dst_sel:DWORD dst_unused:UNUSED_PAD src0_sel:DWORD src1_sel:BYTE_3
	v_cndmask_b32_e32 v78, v88, v78, vcc_lo
	v_and_b32_e32 v79, 7, v79
	v_lshl_add_u32 v78, v78, 23, 0x3b800000
	v_cndmask_b32_e32 v77, v77, v79, vcc_lo
	v_and_b32_e32 v79, 0x80000000, v8
	s_and_b32 vcc_lo, exec_lo, s74
	v_lshlrev_b32_e32 v77, 20, v77
	v_or3_b32 v77, v79, v78, v77
                                        ; implicit-def: $vgpr78
	s_cbranch_vccz .LBB2_2495
; %bb.2482:                             ;   in Loop: Header=BB2_2373 Depth=3
	s_mov_b32 s17, 0
	s_and_saveexec_b32 s22, s18
	s_xor_b32 s18, exec_lo, s22
	s_cbranch_execz .LBB2_2976
; %bb.2483:                             ;   in Loop: Header=BB2_2373 Depth=3
	v_cmp_eq_u16_sdwa s23, v12, v103 src0_sel:BYTE_3 src1_sel:DWORD
	s_mov_b32 s17, -1
	s_and_saveexec_b32 s22, s23
; %bb.2484:                             ;   in Loop: Header=BB2_2373 Depth=3
	s_xor_b32 s17, exec_lo, -1
; %bb.2485:                             ;   in Loop: Header=BB2_2373 Depth=3
	s_or_b32 exec_lo, exec_lo, s22
	s_and_b32 s17, s17, exec_lo
	s_or_saveexec_b32 s18, s18
	v_mov_b32_e32 v78, 0x7f800001
	s_xor_b32 exec_lo, exec_lo, s18
	s_cbranch_execnz .LBB2_2977
.LBB2_2486:                             ;   in Loop: Header=BB2_2373 Depth=3
	s_or_b32 exec_lo, exec_lo, s18
	s_and_saveexec_b32 s18, s17
	s_cbranch_execz .LBB2_2488
.LBB2_2487:                             ;   in Loop: Header=BB2_2373 Depth=3
	v_bfe_u32 v78, v12, 24, 3
	v_bfe_u32 v89, v12, 27, 4
	v_ffbh_u32_e32 v79, v78
	v_cmp_eq_u32_e32 vcc_lo, 0, v89
	v_min_u32_e32 v79, 32, v79
	v_subrev_nc_u32_e32 v88, 28, v79
	v_sub_nc_u32_e32 v79, 29, v79
	v_lshlrev_b32_sdwa v88, v88, v12 dst_sel:DWORD dst_unused:UNUSED_PAD src0_sel:DWORD src1_sel:BYTE_3
	v_cndmask_b32_e32 v79, v89, v79, vcc_lo
	v_and_b32_e32 v88, 7, v88
	v_lshl_add_u32 v79, v79, 23, 0x3b800000
	v_cndmask_b32_e32 v78, v78, v88, vcc_lo
	v_and_b32_e32 v88, 0x80000000, v12
	v_lshlrev_b32_e32 v78, 20, v78
	v_or3_b32 v78, v88, v79, v78
.LBB2_2488:                             ;   in Loop: Header=BB2_2373 Depth=3
	s_or_b32 exec_lo, exec_lo, s18
	v_cmp_gt_i16_sdwa s18, v8, v102 src0_sel:BYTE_3 src1_sel:DWORD
	s_mov_b32 s17, 0
	s_and_saveexec_b32 s22, s18
	s_xor_b32 s18, exec_lo, s22
	s_cbranch_execz .LBB2_2978
; %bb.2489:                             ;   in Loop: Header=BB2_2373 Depth=3
	v_cmp_eq_u16_sdwa s23, v8, v103 src0_sel:BYTE_3 src1_sel:DWORD
	s_mov_b32 s17, -1
	s_and_saveexec_b32 s22, s23
; %bb.2490:                             ;   in Loop: Header=BB2_2373 Depth=3
	s_xor_b32 s17, exec_lo, -1
; %bb.2491:                             ;   in Loop: Header=BB2_2373 Depth=3
	s_or_b32 exec_lo, exec_lo, s22
	s_and_b32 s17, s17, exec_lo
	s_or_saveexec_b32 s18, s18
	v_mov_b32_e32 v79, 0x7f800001
	s_xor_b32 exec_lo, exec_lo, s18
	s_cbranch_execnz .LBB2_2979
.LBB2_2492:                             ;   in Loop: Header=BB2_2373 Depth=3
	s_or_b32 exec_lo, exec_lo, s18
	s_and_saveexec_b32 s18, s17
.LBB2_2493:                             ;   in Loop: Header=BB2_2373 Depth=3
	v_mov_b32_e32 v79, v77
.LBB2_2494:                             ;   in Loop: Header=BB2_2373 Depth=3
	s_or_b32 exec_lo, exec_lo, s18
	v_max_f32_e32 v79, v79, v79
	v_max_f32_e32 v78, v78, v78
	s_mov_b32 s17, 0
	v_max_f32_e32 v78, v78, v79
.LBB2_2495:                             ;   in Loop: Header=BB2_2373 Depth=3
	s_and_b32 vcc_lo, exec_lo, s17
	s_cbranch_vccz .LBB2_2509
; %bb.2496:                             ;   in Loop: Header=BB2_2373 Depth=3
	v_cmp_gt_i16_sdwa s18, v12, v102 src0_sel:BYTE_3 src1_sel:DWORD
	s_mov_b32 s17, 0
	s_and_saveexec_b32 s22, s18
	s_xor_b32 s18, exec_lo, s22
	s_cbranch_execz .LBB2_2980
; %bb.2497:                             ;   in Loop: Header=BB2_2373 Depth=3
	v_cmp_eq_u16_sdwa s23, v12, v103 src0_sel:BYTE_3 src1_sel:DWORD
	s_mov_b32 s17, -1
	s_and_saveexec_b32 s22, s23
; %bb.2498:                             ;   in Loop: Header=BB2_2373 Depth=3
	s_xor_b32 s17, exec_lo, -1
; %bb.2499:                             ;   in Loop: Header=BB2_2373 Depth=3
	s_or_b32 exec_lo, exec_lo, s22
	s_and_b32 s17, s17, exec_lo
	s_or_saveexec_b32 s18, s18
	v_mov_b32_e32 v78, 0x7f800001
	s_xor_b32 exec_lo, exec_lo, s18
	s_cbranch_execnz .LBB2_2981
.LBB2_2500:                             ;   in Loop: Header=BB2_2373 Depth=3
	s_or_b32 exec_lo, exec_lo, s18
	s_and_saveexec_b32 s18, s17
	s_cbranch_execz .LBB2_2502
.LBB2_2501:                             ;   in Loop: Header=BB2_2373 Depth=3
	v_bfe_u32 v78, v12, 24, 3
	v_bfe_u32 v89, v12, 27, 4
	v_ffbh_u32_e32 v79, v78
	v_cmp_eq_u32_e32 vcc_lo, 0, v89
	v_min_u32_e32 v79, 32, v79
	v_subrev_nc_u32_e32 v88, 28, v79
	v_sub_nc_u32_e32 v79, 29, v79
	v_lshlrev_b32_sdwa v88, v88, v12 dst_sel:DWORD dst_unused:UNUSED_PAD src0_sel:DWORD src1_sel:BYTE_3
	v_cndmask_b32_e32 v79, v89, v79, vcc_lo
	v_and_b32_e32 v12, 0x80000000, v12
	v_and_b32_e32 v88, 7, v88
	v_lshl_add_u32 v79, v79, 23, 0x3b800000
	v_cndmask_b32_e32 v78, v78, v88, vcc_lo
	v_lshlrev_b32_e32 v78, 20, v78
	v_or3_b32 v78, v12, v79, v78
.LBB2_2502:                             ;   in Loop: Header=BB2_2373 Depth=3
	s_or_b32 exec_lo, exec_lo, s18
	v_cmp_gt_i16_sdwa s18, v8, v102 src0_sel:BYTE_3 src1_sel:DWORD
	s_mov_b32 s17, 0
	s_and_saveexec_b32 s22, s18
	s_xor_b32 s18, exec_lo, s22
	s_cbranch_execz .LBB2_2982
; %bb.2503:                             ;   in Loop: Header=BB2_2373 Depth=3
	v_cmp_eq_u16_sdwa s23, v8, v103 src0_sel:BYTE_3 src1_sel:DWORD
	s_mov_b32 s17, -1
	s_and_saveexec_b32 s22, s23
; %bb.2504:                             ;   in Loop: Header=BB2_2373 Depth=3
	s_xor_b32 s17, exec_lo, -1
; %bb.2505:                             ;   in Loop: Header=BB2_2373 Depth=3
	s_or_b32 exec_lo, exec_lo, s22
	s_and_b32 s17, s17, exec_lo
	s_or_saveexec_b32 s18, s18
	v_mov_b32_e32 v12, 0x7f800001
	s_xor_b32 exec_lo, exec_lo, s18
	s_cbranch_execnz .LBB2_2983
.LBB2_2506:                             ;   in Loop: Header=BB2_2373 Depth=3
	s_or_b32 exec_lo, exec_lo, s18
	s_and_saveexec_b32 s18, s17
.LBB2_2507:                             ;   in Loop: Header=BB2_2373 Depth=3
	v_mov_b32_e32 v12, v77
.LBB2_2508:                             ;   in Loop: Header=BB2_2373 Depth=3
	s_or_b32 exec_lo, exec_lo, s18
	v_max_f32_e32 v8, v12, v12
	v_max_f32_e32 v12, v78, v78
	v_min_f32_e32 v78, v12, v8
.LBB2_2509:                             ;   in Loop: Header=BB2_2373 Depth=3
	v_and_b32_e32 v8, 0x7f800000, v78
	v_mov_b32_e32 v12, 0x8000
	s_mov_b32 s18, exec_lo
	v_cmpx_ne_u32_e32 0x7f800000, v8
	s_cbranch_execz .LBB2_2517
; %bb.2510:                             ;   in Loop: Header=BB2_2373 Depth=3
	v_mov_b32_e32 v12, 0
	s_mov_b32 s22, exec_lo
	v_cmpx_ne_u32_e32 0, v78
	s_cbranch_execz .LBB2_2516
; %bb.2511:                             ;   in Loop: Header=BB2_2373 Depth=3
	v_bfe_u32 v8, v78, 23, 8
	v_and_b32_e32 v12, 0x7fffff, v78
	v_sub_nc_u32_e32 v77, 0x78, v8
	v_cmp_gt_u32_e32 vcc_lo, 0x79, v8
	v_or_b32_e32 v79, 0x800000, v12
	v_cndmask_b32_e32 v77, 0, v77, vcc_lo
	v_cmp_eq_u32_e32 vcc_lo, 0, v8
	v_add_nc_u32_e32 v8, 0xffffff89, v8
	v_cndmask_b32_e64 v77, v77, 0x77, vcc_lo
	v_cndmask_b32_e32 v12, v79, v12, vcc_lo
	v_cndmask_b32_e64 v8, v8, 0xffffff8a, vcc_lo
	v_lshl_add_u32 v79, 0x100000, v77, -1
	v_lshrrev_b32_e32 v88, v77, v12
	v_lshlrev_b32_e64 v90, v77, 0x80000
	v_add_nc_u32_e32 v77, v77, v8
	v_and_b32_e32 v12, v79, v12
	v_bfe_u32 v89, v88, 20, 1
	v_cmp_eq_u32_e64 s17, v12, v90
	v_add_nc_u32_e32 v79, -1, v89
	v_cndmask_b32_e64 v12, 0, v79, s17
	v_lshrrev_b32_e32 v79, 23, v88
	s_mov_b32 s17, exec_lo
	v_add_nc_u32_e32 v12, v12, v88
	v_xor_b32_e32 v79, 1, v79
	v_and_b32_e32 v8, 0xfffff, v12
	v_add_nc_u32_e32 v12, v8, v88
                                        ; implicit-def: $vgpr8
	v_cmpx_ne_u32_e64 v77, v79
	s_xor_b32 s17, exec_lo, s17
; %bb.2512:                             ;   in Loop: Header=BB2_2373 Depth=3
	v_cmp_lt_u32_e32 vcc_lo, 0xffffff, v12
	v_sub_nc_u32_e32 v8, v77, v79
	v_cndmask_b32_e64 v77, 0, 1, vcc_lo
	v_add_co_ci_u32_e64 v8, null, 0, v8, vcc_lo
	v_lshrrev_b32_e32 v12, v77, v12
; %bb.2513:                             ;   in Loop: Header=BB2_2373 Depth=3
	s_andn2_saveexec_b32 s17, s17
; %bb.2514:                             ;   in Loop: Header=BB2_2373 Depth=3
	v_bfe_u32 v8, v12, 23, 1
; %bb.2515:                             ;   in Loop: Header=BB2_2373 Depth=3
	s_or_b32 exec_lo, exec_lo, s17
	v_lshrrev_b32_e32 v12, 20, v12
	v_min_i32_e32 v77, 15, v8
	v_cmp_gt_i32_e32 vcc_lo, 16, v8
	v_and_b32_sdwa v78, v78, v103 dst_sel:DWORD dst_unused:UNUSED_PAD src0_sel:BYTE_3 src1_sel:DWORD
	v_lshlrev_b32_e32 v77, 3, v77
	v_cndmask_b32_e32 v12, 7, v12, vcc_lo
	v_and_b32_e32 v77, 0xf8, v77
	v_and_b32_e32 v79, 7, v12
	v_or_b32_e32 v8, v8, v12
	v_or3_b32 v77, v78, v77, v79
	v_cmp_ne_u32_e32 vcc_lo, 0, v8
	v_lshlrev_b32_e32 v12, 8, v77
	v_cndmask_b32_e32 v12, 0, v12, vcc_lo
.LBB2_2516:                             ;   in Loop: Header=BB2_2373 Depth=3
	s_or_b32 exec_lo, exec_lo, s22
.LBB2_2517:                             ;   in Loop: Header=BB2_2373 Depth=3
	s_or_b32 exec_lo, exec_lo, s18
	v_and_b32_e32 v8, 7, v9
	v_bfe_u32 v79, v9, 3, 4
	v_lshlrev_b32_e32 v88, 24, v9
	v_cmp_gt_i16_sdwa s18, v13, v102 src0_sel:BYTE_0 src1_sel:DWORD
	s_mov_b32 s17, -1
	v_ffbh_u32_e32 v77, v8
	v_cmp_eq_u32_e32 vcc_lo, 0, v79
	v_min_u32_e32 v77, 32, v77
	v_subrev_nc_u32_e32 v78, 28, v77
	v_sub_nc_u32_e32 v77, 29, v77
	v_lshlrev_b32_e32 v78, v78, v9
	v_cndmask_b32_e32 v77, v79, v77, vcc_lo
	v_and_b32_e32 v78, 7, v78
	v_lshl_add_u32 v77, v77, 23, 0x3b800000
	v_cndmask_b32_e32 v8, v8, v78, vcc_lo
	v_and_b32_e32 v78, 0x80000000, v88
	s_and_b32 vcc_lo, exec_lo, s74
	v_lshlrev_b32_e32 v8, 20, v8
	v_or3_b32 v8, v78, v77, v8
                                        ; implicit-def: $vgpr78
	s_cbranch_vccz .LBB2_2531
; %bb.2518:                             ;   in Loop: Header=BB2_2373 Depth=3
	s_mov_b32 s17, 0
	s_and_saveexec_b32 s22, s18
	s_xor_b32 s18, exec_lo, s22
	s_cbranch_execz .LBB2_2984
; %bb.2519:                             ;   in Loop: Header=BB2_2373 Depth=3
	v_cmp_eq_u16_sdwa s23, v13, v103 src0_sel:BYTE_0 src1_sel:DWORD
	s_mov_b32 s17, -1
	s_and_saveexec_b32 s22, s23
; %bb.2520:                             ;   in Loop: Header=BB2_2373 Depth=3
	s_xor_b32 s17, exec_lo, -1
; %bb.2521:                             ;   in Loop: Header=BB2_2373 Depth=3
	s_or_b32 exec_lo, exec_lo, s22
	s_and_b32 s17, s17, exec_lo
	s_or_saveexec_b32 s18, s18
	v_mov_b32_e32 v77, 0x7f800001
	s_xor_b32 exec_lo, exec_lo, s18
	s_cbranch_execnz .LBB2_2985
.LBB2_2522:                             ;   in Loop: Header=BB2_2373 Depth=3
	s_or_b32 exec_lo, exec_lo, s18
	s_and_saveexec_b32 s18, s17
	s_cbranch_execz .LBB2_2524
.LBB2_2523:                             ;   in Loop: Header=BB2_2373 Depth=3
	v_and_b32_e32 v77, 7, v13
	v_bfe_u32 v88, v13, 3, 4
	v_lshlrev_b32_e32 v89, 24, v13
	v_ffbh_u32_e32 v78, v77
	v_cmp_eq_u32_e32 vcc_lo, 0, v88
	v_min_u32_e32 v78, 32, v78
	v_subrev_nc_u32_e32 v79, 28, v78
	v_sub_nc_u32_e32 v78, 29, v78
	v_lshlrev_b32_e32 v79, v79, v13
	v_cndmask_b32_e32 v78, v88, v78, vcc_lo
	v_and_b32_e32 v79, 7, v79
	v_lshl_add_u32 v78, v78, 23, 0x3b800000
	v_cndmask_b32_e32 v77, v77, v79, vcc_lo
	v_and_b32_e32 v79, 0x80000000, v89
	v_lshlrev_b32_e32 v77, 20, v77
	v_or3_b32 v77, v79, v78, v77
.LBB2_2524:                             ;   in Loop: Header=BB2_2373 Depth=3
	s_or_b32 exec_lo, exec_lo, s18
	v_cmp_gt_i16_sdwa s18, v9, v102 src0_sel:BYTE_0 src1_sel:DWORD
	s_mov_b32 s17, 0
	s_and_saveexec_b32 s22, s18
	s_xor_b32 s18, exec_lo, s22
	s_cbranch_execz .LBB2_2986
; %bb.2525:                             ;   in Loop: Header=BB2_2373 Depth=3
	v_cmp_eq_u16_sdwa s23, v9, v103 src0_sel:BYTE_0 src1_sel:DWORD
	s_mov_b32 s17, -1
	s_and_saveexec_b32 s22, s23
; %bb.2526:                             ;   in Loop: Header=BB2_2373 Depth=3
	s_xor_b32 s17, exec_lo, -1
; %bb.2527:                             ;   in Loop: Header=BB2_2373 Depth=3
	s_or_b32 exec_lo, exec_lo, s22
	s_and_b32 s17, s17, exec_lo
	s_or_saveexec_b32 s18, s18
	v_mov_b32_e32 v78, 0x7f800001
	s_xor_b32 exec_lo, exec_lo, s18
	s_cbranch_execnz .LBB2_2987
.LBB2_2528:                             ;   in Loop: Header=BB2_2373 Depth=3
	s_or_b32 exec_lo, exec_lo, s18
	s_and_saveexec_b32 s18, s17
.LBB2_2529:                             ;   in Loop: Header=BB2_2373 Depth=3
	v_mov_b32_e32 v78, v8
.LBB2_2530:                             ;   in Loop: Header=BB2_2373 Depth=3
	s_or_b32 exec_lo, exec_lo, s18
	v_max_f32_e32 v78, v78, v78
	v_max_f32_e32 v77, v77, v77
	s_mov_b32 s17, 0
	v_max_f32_e32 v78, v77, v78
.LBB2_2531:                             ;   in Loop: Header=BB2_2373 Depth=3
	s_and_b32 vcc_lo, exec_lo, s17
	s_cbranch_vccz .LBB2_2545
; %bb.2532:                             ;   in Loop: Header=BB2_2373 Depth=3
	v_cmp_gt_i16_sdwa s18, v13, v102 src0_sel:BYTE_0 src1_sel:DWORD
	s_mov_b32 s17, 0
	s_and_saveexec_b32 s22, s18
	s_xor_b32 s18, exec_lo, s22
	s_cbranch_execz .LBB2_2988
; %bb.2533:                             ;   in Loop: Header=BB2_2373 Depth=3
	v_cmp_eq_u16_sdwa s23, v13, v103 src0_sel:BYTE_0 src1_sel:DWORD
	s_mov_b32 s17, -1
	s_and_saveexec_b32 s22, s23
; %bb.2534:                             ;   in Loop: Header=BB2_2373 Depth=3
	s_xor_b32 s17, exec_lo, -1
; %bb.2535:                             ;   in Loop: Header=BB2_2373 Depth=3
	s_or_b32 exec_lo, exec_lo, s22
	s_and_b32 s17, s17, exec_lo
	s_or_saveexec_b32 s18, s18
	v_mov_b32_e32 v77, 0x7f800001
	s_xor_b32 exec_lo, exec_lo, s18
	s_cbranch_execnz .LBB2_2989
.LBB2_2536:                             ;   in Loop: Header=BB2_2373 Depth=3
	s_or_b32 exec_lo, exec_lo, s18
	s_and_saveexec_b32 s18, s17
	s_cbranch_execz .LBB2_2538
.LBB2_2537:                             ;   in Loop: Header=BB2_2373 Depth=3
	v_and_b32_e32 v77, 7, v13
	v_bfe_u32 v88, v13, 3, 4
	v_lshlrev_b32_e32 v89, 24, v13
	v_ffbh_u32_e32 v78, v77
	v_cmp_eq_u32_e32 vcc_lo, 0, v88
	v_min_u32_e32 v78, 32, v78
	v_subrev_nc_u32_e32 v79, 28, v78
	v_sub_nc_u32_e32 v78, 29, v78
	v_lshlrev_b32_e32 v79, v79, v13
	v_cndmask_b32_e32 v78, v88, v78, vcc_lo
	v_and_b32_e32 v79, 7, v79
	v_lshl_add_u32 v78, v78, 23, 0x3b800000
	v_cndmask_b32_e32 v77, v77, v79, vcc_lo
	v_and_b32_e32 v79, 0x80000000, v89
	v_lshlrev_b32_e32 v77, 20, v77
	v_or3_b32 v77, v79, v78, v77
.LBB2_2538:                             ;   in Loop: Header=BB2_2373 Depth=3
	s_or_b32 exec_lo, exec_lo, s18
	v_cmp_gt_i16_sdwa s18, v9, v102 src0_sel:BYTE_0 src1_sel:DWORD
	s_mov_b32 s17, 0
	s_and_saveexec_b32 s22, s18
	s_xor_b32 s18, exec_lo, s22
	s_cbranch_execz .LBB2_2990
; %bb.2539:                             ;   in Loop: Header=BB2_2373 Depth=3
	v_cmp_eq_u16_sdwa s23, v9, v103 src0_sel:BYTE_0 src1_sel:DWORD
	s_mov_b32 s17, -1
	s_and_saveexec_b32 s22, s23
; %bb.2540:                             ;   in Loop: Header=BB2_2373 Depth=3
	s_xor_b32 s17, exec_lo, -1
; %bb.2541:                             ;   in Loop: Header=BB2_2373 Depth=3
	s_or_b32 exec_lo, exec_lo, s22
	s_and_b32 s17, s17, exec_lo
	s_or_saveexec_b32 s18, s18
	v_mov_b32_e32 v78, 0x7f800001
	s_xor_b32 exec_lo, exec_lo, s18
	s_cbranch_execnz .LBB2_2991
.LBB2_2542:                             ;   in Loop: Header=BB2_2373 Depth=3
	s_or_b32 exec_lo, exec_lo, s18
	s_and_saveexec_b32 s18, s17
.LBB2_2543:                             ;   in Loop: Header=BB2_2373 Depth=3
	v_mov_b32_e32 v78, v8
.LBB2_2544:                             ;   in Loop: Header=BB2_2373 Depth=3
	s_or_b32 exec_lo, exec_lo, s18
	v_max_f32_e32 v8, v78, v78
	v_max_f32_e32 v77, v77, v77
	v_min_f32_e32 v78, v77, v8
.LBB2_2545:                             ;   in Loop: Header=BB2_2373 Depth=3
	v_and_b32_e32 v8, 0x7f800000, v78
	v_mov_b32_e32 v77, 0x80
	s_mov_b32 s18, exec_lo
	v_cmpx_ne_u32_e32 0x7f800000, v8
	s_cbranch_execz .LBB2_2553
; %bb.2546:                             ;   in Loop: Header=BB2_2373 Depth=3
	v_mov_b32_e32 v77, 0
	s_mov_b32 s22, exec_lo
	v_cmpx_ne_u32_e32 0, v78
	s_cbranch_execz .LBB2_2552
; %bb.2547:                             ;   in Loop: Header=BB2_2373 Depth=3
	v_bfe_u32 v8, v78, 23, 8
	v_and_b32_e32 v77, 0x7fffff, v78
	v_sub_nc_u32_e32 v79, 0x78, v8
	v_cmp_gt_u32_e32 vcc_lo, 0x79, v8
	v_or_b32_e32 v88, 0x800000, v77
	v_cndmask_b32_e32 v79, 0, v79, vcc_lo
	v_cmp_eq_u32_e32 vcc_lo, 0, v8
	v_add_nc_u32_e32 v8, 0xffffff89, v8
	v_cndmask_b32_e64 v79, v79, 0x77, vcc_lo
	v_cndmask_b32_e32 v77, v88, v77, vcc_lo
	v_cndmask_b32_e64 v8, v8, 0xffffff8a, vcc_lo
	v_lshl_add_u32 v88, 0x100000, v79, -1
	v_lshrrev_b32_e32 v89, v79, v77
	v_lshlrev_b32_e64 v91, v79, 0x80000
	v_add_nc_u32_e32 v79, v79, v8
	v_and_b32_e32 v77, v88, v77
	v_bfe_u32 v90, v89, 20, 1
	v_cmp_eq_u32_e64 s17, v77, v91
	v_add_nc_u32_e32 v88, -1, v90
	v_cndmask_b32_e64 v77, 0, v88, s17
	v_lshrrev_b32_e32 v88, 23, v89
	s_mov_b32 s17, exec_lo
	v_add_nc_u32_e32 v77, v77, v89
	v_xor_b32_e32 v88, 1, v88
	v_and_b32_e32 v8, 0xfffff, v77
	v_add_nc_u32_e32 v77, v8, v89
                                        ; implicit-def: $vgpr8
	v_cmpx_ne_u32_e64 v79, v88
	s_xor_b32 s17, exec_lo, s17
; %bb.2548:                             ;   in Loop: Header=BB2_2373 Depth=3
	v_cmp_lt_u32_e32 vcc_lo, 0xffffff, v77
	v_sub_nc_u32_e32 v8, v79, v88
	v_cndmask_b32_e64 v79, 0, 1, vcc_lo
	v_add_co_ci_u32_e64 v8, null, 0, v8, vcc_lo
	v_lshrrev_b32_e32 v77, v79, v77
; %bb.2549:                             ;   in Loop: Header=BB2_2373 Depth=3
	s_andn2_saveexec_b32 s17, s17
; %bb.2550:                             ;   in Loop: Header=BB2_2373 Depth=3
	v_bfe_u32 v8, v77, 23, 1
; %bb.2551:                             ;   in Loop: Header=BB2_2373 Depth=3
	s_or_b32 exec_lo, exec_lo, s17
	v_lshrrev_b32_e32 v77, 20, v77
	v_min_i32_e32 v79, 15, v8
	v_cmp_gt_i32_e32 vcc_lo, 16, v8
	v_and_b32_sdwa v78, v78, v103 dst_sel:DWORD dst_unused:UNUSED_PAD src0_sel:BYTE_3 src1_sel:DWORD
	v_lshlrev_b32_e32 v79, 3, v79
	v_cndmask_b32_e32 v77, 7, v77, vcc_lo
	v_and_b32_e32 v79, 0xf8, v79
	v_and_b32_e32 v88, 7, v77
	v_or_b32_e32 v8, v8, v77
	v_or3_b32 v77, v79, v78, v88
	v_cmp_ne_u32_e32 vcc_lo, 0, v8
	v_cndmask_b32_e32 v77, 0, v77, vcc_lo
.LBB2_2552:                             ;   in Loop: Header=BB2_2373 Depth=3
	s_or_b32 exec_lo, exec_lo, s22
.LBB2_2553:                             ;   in Loop: Header=BB2_2373 Depth=3
	s_or_b32 exec_lo, exec_lo, s18
	v_and_b32_sdwa v8, v112, v9 dst_sel:DWORD dst_unused:UNUSED_PAD src0_sel:DWORD src1_sel:BYTE_1
	v_cmp_gt_i16_sdwa s18, v13, v102 src0_sel:BYTE_1 src1_sel:DWORD
	s_mov_b32 s17, -1
	v_and_b32_e32 v78, 7, v8
	v_bfe_u32 v89, v8, 3, 4
	v_ffbh_u32_e32 v79, v78
	v_cmp_eq_u32_e32 vcc_lo, 0, v89
	v_min_u32_e32 v79, 32, v79
	v_subrev_nc_u32_e32 v88, 28, v79
	v_sub_nc_u32_e32 v79, 29, v79
	v_lshlrev_b32_e32 v8, v88, v8
	v_lshlrev_b32_sdwa v88, v113, v9 dst_sel:DWORD dst_unused:UNUSED_PAD src0_sel:DWORD src1_sel:BYTE_1
	v_cndmask_b32_e32 v79, v89, v79, vcc_lo
	v_and_b32_e32 v8, 7, v8
	v_lshl_add_u32 v79, v79, 23, 0x3b800000
	v_cndmask_b32_e32 v8, v78, v8, vcc_lo
	v_and_b32_e32 v78, 0x80000000, v88
	s_and_b32 vcc_lo, exec_lo, s74
	v_lshlrev_b32_e32 v8, 20, v8
	v_or3_b32 v8, v78, v79, v8
                                        ; implicit-def: $vgpr79
	s_cbranch_vccz .LBB2_2567
; %bb.2554:                             ;   in Loop: Header=BB2_2373 Depth=3
	s_mov_b32 s17, 0
	s_and_saveexec_b32 s22, s18
	s_xor_b32 s18, exec_lo, s22
	s_cbranch_execz .LBB2_2992
; %bb.2555:                             ;   in Loop: Header=BB2_2373 Depth=3
	v_cmp_eq_u16_sdwa s23, v13, v103 src0_sel:BYTE_1 src1_sel:DWORD
	s_mov_b32 s17, -1
	s_and_saveexec_b32 s22, s23
; %bb.2556:                             ;   in Loop: Header=BB2_2373 Depth=3
	s_xor_b32 s17, exec_lo, -1
; %bb.2557:                             ;   in Loop: Header=BB2_2373 Depth=3
	s_or_b32 exec_lo, exec_lo, s22
	s_and_b32 s17, s17, exec_lo
	s_or_saveexec_b32 s18, s18
	v_mov_b32_e32 v78, 0x7f800001
	s_xor_b32 exec_lo, exec_lo, s18
	s_cbranch_execnz .LBB2_2993
.LBB2_2558:                             ;   in Loop: Header=BB2_2373 Depth=3
	s_or_b32 exec_lo, exec_lo, s18
	s_and_saveexec_b32 s18, s17
	s_cbranch_execz .LBB2_2560
.LBB2_2559:                             ;   in Loop: Header=BB2_2373 Depth=3
	v_and_b32_sdwa v78, v112, v13 dst_sel:DWORD dst_unused:UNUSED_PAD src0_sel:DWORD src1_sel:BYTE_1
	v_and_b32_e32 v79, 7, v78
	v_bfe_u32 v90, v78, 3, 4
	v_ffbh_u32_e32 v88, v79
	v_cmp_eq_u32_e32 vcc_lo, 0, v90
	v_min_u32_e32 v88, 32, v88
	v_subrev_nc_u32_e32 v89, 28, v88
	v_sub_nc_u32_e32 v88, 29, v88
	v_lshlrev_b32_e32 v78, v89, v78
	v_lshlrev_b32_e32 v89, 16, v13
	v_cndmask_b32_e32 v88, v90, v88, vcc_lo
	v_and_b32_e32 v78, 7, v78
	v_lshl_add_u32 v88, v88, 23, 0x3b800000
	v_cndmask_b32_e32 v78, v79, v78, vcc_lo
	v_and_b32_e32 v79, 0x80000000, v89
	v_lshlrev_b32_e32 v78, 20, v78
	v_or3_b32 v78, v79, v88, v78
.LBB2_2560:                             ;   in Loop: Header=BB2_2373 Depth=3
	s_or_b32 exec_lo, exec_lo, s18
	v_cmp_gt_i16_sdwa s18, v9, v102 src0_sel:BYTE_1 src1_sel:DWORD
	s_mov_b32 s17, 0
	s_and_saveexec_b32 s22, s18
	s_xor_b32 s18, exec_lo, s22
	s_cbranch_execz .LBB2_2994
; %bb.2561:                             ;   in Loop: Header=BB2_2373 Depth=3
	v_cmp_eq_u16_sdwa s23, v9, v103 src0_sel:BYTE_1 src1_sel:DWORD
	s_mov_b32 s17, -1
	s_and_saveexec_b32 s22, s23
; %bb.2562:                             ;   in Loop: Header=BB2_2373 Depth=3
	s_xor_b32 s17, exec_lo, -1
; %bb.2563:                             ;   in Loop: Header=BB2_2373 Depth=3
	s_or_b32 exec_lo, exec_lo, s22
	s_and_b32 s17, s17, exec_lo
	s_or_saveexec_b32 s18, s18
	v_mov_b32_e32 v79, 0x7f800001
	s_xor_b32 exec_lo, exec_lo, s18
	s_cbranch_execnz .LBB2_2995
.LBB2_2564:                             ;   in Loop: Header=BB2_2373 Depth=3
	s_or_b32 exec_lo, exec_lo, s18
	s_and_saveexec_b32 s18, s17
.LBB2_2565:                             ;   in Loop: Header=BB2_2373 Depth=3
	v_mov_b32_e32 v79, v8
.LBB2_2566:                             ;   in Loop: Header=BB2_2373 Depth=3
	s_or_b32 exec_lo, exec_lo, s18
	v_max_f32_e32 v79, v79, v79
	v_max_f32_e32 v78, v78, v78
	s_mov_b32 s17, 0
	v_max_f32_e32 v79, v78, v79
.LBB2_2567:                             ;   in Loop: Header=BB2_2373 Depth=3
	s_and_b32 vcc_lo, exec_lo, s17
	s_cbranch_vccz .LBB2_2581
; %bb.2568:                             ;   in Loop: Header=BB2_2373 Depth=3
	v_cmp_gt_i16_sdwa s18, v13, v102 src0_sel:BYTE_1 src1_sel:DWORD
	s_mov_b32 s17, 0
	s_and_saveexec_b32 s22, s18
	s_xor_b32 s18, exec_lo, s22
	s_cbranch_execz .LBB2_2996
; %bb.2569:                             ;   in Loop: Header=BB2_2373 Depth=3
	v_cmp_eq_u16_sdwa s23, v13, v103 src0_sel:BYTE_1 src1_sel:DWORD
	s_mov_b32 s17, -1
	s_and_saveexec_b32 s22, s23
; %bb.2570:                             ;   in Loop: Header=BB2_2373 Depth=3
	s_xor_b32 s17, exec_lo, -1
; %bb.2571:                             ;   in Loop: Header=BB2_2373 Depth=3
	s_or_b32 exec_lo, exec_lo, s22
	s_and_b32 s17, s17, exec_lo
	s_or_saveexec_b32 s18, s18
	v_mov_b32_e32 v78, 0x7f800001
	s_xor_b32 exec_lo, exec_lo, s18
	s_cbranch_execnz .LBB2_2997
.LBB2_2572:                             ;   in Loop: Header=BB2_2373 Depth=3
	s_or_b32 exec_lo, exec_lo, s18
	s_and_saveexec_b32 s18, s17
	s_cbranch_execz .LBB2_2574
.LBB2_2573:                             ;   in Loop: Header=BB2_2373 Depth=3
	v_and_b32_sdwa v78, v112, v13 dst_sel:DWORD dst_unused:UNUSED_PAD src0_sel:DWORD src1_sel:BYTE_1
	v_and_b32_e32 v79, 7, v78
	v_bfe_u32 v90, v78, 3, 4
	v_ffbh_u32_e32 v88, v79
	v_cmp_eq_u32_e32 vcc_lo, 0, v90
	v_min_u32_e32 v88, 32, v88
	v_subrev_nc_u32_e32 v89, 28, v88
	v_sub_nc_u32_e32 v88, 29, v88
	v_lshlrev_b32_e32 v78, v89, v78
	v_lshlrev_b32_e32 v89, 16, v13
	v_cndmask_b32_e32 v88, v90, v88, vcc_lo
	v_and_b32_e32 v78, 7, v78
	v_lshl_add_u32 v88, v88, 23, 0x3b800000
	v_cndmask_b32_e32 v78, v79, v78, vcc_lo
	v_and_b32_e32 v79, 0x80000000, v89
	v_lshlrev_b32_e32 v78, 20, v78
	v_or3_b32 v78, v79, v88, v78
.LBB2_2574:                             ;   in Loop: Header=BB2_2373 Depth=3
	s_or_b32 exec_lo, exec_lo, s18
	v_cmp_gt_i16_sdwa s18, v9, v102 src0_sel:BYTE_1 src1_sel:DWORD
	s_mov_b32 s17, 0
	s_and_saveexec_b32 s22, s18
	s_xor_b32 s18, exec_lo, s22
	s_cbranch_execz .LBB2_2998
; %bb.2575:                             ;   in Loop: Header=BB2_2373 Depth=3
	v_cmp_eq_u16_sdwa s23, v9, v103 src0_sel:BYTE_1 src1_sel:DWORD
	s_mov_b32 s17, -1
	s_and_saveexec_b32 s22, s23
; %bb.2576:                             ;   in Loop: Header=BB2_2373 Depth=3
	s_xor_b32 s17, exec_lo, -1
; %bb.2577:                             ;   in Loop: Header=BB2_2373 Depth=3
	s_or_b32 exec_lo, exec_lo, s22
	s_and_b32 s17, s17, exec_lo
	s_or_saveexec_b32 s18, s18
	v_mov_b32_e32 v79, 0x7f800001
	s_xor_b32 exec_lo, exec_lo, s18
	s_cbranch_execnz .LBB2_2999
.LBB2_2578:                             ;   in Loop: Header=BB2_2373 Depth=3
	s_or_b32 exec_lo, exec_lo, s18
	s_and_saveexec_b32 s18, s17
.LBB2_2579:                             ;   in Loop: Header=BB2_2373 Depth=3
	v_mov_b32_e32 v79, v8
.LBB2_2580:                             ;   in Loop: Header=BB2_2373 Depth=3
	s_or_b32 exec_lo, exec_lo, s18
	v_max_f32_e32 v8, v79, v79
	v_max_f32_e32 v78, v78, v78
	v_min_f32_e32 v79, v78, v8
.LBB2_2581:                             ;   in Loop: Header=BB2_2373 Depth=3
	v_and_b32_e32 v8, 0x7f800000, v79
	v_mov_b32_e32 v78, 0x8000
	s_mov_b32 s18, exec_lo
	v_cmpx_ne_u32_e32 0x7f800000, v8
	s_cbranch_execz .LBB2_2589
; %bb.2582:                             ;   in Loop: Header=BB2_2373 Depth=3
	v_mov_b32_e32 v78, 0
	s_mov_b32 s22, exec_lo
	v_cmpx_ne_u32_e32 0, v79
	s_cbranch_execz .LBB2_2588
; %bb.2583:                             ;   in Loop: Header=BB2_2373 Depth=3
	v_bfe_u32 v8, v79, 23, 8
	v_and_b32_e32 v78, 0x7fffff, v79
	v_sub_nc_u32_e32 v88, 0x78, v8
	v_cmp_gt_u32_e32 vcc_lo, 0x79, v8
	v_or_b32_e32 v89, 0x800000, v78
	v_cndmask_b32_e32 v88, 0, v88, vcc_lo
	v_cmp_eq_u32_e32 vcc_lo, 0, v8
	v_add_nc_u32_e32 v8, 0xffffff89, v8
	v_cndmask_b32_e64 v88, v88, 0x77, vcc_lo
	v_cndmask_b32_e32 v78, v89, v78, vcc_lo
	v_cndmask_b32_e64 v8, v8, 0xffffff8a, vcc_lo
	v_lshl_add_u32 v89, 0x100000, v88, -1
	v_lshrrev_b32_e32 v90, v88, v78
	v_lshlrev_b32_e64 v92, v88, 0x80000
	v_add_nc_u32_e32 v88, v88, v8
	v_and_b32_e32 v78, v89, v78
	v_bfe_u32 v91, v90, 20, 1
	v_cmp_eq_u32_e64 s17, v78, v92
	v_add_nc_u32_e32 v89, -1, v91
	v_cndmask_b32_e64 v78, 0, v89, s17
	v_lshrrev_b32_e32 v89, 23, v90
	s_mov_b32 s17, exec_lo
	v_add_nc_u32_e32 v78, v78, v90
	v_xor_b32_e32 v89, 1, v89
	v_and_b32_e32 v8, 0xfffff, v78
	v_add_nc_u32_e32 v78, v8, v90
                                        ; implicit-def: $vgpr8
	v_cmpx_ne_u32_e64 v88, v89
	s_xor_b32 s17, exec_lo, s17
; %bb.2584:                             ;   in Loop: Header=BB2_2373 Depth=3
	v_cmp_lt_u32_e32 vcc_lo, 0xffffff, v78
	v_sub_nc_u32_e32 v8, v88, v89
	v_cndmask_b32_e64 v88, 0, 1, vcc_lo
	v_add_co_ci_u32_e64 v8, null, 0, v8, vcc_lo
	v_lshrrev_b32_e32 v78, v88, v78
; %bb.2585:                             ;   in Loop: Header=BB2_2373 Depth=3
	s_andn2_saveexec_b32 s17, s17
; %bb.2586:                             ;   in Loop: Header=BB2_2373 Depth=3
	v_bfe_u32 v8, v78, 23, 1
; %bb.2587:                             ;   in Loop: Header=BB2_2373 Depth=3
	s_or_b32 exec_lo, exec_lo, s17
	v_lshrrev_b32_e32 v78, 20, v78
	v_min_i32_e32 v88, 15, v8
	v_cmp_gt_i32_e32 vcc_lo, 16, v8
	v_and_b32_sdwa v79, v79, v103 dst_sel:DWORD dst_unused:UNUSED_PAD src0_sel:BYTE_3 src1_sel:DWORD
	v_lshlrev_b32_e32 v88, 3, v88
	v_cndmask_b32_e32 v78, 7, v78, vcc_lo
	v_and_b32_e32 v88, 0xf8, v88
	v_and_b32_e32 v89, 7, v78
	v_or_b32_e32 v8, v8, v78
	v_or3_b32 v79, v79, v88, v89
	v_cmp_ne_u32_e32 vcc_lo, 0, v8
	v_lshlrev_b32_e32 v78, 8, v79
	v_cndmask_b32_e32 v78, 0, v78, vcc_lo
.LBB2_2588:                             ;   in Loop: Header=BB2_2373 Depth=3
	s_or_b32 exec_lo, exec_lo, s22
.LBB2_2589:                             ;   in Loop: Header=BB2_2373 Depth=3
	s_or_b32 exec_lo, exec_lo, s18
	v_bfe_u32 v8, v9, 16, 3
	v_bfe_u32 v89, v9, 19, 4
	v_lshlrev_b32_e32 v90, 8, v9
	s_mov_b32 s18, -1
	v_ffbh_u32_e32 v79, v8
	v_cmp_eq_u32_e32 vcc_lo, 0, v89
	v_min_u32_e32 v79, 32, v79
	v_subrev_nc_u32_e32 v88, 28, v79
	v_sub_nc_u32_e32 v79, 29, v79
	v_lshlrev_b32_sdwa v88, v88, v9 dst_sel:DWORD dst_unused:UNUSED_PAD src0_sel:DWORD src1_sel:WORD_1
	v_cndmask_b32_e32 v79, v89, v79, vcc_lo
	v_and_b32_e32 v88, 7, v88
	v_lshl_add_u32 v89, v79, 23, 0x3b800000
	v_and_b32_sdwa v79, v13, v114 dst_sel:DWORD dst_unused:UNUSED_PAD src0_sel:WORD_1 src1_sel:DWORD
	v_cndmask_b32_e32 v8, v8, v88, vcc_lo
	v_and_b32_e32 v88, 0x80000000, v90
	v_cmp_lt_i16_e64 s17, 0x7f, v79
	s_and_b32 vcc_lo, exec_lo, s74
	v_lshlrev_b32_e32 v8, 20, v8
	v_or3_b32 v8, v88, v89, v8
                                        ; implicit-def: $vgpr88
	s_cbranch_vccz .LBB2_2603
; %bb.2590:                             ;   in Loop: Header=BB2_2373 Depth=3
	s_mov_b32 s18, 0
	s_and_saveexec_b32 s22, s17
	s_xor_b32 s17, exec_lo, s22
	s_cbranch_execz .LBB2_3000
; %bb.2591:                             ;   in Loop: Header=BB2_2373 Depth=3
	s_mov_b32 s18, -1
	s_mov_b32 s22, exec_lo
	v_cmpx_eq_u16_e32 0x80, v79
; %bb.2592:                             ;   in Loop: Header=BB2_2373 Depth=3
	s_xor_b32 s18, exec_lo, -1
; %bb.2593:                             ;   in Loop: Header=BB2_2373 Depth=3
	s_or_b32 exec_lo, exec_lo, s22
	s_and_b32 s18, s18, exec_lo
	s_or_saveexec_b32 s17, s17
	v_mov_b32_e32 v88, 0x7f800001
	s_xor_b32 exec_lo, exec_lo, s17
	s_cbranch_execnz .LBB2_3001
.LBB2_2594:                             ;   in Loop: Header=BB2_2373 Depth=3
	s_or_b32 exec_lo, exec_lo, s17
	s_and_saveexec_b32 s17, s18
	s_cbranch_execz .LBB2_2596
.LBB2_2595:                             ;   in Loop: Header=BB2_2373 Depth=3
	v_bfe_u32 v88, v13, 16, 3
	v_bfe_u32 v91, v13, 19, 4
	v_lshlrev_b32_sdwa v92, v113, v13 dst_sel:DWORD dst_unused:UNUSED_PAD src0_sel:DWORD src1_sel:WORD_1
	v_ffbh_u32_e32 v89, v88
	v_cmp_eq_u32_e32 vcc_lo, 0, v91
	v_min_u32_e32 v89, 32, v89
	v_subrev_nc_u32_e32 v90, 28, v89
	v_sub_nc_u32_e32 v89, 29, v89
	v_lshlrev_b32_sdwa v90, v90, v13 dst_sel:DWORD dst_unused:UNUSED_PAD src0_sel:DWORD src1_sel:WORD_1
	v_cndmask_b32_e32 v89, v91, v89, vcc_lo
	v_and_b32_e32 v90, 7, v90
	v_lshl_add_u32 v89, v89, 23, 0x3b800000
	v_cndmask_b32_e32 v88, v88, v90, vcc_lo
	v_and_b32_e32 v90, 0x80000000, v92
	v_lshlrev_b32_e32 v88, 20, v88
	v_or3_b32 v88, v90, v89, v88
.LBB2_2596:                             ;   in Loop: Header=BB2_2373 Depth=3
	s_or_b32 exec_lo, exec_lo, s17
	v_and_b32_sdwa v90, v9, v114 dst_sel:DWORD dst_unused:UNUSED_PAD src0_sel:WORD_1 src1_sel:DWORD
	s_mov_b32 s17, 0
	s_mov_b32 s18, exec_lo
	v_cmpx_lt_i16_e32 0x7f, v90
	s_xor_b32 s18, exec_lo, s18
	s_cbranch_execz .LBB2_3002
; %bb.2597:                             ;   in Loop: Header=BB2_2373 Depth=3
	s_mov_b32 s17, -1
	s_mov_b32 s22, exec_lo
	v_cmpx_eq_u16_e32 0x80, v90
; %bb.2598:                             ;   in Loop: Header=BB2_2373 Depth=3
	s_xor_b32 s17, exec_lo, -1
; %bb.2599:                             ;   in Loop: Header=BB2_2373 Depth=3
	s_or_b32 exec_lo, exec_lo, s22
	s_and_b32 s17, s17, exec_lo
                                        ; implicit-def: $vgpr90
	s_or_saveexec_b32 s18, s18
	v_mov_b32_e32 v89, 0x7f800001
	s_xor_b32 exec_lo, exec_lo, s18
	s_cbranch_execnz .LBB2_3003
.LBB2_2600:                             ;   in Loop: Header=BB2_2373 Depth=3
	s_or_b32 exec_lo, exec_lo, s18
	s_and_saveexec_b32 s18, s17
.LBB2_2601:                             ;   in Loop: Header=BB2_2373 Depth=3
	v_mov_b32_e32 v89, v8
.LBB2_2602:                             ;   in Loop: Header=BB2_2373 Depth=3
	s_or_b32 exec_lo, exec_lo, s18
	v_max_f32_e32 v89, v89, v89
	v_max_f32_e32 v88, v88, v88
	s_mov_b32 s18, 0
	v_max_f32_e32 v88, v88, v89
.LBB2_2603:                             ;   in Loop: Header=BB2_2373 Depth=3
	s_and_b32 vcc_lo, exec_lo, s18
	s_cbranch_vccz .LBB2_2617
; %bb.2604:                             ;   in Loop: Header=BB2_2373 Depth=3
	s_mov_b32 s17, 0
	s_mov_b32 s18, exec_lo
	v_cmpx_lt_i16_e32 0x7f, v79
	s_xor_b32 s18, exec_lo, s18
	s_cbranch_execz .LBB2_3004
; %bb.2605:                             ;   in Loop: Header=BB2_2373 Depth=3
	s_mov_b32 s17, -1
	s_mov_b32 s22, exec_lo
	v_cmpx_eq_u16_e32 0x80, v79
; %bb.2606:                             ;   in Loop: Header=BB2_2373 Depth=3
	s_xor_b32 s17, exec_lo, -1
; %bb.2607:                             ;   in Loop: Header=BB2_2373 Depth=3
	s_or_b32 exec_lo, exec_lo, s22
	s_and_b32 s17, s17, exec_lo
                                        ; implicit-def: $vgpr79
	s_or_saveexec_b32 s18, s18
	v_mov_b32_e32 v88, 0x7f800001
	s_xor_b32 exec_lo, exec_lo, s18
	s_cbranch_execnz .LBB2_3005
.LBB2_2608:                             ;   in Loop: Header=BB2_2373 Depth=3
	s_or_b32 exec_lo, exec_lo, s18
	s_and_saveexec_b32 s18, s17
	s_cbranch_execz .LBB2_2610
.LBB2_2609:                             ;   in Loop: Header=BB2_2373 Depth=3
	v_bfe_u32 v79, v13, 16, 3
	v_bfe_u32 v90, v13, 19, 4
	v_lshlrev_b32_sdwa v91, v113, v13 dst_sel:DWORD dst_unused:UNUSED_PAD src0_sel:DWORD src1_sel:WORD_1
	v_ffbh_u32_e32 v88, v79
	v_cmp_eq_u32_e32 vcc_lo, 0, v90
	v_min_u32_e32 v88, 32, v88
	v_subrev_nc_u32_e32 v89, 28, v88
	v_sub_nc_u32_e32 v88, 29, v88
	v_lshlrev_b32_sdwa v89, v89, v13 dst_sel:DWORD dst_unused:UNUSED_PAD src0_sel:DWORD src1_sel:WORD_1
	v_cndmask_b32_e32 v88, v90, v88, vcc_lo
	v_and_b32_e32 v89, 7, v89
	v_lshl_add_u32 v88, v88, 23, 0x3b800000
	v_cndmask_b32_e32 v79, v79, v89, vcc_lo
	v_and_b32_e32 v89, 0x80000000, v91
	v_lshlrev_b32_e32 v79, 20, v79
	v_or3_b32 v88, v89, v88, v79
.LBB2_2610:                             ;   in Loop: Header=BB2_2373 Depth=3
	s_or_b32 exec_lo, exec_lo, s18
	v_and_b32_sdwa v89, v9, v114 dst_sel:DWORD dst_unused:UNUSED_PAD src0_sel:WORD_1 src1_sel:DWORD
	s_mov_b32 s17, 0
	s_mov_b32 s18, exec_lo
	v_cmpx_lt_i16_e32 0x7f, v89
	s_xor_b32 s18, exec_lo, s18
	s_cbranch_execz .LBB2_3006
; %bb.2611:                             ;   in Loop: Header=BB2_2373 Depth=3
	s_mov_b32 s17, -1
	s_mov_b32 s22, exec_lo
	v_cmpx_eq_u16_e32 0x80, v89
; %bb.2612:                             ;   in Loop: Header=BB2_2373 Depth=3
	s_xor_b32 s17, exec_lo, -1
; %bb.2613:                             ;   in Loop: Header=BB2_2373 Depth=3
	s_or_b32 exec_lo, exec_lo, s22
	s_and_b32 s17, s17, exec_lo
                                        ; implicit-def: $vgpr89
	s_or_saveexec_b32 s18, s18
	v_mov_b32_e32 v79, 0x7f800001
	s_xor_b32 exec_lo, exec_lo, s18
	s_cbranch_execnz .LBB2_3007
.LBB2_2614:                             ;   in Loop: Header=BB2_2373 Depth=3
	s_or_b32 exec_lo, exec_lo, s18
	s_and_saveexec_b32 s18, s17
.LBB2_2615:                             ;   in Loop: Header=BB2_2373 Depth=3
	v_mov_b32_e32 v79, v8
.LBB2_2616:                             ;   in Loop: Header=BB2_2373 Depth=3
	s_or_b32 exec_lo, exec_lo, s18
	v_max_f32_e32 v8, v79, v79
	v_max_f32_e32 v79, v88, v88
	v_min_f32_e32 v88, v79, v8
.LBB2_2617:                             ;   in Loop: Header=BB2_2373 Depth=3
	v_and_b32_e32 v8, 0x7f800000, v88
	v_mov_b32_e32 v79, 0x80
	s_mov_b32 s18, exec_lo
	v_cmpx_ne_u32_e32 0x7f800000, v8
	s_cbranch_execz .LBB2_2625
; %bb.2618:                             ;   in Loop: Header=BB2_2373 Depth=3
	v_mov_b32_e32 v79, 0
	s_mov_b32 s22, exec_lo
	v_cmpx_ne_u32_e32 0, v88
	s_cbranch_execz .LBB2_2624
; %bb.2619:                             ;   in Loop: Header=BB2_2373 Depth=3
	v_bfe_u32 v8, v88, 23, 8
	v_and_b32_e32 v79, 0x7fffff, v88
	v_sub_nc_u32_e32 v89, 0x78, v8
	v_cmp_gt_u32_e32 vcc_lo, 0x79, v8
	v_or_b32_e32 v90, 0x800000, v79
	v_cndmask_b32_e32 v89, 0, v89, vcc_lo
	v_cmp_eq_u32_e32 vcc_lo, 0, v8
	v_add_nc_u32_e32 v8, 0xffffff89, v8
	v_cndmask_b32_e64 v89, v89, 0x77, vcc_lo
	v_cndmask_b32_e32 v79, v90, v79, vcc_lo
	v_cndmask_b32_e64 v8, v8, 0xffffff8a, vcc_lo
	v_lshl_add_u32 v90, 0x100000, v89, -1
	v_lshrrev_b32_e32 v91, v89, v79
	v_lshlrev_b32_e64 v93, v89, 0x80000
	v_add_nc_u32_e32 v89, v89, v8
	v_and_b32_e32 v79, v90, v79
	v_bfe_u32 v92, v91, 20, 1
	v_cmp_eq_u32_e64 s17, v79, v93
	v_add_nc_u32_e32 v90, -1, v92
	v_cndmask_b32_e64 v79, 0, v90, s17
	v_lshrrev_b32_e32 v90, 23, v91
	s_mov_b32 s17, exec_lo
	v_add_nc_u32_e32 v79, v79, v91
	v_xor_b32_e32 v90, 1, v90
	v_and_b32_e32 v8, 0xfffff, v79
	v_add_nc_u32_e32 v79, v8, v91
                                        ; implicit-def: $vgpr8
	v_cmpx_ne_u32_e64 v89, v90
	s_xor_b32 s17, exec_lo, s17
; %bb.2620:                             ;   in Loop: Header=BB2_2373 Depth=3
	v_cmp_lt_u32_e32 vcc_lo, 0xffffff, v79
	v_sub_nc_u32_e32 v8, v89, v90
	v_cndmask_b32_e64 v89, 0, 1, vcc_lo
	v_add_co_ci_u32_e64 v8, null, 0, v8, vcc_lo
	v_lshrrev_b32_e32 v79, v89, v79
; %bb.2621:                             ;   in Loop: Header=BB2_2373 Depth=3
	s_andn2_saveexec_b32 s17, s17
; %bb.2622:                             ;   in Loop: Header=BB2_2373 Depth=3
	v_bfe_u32 v8, v79, 23, 1
; %bb.2623:                             ;   in Loop: Header=BB2_2373 Depth=3
	s_or_b32 exec_lo, exec_lo, s17
	v_lshrrev_b32_e32 v79, 20, v79
	v_min_i32_e32 v89, 15, v8
	v_cmp_gt_i32_e32 vcc_lo, 16, v8
	v_and_b32_sdwa v88, v88, v103 dst_sel:DWORD dst_unused:UNUSED_PAD src0_sel:BYTE_3 src1_sel:DWORD
	v_lshlrev_b32_e32 v89, 3, v89
	v_cndmask_b32_e32 v79, 7, v79, vcc_lo
	v_and_b32_e32 v89, 0xf8, v89
	v_and_b32_e32 v90, 7, v79
	v_or_b32_e32 v8, v8, v79
	v_or3_b32 v79, v89, v88, v90
	v_cmp_ne_u32_e32 vcc_lo, 0, v8
	v_cndmask_b32_e32 v79, 0, v79, vcc_lo
.LBB2_2624:                             ;   in Loop: Header=BB2_2373 Depth=3
	s_or_b32 exec_lo, exec_lo, s22
.LBB2_2625:                             ;   in Loop: Header=BB2_2373 Depth=3
	s_or_b32 exec_lo, exec_lo, s18
	v_bfe_u32 v8, v9, 24, 3
	v_bfe_u32 v90, v9, 27, 4
	v_cmp_gt_i16_sdwa s18, v13, v102 src0_sel:BYTE_3 src1_sel:DWORD
	s_mov_b32 s17, -1
	v_ffbh_u32_e32 v88, v8
	v_cmp_eq_u32_e32 vcc_lo, 0, v90
	v_min_u32_e32 v88, 32, v88
	v_subrev_nc_u32_e32 v89, 28, v88
	v_sub_nc_u32_e32 v88, 29, v88
	v_lshlrev_b32_sdwa v89, v89, v9 dst_sel:DWORD dst_unused:UNUSED_PAD src0_sel:DWORD src1_sel:BYTE_3
	v_cndmask_b32_e32 v88, v90, v88, vcc_lo
	v_and_b32_e32 v89, 7, v89
	v_lshl_add_u32 v88, v88, 23, 0x3b800000
	v_cndmask_b32_e32 v8, v8, v89, vcc_lo
	v_and_b32_e32 v89, 0x80000000, v9
	s_and_b32 vcc_lo, exec_lo, s74
	v_lshlrev_b32_e32 v8, 20, v8
	v_or3_b32 v8, v89, v88, v8
                                        ; implicit-def: $vgpr88
	s_cbranch_vccz .LBB2_2639
; %bb.2626:                             ;   in Loop: Header=BB2_2373 Depth=3
	s_mov_b32 s17, 0
	s_and_saveexec_b32 s22, s18
	s_xor_b32 s18, exec_lo, s22
	s_cbranch_execz .LBB2_3008
; %bb.2627:                             ;   in Loop: Header=BB2_2373 Depth=3
	v_cmp_eq_u16_sdwa s23, v13, v103 src0_sel:BYTE_3 src1_sel:DWORD
	s_mov_b32 s17, -1
	s_and_saveexec_b32 s22, s23
; %bb.2628:                             ;   in Loop: Header=BB2_2373 Depth=3
	s_xor_b32 s17, exec_lo, -1
; %bb.2629:                             ;   in Loop: Header=BB2_2373 Depth=3
	s_or_b32 exec_lo, exec_lo, s22
	s_and_b32 s17, s17, exec_lo
	s_or_saveexec_b32 s18, s18
	v_mov_b32_e32 v88, 0x7f800001
	s_xor_b32 exec_lo, exec_lo, s18
	s_cbranch_execnz .LBB2_3009
.LBB2_2630:                             ;   in Loop: Header=BB2_2373 Depth=3
	s_or_b32 exec_lo, exec_lo, s18
	s_and_saveexec_b32 s18, s17
	s_cbranch_execz .LBB2_2632
.LBB2_2631:                             ;   in Loop: Header=BB2_2373 Depth=3
	v_bfe_u32 v88, v13, 24, 3
	v_bfe_u32 v91, v13, 27, 4
	v_ffbh_u32_e32 v89, v88
	v_cmp_eq_u32_e32 vcc_lo, 0, v91
	v_min_u32_e32 v89, 32, v89
	v_subrev_nc_u32_e32 v90, 28, v89
	v_sub_nc_u32_e32 v89, 29, v89
	v_lshlrev_b32_sdwa v90, v90, v13 dst_sel:DWORD dst_unused:UNUSED_PAD src0_sel:DWORD src1_sel:BYTE_3
	v_cndmask_b32_e32 v89, v91, v89, vcc_lo
	v_and_b32_e32 v90, 7, v90
	v_lshl_add_u32 v89, v89, 23, 0x3b800000
	v_cndmask_b32_e32 v88, v88, v90, vcc_lo
	v_and_b32_e32 v90, 0x80000000, v13
	v_lshlrev_b32_e32 v88, 20, v88
	v_or3_b32 v88, v90, v89, v88
.LBB2_2632:                             ;   in Loop: Header=BB2_2373 Depth=3
	s_or_b32 exec_lo, exec_lo, s18
	v_cmp_gt_i16_sdwa s18, v9, v102 src0_sel:BYTE_3 src1_sel:DWORD
	s_mov_b32 s17, 0
	s_and_saveexec_b32 s22, s18
	s_xor_b32 s18, exec_lo, s22
	s_cbranch_execz .LBB2_3010
; %bb.2633:                             ;   in Loop: Header=BB2_2373 Depth=3
	v_cmp_eq_u16_sdwa s23, v9, v103 src0_sel:BYTE_3 src1_sel:DWORD
	s_mov_b32 s17, -1
	s_and_saveexec_b32 s22, s23
; %bb.2634:                             ;   in Loop: Header=BB2_2373 Depth=3
	s_xor_b32 s17, exec_lo, -1
; %bb.2635:                             ;   in Loop: Header=BB2_2373 Depth=3
	s_or_b32 exec_lo, exec_lo, s22
	s_and_b32 s17, s17, exec_lo
	s_or_saveexec_b32 s18, s18
	v_mov_b32_e32 v89, 0x7f800001
	s_xor_b32 exec_lo, exec_lo, s18
	s_cbranch_execnz .LBB2_3011
.LBB2_2636:                             ;   in Loop: Header=BB2_2373 Depth=3
	s_or_b32 exec_lo, exec_lo, s18
	s_and_saveexec_b32 s18, s17
.LBB2_2637:                             ;   in Loop: Header=BB2_2373 Depth=3
	v_mov_b32_e32 v89, v8
.LBB2_2638:                             ;   in Loop: Header=BB2_2373 Depth=3
	s_or_b32 exec_lo, exec_lo, s18
	v_max_f32_e32 v89, v89, v89
	v_max_f32_e32 v88, v88, v88
	s_mov_b32 s17, 0
	v_max_f32_e32 v88, v88, v89
.LBB2_2639:                             ;   in Loop: Header=BB2_2373 Depth=3
	s_and_b32 vcc_lo, exec_lo, s17
	s_cbranch_vccz .LBB2_2653
; %bb.2640:                             ;   in Loop: Header=BB2_2373 Depth=3
	v_cmp_gt_i16_sdwa s18, v13, v102 src0_sel:BYTE_3 src1_sel:DWORD
	s_mov_b32 s17, 0
	s_and_saveexec_b32 s22, s18
	s_xor_b32 s18, exec_lo, s22
	s_cbranch_execz .LBB2_3012
; %bb.2641:                             ;   in Loop: Header=BB2_2373 Depth=3
	v_cmp_eq_u16_sdwa s23, v13, v103 src0_sel:BYTE_3 src1_sel:DWORD
	s_mov_b32 s17, -1
	s_and_saveexec_b32 s22, s23
; %bb.2642:                             ;   in Loop: Header=BB2_2373 Depth=3
	s_xor_b32 s17, exec_lo, -1
; %bb.2643:                             ;   in Loop: Header=BB2_2373 Depth=3
	s_or_b32 exec_lo, exec_lo, s22
	s_and_b32 s17, s17, exec_lo
	s_or_saveexec_b32 s18, s18
	v_mov_b32_e32 v88, 0x7f800001
	s_xor_b32 exec_lo, exec_lo, s18
	s_cbranch_execnz .LBB2_3013
.LBB2_2644:                             ;   in Loop: Header=BB2_2373 Depth=3
	s_or_b32 exec_lo, exec_lo, s18
	s_and_saveexec_b32 s18, s17
	s_cbranch_execz .LBB2_2646
.LBB2_2645:                             ;   in Loop: Header=BB2_2373 Depth=3
	v_bfe_u32 v88, v13, 24, 3
	v_bfe_u32 v91, v13, 27, 4
	v_ffbh_u32_e32 v89, v88
	v_cmp_eq_u32_e32 vcc_lo, 0, v91
	v_min_u32_e32 v89, 32, v89
	v_subrev_nc_u32_e32 v90, 28, v89
	v_sub_nc_u32_e32 v89, 29, v89
	v_lshlrev_b32_sdwa v90, v90, v13 dst_sel:DWORD dst_unused:UNUSED_PAD src0_sel:DWORD src1_sel:BYTE_3
	v_cndmask_b32_e32 v89, v91, v89, vcc_lo
	v_and_b32_e32 v13, 0x80000000, v13
	v_and_b32_e32 v90, 7, v90
	v_lshl_add_u32 v89, v89, 23, 0x3b800000
	v_cndmask_b32_e32 v88, v88, v90, vcc_lo
	v_lshlrev_b32_e32 v88, 20, v88
	v_or3_b32 v88, v13, v89, v88
.LBB2_2646:                             ;   in Loop: Header=BB2_2373 Depth=3
	s_or_b32 exec_lo, exec_lo, s18
	v_cmp_gt_i16_sdwa s18, v9, v102 src0_sel:BYTE_3 src1_sel:DWORD
	s_mov_b32 s17, 0
	s_and_saveexec_b32 s22, s18
	s_xor_b32 s18, exec_lo, s22
	s_cbranch_execz .LBB2_3014
; %bb.2647:                             ;   in Loop: Header=BB2_2373 Depth=3
	v_cmp_eq_u16_sdwa s23, v9, v103 src0_sel:BYTE_3 src1_sel:DWORD
	s_mov_b32 s17, -1
	s_and_saveexec_b32 s22, s23
; %bb.2648:                             ;   in Loop: Header=BB2_2373 Depth=3
	s_xor_b32 s17, exec_lo, -1
; %bb.2649:                             ;   in Loop: Header=BB2_2373 Depth=3
	s_or_b32 exec_lo, exec_lo, s22
	s_and_b32 s17, s17, exec_lo
	s_or_saveexec_b32 s18, s18
	v_mov_b32_e32 v13, 0x7f800001
	s_xor_b32 exec_lo, exec_lo, s18
	s_cbranch_execnz .LBB2_3015
.LBB2_2650:                             ;   in Loop: Header=BB2_2373 Depth=3
	s_or_b32 exec_lo, exec_lo, s18
	s_and_saveexec_b32 s18, s17
.LBB2_2651:                             ;   in Loop: Header=BB2_2373 Depth=3
	v_mov_b32_e32 v13, v8
.LBB2_2652:                             ;   in Loop: Header=BB2_2373 Depth=3
	s_or_b32 exec_lo, exec_lo, s18
	v_max_f32_e32 v8, v13, v13
	v_max_f32_e32 v9, v88, v88
	v_min_f32_e32 v88, v9, v8
.LBB2_2653:                             ;   in Loop: Header=BB2_2373 Depth=3
	v_and_b32_e32 v8, 0x7f800000, v88
	v_mov_b32_e32 v13, 0x8000
	s_mov_b32 s18, exec_lo
	v_cmpx_ne_u32_e32 0x7f800000, v8
	s_cbranch_execz .LBB2_2661
; %bb.2654:                             ;   in Loop: Header=BB2_2373 Depth=3
	v_mov_b32_e32 v13, 0
	s_mov_b32 s22, exec_lo
	v_cmpx_ne_u32_e32 0, v88
	s_cbranch_execz .LBB2_2660
; %bb.2655:                             ;   in Loop: Header=BB2_2373 Depth=3
	v_bfe_u32 v8, v88, 23, 8
	v_and_b32_e32 v9, 0x7fffff, v88
	v_sub_nc_u32_e32 v13, 0x78, v8
	v_cmp_gt_u32_e32 vcc_lo, 0x79, v8
	v_or_b32_e32 v89, 0x800000, v9
	v_cndmask_b32_e32 v13, 0, v13, vcc_lo
	v_cmp_eq_u32_e32 vcc_lo, 0, v8
	v_add_nc_u32_e32 v8, 0xffffff89, v8
	v_cndmask_b32_e64 v13, v13, 0x77, vcc_lo
	v_cndmask_b32_e32 v9, v89, v9, vcc_lo
	v_cndmask_b32_e64 v8, v8, 0xffffff8a, vcc_lo
	v_lshl_add_u32 v89, 0x100000, v13, -1
	v_lshrrev_b32_e32 v90, v13, v9
	v_lshlrev_b32_e64 v92, v13, 0x80000
	v_add_nc_u32_e32 v13, v13, v8
	v_and_b32_e32 v9, v89, v9
	v_bfe_u32 v91, v90, 20, 1
	v_cmp_eq_u32_e64 s17, v9, v92
	v_add_nc_u32_e32 v89, -1, v91
	v_cndmask_b32_e64 v9, 0, v89, s17
	v_lshrrev_b32_e32 v89, 23, v90
	s_mov_b32 s17, exec_lo
	v_add_nc_u32_e32 v9, v9, v90
	v_xor_b32_e32 v89, 1, v89
	v_and_b32_e32 v8, 0xfffff, v9
	v_add_nc_u32_e32 v9, v8, v90
                                        ; implicit-def: $vgpr8
	v_cmpx_ne_u32_e64 v13, v89
	s_xor_b32 s17, exec_lo, s17
; %bb.2656:                             ;   in Loop: Header=BB2_2373 Depth=3
	v_cmp_lt_u32_e32 vcc_lo, 0xffffff, v9
	v_sub_nc_u32_e32 v8, v13, v89
	v_cndmask_b32_e64 v13, 0, 1, vcc_lo
	v_add_co_ci_u32_e64 v8, null, 0, v8, vcc_lo
	v_lshrrev_b32_e32 v9, v13, v9
; %bb.2657:                             ;   in Loop: Header=BB2_2373 Depth=3
	s_andn2_saveexec_b32 s17, s17
; %bb.2658:                             ;   in Loop: Header=BB2_2373 Depth=3
	v_bfe_u32 v8, v9, 23, 1
; %bb.2659:                             ;   in Loop: Header=BB2_2373 Depth=3
	s_or_b32 exec_lo, exec_lo, s17
	v_lshrrev_b32_e32 v9, 20, v9
	v_min_i32_e32 v13, 15, v8
	v_cmp_gt_i32_e32 vcc_lo, 16, v8
	v_and_b32_sdwa v88, v88, v103 dst_sel:DWORD dst_unused:UNUSED_PAD src0_sel:BYTE_3 src1_sel:DWORD
	v_lshlrev_b32_e32 v13, 3, v13
	v_cndmask_b32_e32 v9, 7, v9, vcc_lo
	v_and_b32_e32 v13, 0xf8, v13
	v_and_b32_e32 v89, 7, v9
	v_or_b32_e32 v8, v8, v9
	v_or3_b32 v13, v88, v13, v89
	v_cmp_ne_u32_e32 vcc_lo, 0, v8
	v_lshlrev_b32_e32 v9, 8, v13
	v_cndmask_b32_e32 v13, 0, v9, vcc_lo
.LBB2_2660:                             ;   in Loop: Header=BB2_2373 Depth=3
	s_or_b32 exec_lo, exec_lo, s22
.LBB2_2661:                             ;   in Loop: Header=BB2_2373 Depth=3
	s_or_b32 exec_lo, exec_lo, s18
	v_and_b32_e32 v8, 7, v10
	v_bfe_u32 v89, v10, 3, 4
	v_lshlrev_b32_e32 v90, 24, v10
	v_cmp_gt_i16_sdwa s18, v14, v102 src0_sel:BYTE_0 src1_sel:DWORD
	s_mov_b32 s17, -1
	v_ffbh_u32_e32 v9, v8
	v_cmp_eq_u32_e32 vcc_lo, 0, v89
	v_min_u32_e32 v9, 32, v9
	v_subrev_nc_u32_e32 v88, 28, v9
	v_sub_nc_u32_e32 v9, 29, v9
	v_lshlrev_b32_e32 v88, v88, v10
	v_cndmask_b32_e32 v9, v89, v9, vcc_lo
	v_and_b32_e32 v88, 7, v88
	v_lshl_add_u32 v9, v9, 23, 0x3b800000
	v_cndmask_b32_e32 v8, v8, v88, vcc_lo
	v_and_b32_e32 v88, 0x80000000, v90
	s_and_b32 vcc_lo, exec_lo, s74
	v_lshlrev_b32_e32 v8, 20, v8
	v_or3_b32 v8, v88, v9, v8
                                        ; implicit-def: $vgpr9
	s_cbranch_vccz .LBB2_2675
; %bb.2662:                             ;   in Loop: Header=BB2_2373 Depth=3
	s_mov_b32 s17, 0
	s_and_saveexec_b32 s22, s18
	s_xor_b32 s18, exec_lo, s22
	s_cbranch_execz .LBB2_3016
; %bb.2663:                             ;   in Loop: Header=BB2_2373 Depth=3
	v_cmp_eq_u16_sdwa s23, v14, v103 src0_sel:BYTE_0 src1_sel:DWORD
	s_mov_b32 s17, -1
	s_and_saveexec_b32 s22, s23
; %bb.2664:                             ;   in Loop: Header=BB2_2373 Depth=3
	s_xor_b32 s17, exec_lo, -1
; %bb.2665:                             ;   in Loop: Header=BB2_2373 Depth=3
	s_or_b32 exec_lo, exec_lo, s22
	s_and_b32 s17, s17, exec_lo
	s_or_saveexec_b32 s18, s18
	v_mov_b32_e32 v9, 0x7f800001
	s_xor_b32 exec_lo, exec_lo, s18
	s_cbranch_execnz .LBB2_3017
.LBB2_2666:                             ;   in Loop: Header=BB2_2373 Depth=3
	s_or_b32 exec_lo, exec_lo, s18
	s_and_saveexec_b32 s18, s17
	s_cbranch_execz .LBB2_2668
.LBB2_2667:                             ;   in Loop: Header=BB2_2373 Depth=3
	v_and_b32_e32 v9, 7, v14
	v_bfe_u32 v90, v14, 3, 4
	v_lshlrev_b32_e32 v91, 24, v14
	v_ffbh_u32_e32 v88, v9
	v_cmp_eq_u32_e32 vcc_lo, 0, v90
	v_min_u32_e32 v88, 32, v88
	v_subrev_nc_u32_e32 v89, 28, v88
	v_sub_nc_u32_e32 v88, 29, v88
	v_lshlrev_b32_e32 v89, v89, v14
	v_cndmask_b32_e32 v88, v90, v88, vcc_lo
	v_and_b32_e32 v89, 7, v89
	v_lshl_add_u32 v88, v88, 23, 0x3b800000
	v_cndmask_b32_e32 v9, v9, v89, vcc_lo
	v_and_b32_e32 v89, 0x80000000, v91
	v_lshlrev_b32_e32 v9, 20, v9
	v_or3_b32 v9, v89, v88, v9
.LBB2_2668:                             ;   in Loop: Header=BB2_2373 Depth=3
	s_or_b32 exec_lo, exec_lo, s18
	v_cmp_gt_i16_sdwa s18, v10, v102 src0_sel:BYTE_0 src1_sel:DWORD
	s_mov_b32 s17, 0
	s_and_saveexec_b32 s22, s18
	s_xor_b32 s18, exec_lo, s22
	s_cbranch_execz .LBB2_3018
; %bb.2669:                             ;   in Loop: Header=BB2_2373 Depth=3
	v_cmp_eq_u16_sdwa s23, v10, v103 src0_sel:BYTE_0 src1_sel:DWORD
	s_mov_b32 s17, -1
	s_and_saveexec_b32 s22, s23
; %bb.2670:                             ;   in Loop: Header=BB2_2373 Depth=3
	s_xor_b32 s17, exec_lo, -1
; %bb.2671:                             ;   in Loop: Header=BB2_2373 Depth=3
	s_or_b32 exec_lo, exec_lo, s22
	s_and_b32 s17, s17, exec_lo
	s_or_saveexec_b32 s18, s18
	v_mov_b32_e32 v88, 0x7f800001
	s_xor_b32 exec_lo, exec_lo, s18
	s_cbranch_execnz .LBB2_3019
.LBB2_2672:                             ;   in Loop: Header=BB2_2373 Depth=3
	s_or_b32 exec_lo, exec_lo, s18
	s_and_saveexec_b32 s18, s17
.LBB2_2673:                             ;   in Loop: Header=BB2_2373 Depth=3
	v_mov_b32_e32 v88, v8
.LBB2_2674:                             ;   in Loop: Header=BB2_2373 Depth=3
	s_or_b32 exec_lo, exec_lo, s18
	v_max_f32_e32 v88, v88, v88
	v_max_f32_e32 v9, v9, v9
	s_mov_b32 s17, 0
	v_max_f32_e32 v9, v9, v88
.LBB2_2675:                             ;   in Loop: Header=BB2_2373 Depth=3
	s_and_b32 vcc_lo, exec_lo, s17
	s_cbranch_vccz .LBB2_2689
; %bb.2676:                             ;   in Loop: Header=BB2_2373 Depth=3
	v_cmp_gt_i16_sdwa s18, v14, v102 src0_sel:BYTE_0 src1_sel:DWORD
	s_mov_b32 s17, 0
	s_and_saveexec_b32 s22, s18
	s_xor_b32 s18, exec_lo, s22
	s_cbranch_execz .LBB2_3020
; %bb.2677:                             ;   in Loop: Header=BB2_2373 Depth=3
	v_cmp_eq_u16_sdwa s23, v14, v103 src0_sel:BYTE_0 src1_sel:DWORD
	s_mov_b32 s17, -1
	s_and_saveexec_b32 s22, s23
; %bb.2678:                             ;   in Loop: Header=BB2_2373 Depth=3
	s_xor_b32 s17, exec_lo, -1
; %bb.2679:                             ;   in Loop: Header=BB2_2373 Depth=3
	s_or_b32 exec_lo, exec_lo, s22
	s_and_b32 s17, s17, exec_lo
	s_or_saveexec_b32 s18, s18
	v_mov_b32_e32 v9, 0x7f800001
	s_xor_b32 exec_lo, exec_lo, s18
	s_cbranch_execnz .LBB2_3021
.LBB2_2680:                             ;   in Loop: Header=BB2_2373 Depth=3
	s_or_b32 exec_lo, exec_lo, s18
	s_and_saveexec_b32 s18, s17
	s_cbranch_execz .LBB2_2682
.LBB2_2681:                             ;   in Loop: Header=BB2_2373 Depth=3
	v_and_b32_e32 v9, 7, v14
	v_bfe_u32 v90, v14, 3, 4
	v_lshlrev_b32_e32 v91, 24, v14
	v_ffbh_u32_e32 v88, v9
	v_cmp_eq_u32_e32 vcc_lo, 0, v90
	v_min_u32_e32 v88, 32, v88
	v_subrev_nc_u32_e32 v89, 28, v88
	v_sub_nc_u32_e32 v88, 29, v88
	v_lshlrev_b32_e32 v89, v89, v14
	v_cndmask_b32_e32 v88, v90, v88, vcc_lo
	v_and_b32_e32 v89, 7, v89
	v_lshl_add_u32 v88, v88, 23, 0x3b800000
	v_cndmask_b32_e32 v9, v9, v89, vcc_lo
	v_and_b32_e32 v89, 0x80000000, v91
	v_lshlrev_b32_e32 v9, 20, v9
	v_or3_b32 v9, v89, v88, v9
.LBB2_2682:                             ;   in Loop: Header=BB2_2373 Depth=3
	s_or_b32 exec_lo, exec_lo, s18
	v_cmp_gt_i16_sdwa s18, v10, v102 src0_sel:BYTE_0 src1_sel:DWORD
	s_mov_b32 s17, 0
	s_and_saveexec_b32 s22, s18
	s_xor_b32 s18, exec_lo, s22
	s_cbranch_execz .LBB2_3022
; %bb.2683:                             ;   in Loop: Header=BB2_2373 Depth=3
	v_cmp_eq_u16_sdwa s23, v10, v103 src0_sel:BYTE_0 src1_sel:DWORD
	s_mov_b32 s17, -1
	s_and_saveexec_b32 s22, s23
; %bb.2684:                             ;   in Loop: Header=BB2_2373 Depth=3
	s_xor_b32 s17, exec_lo, -1
; %bb.2685:                             ;   in Loop: Header=BB2_2373 Depth=3
	s_or_b32 exec_lo, exec_lo, s22
	s_and_b32 s17, s17, exec_lo
	s_or_saveexec_b32 s18, s18
	v_mov_b32_e32 v88, 0x7f800001
	s_xor_b32 exec_lo, exec_lo, s18
	s_cbranch_execnz .LBB2_3023
.LBB2_2686:                             ;   in Loop: Header=BB2_2373 Depth=3
	s_or_b32 exec_lo, exec_lo, s18
	s_and_saveexec_b32 s18, s17
.LBB2_2687:                             ;   in Loop: Header=BB2_2373 Depth=3
	v_mov_b32_e32 v88, v8
.LBB2_2688:                             ;   in Loop: Header=BB2_2373 Depth=3
	s_or_b32 exec_lo, exec_lo, s18
	v_max_f32_e32 v8, v88, v88
	v_max_f32_e32 v9, v9, v9
	v_min_f32_e32 v9, v9, v8
.LBB2_2689:                             ;   in Loop: Header=BB2_2373 Depth=3
	v_and_b32_e32 v8, 0x7f800000, v9
	v_mov_b32_e32 v88, 0x80
	s_mov_b32 s18, exec_lo
	v_cmpx_ne_u32_e32 0x7f800000, v8
	s_cbranch_execz .LBB2_2697
; %bb.2690:                             ;   in Loop: Header=BB2_2373 Depth=3
	v_mov_b32_e32 v88, 0
	s_mov_b32 s22, exec_lo
	v_cmpx_ne_u32_e32 0, v9
	s_cbranch_execz .LBB2_2696
; %bb.2691:                             ;   in Loop: Header=BB2_2373 Depth=3
	v_bfe_u32 v8, v9, 23, 8
	v_and_b32_e32 v88, 0x7fffff, v9
	v_sub_nc_u32_e32 v89, 0x78, v8
	v_cmp_gt_u32_e32 vcc_lo, 0x79, v8
	v_or_b32_e32 v90, 0x800000, v88
	v_cndmask_b32_e32 v89, 0, v89, vcc_lo
	v_cmp_eq_u32_e32 vcc_lo, 0, v8
	v_add_nc_u32_e32 v8, 0xffffff89, v8
	v_cndmask_b32_e64 v89, v89, 0x77, vcc_lo
	v_cndmask_b32_e32 v88, v90, v88, vcc_lo
	v_cndmask_b32_e64 v8, v8, 0xffffff8a, vcc_lo
	v_lshl_add_u32 v90, 0x100000, v89, -1
	v_lshrrev_b32_e32 v91, v89, v88
	v_lshlrev_b32_e64 v93, v89, 0x80000
	v_add_nc_u32_e32 v89, v89, v8
	v_and_b32_e32 v88, v90, v88
	v_bfe_u32 v92, v91, 20, 1
	v_cmp_eq_u32_e64 s17, v88, v93
	v_add_nc_u32_e32 v90, -1, v92
	v_cndmask_b32_e64 v88, 0, v90, s17
	v_lshrrev_b32_e32 v90, 23, v91
	s_mov_b32 s17, exec_lo
	v_add_nc_u32_e32 v88, v88, v91
	v_xor_b32_e32 v90, 1, v90
	v_and_b32_e32 v8, 0xfffff, v88
	v_add_nc_u32_e32 v88, v8, v91
                                        ; implicit-def: $vgpr8
	v_cmpx_ne_u32_e64 v89, v90
	s_xor_b32 s17, exec_lo, s17
; %bb.2692:                             ;   in Loop: Header=BB2_2373 Depth=3
	v_cmp_lt_u32_e32 vcc_lo, 0xffffff, v88
	v_sub_nc_u32_e32 v8, v89, v90
	v_cndmask_b32_e64 v89, 0, 1, vcc_lo
	v_add_co_ci_u32_e64 v8, null, 0, v8, vcc_lo
	v_lshrrev_b32_e32 v88, v89, v88
; %bb.2693:                             ;   in Loop: Header=BB2_2373 Depth=3
	s_andn2_saveexec_b32 s17, s17
; %bb.2694:                             ;   in Loop: Header=BB2_2373 Depth=3
	v_bfe_u32 v8, v88, 23, 1
; %bb.2695:                             ;   in Loop: Header=BB2_2373 Depth=3
	s_or_b32 exec_lo, exec_lo, s17
	v_lshrrev_b32_e32 v88, 20, v88
	v_min_i32_e32 v89, 15, v8
	v_cmp_gt_i32_e32 vcc_lo, 16, v8
	v_and_b32_sdwa v9, v9, v103 dst_sel:DWORD dst_unused:UNUSED_PAD src0_sel:BYTE_3 src1_sel:DWORD
	v_lshlrev_b32_e32 v89, 3, v89
	v_cndmask_b32_e32 v88, 7, v88, vcc_lo
	v_and_b32_e32 v89, 0xf8, v89
	v_and_b32_e32 v90, 7, v88
	v_or_b32_e32 v8, v8, v88
	v_or3_b32 v9, v89, v9, v90
	v_cmp_ne_u32_e32 vcc_lo, 0, v8
	v_cndmask_b32_e32 v88, 0, v9, vcc_lo
.LBB2_2696:                             ;   in Loop: Header=BB2_2373 Depth=3
	s_or_b32 exec_lo, exec_lo, s22
.LBB2_2697:                             ;   in Loop: Header=BB2_2373 Depth=3
	s_or_b32 exec_lo, exec_lo, s18
	v_and_b32_sdwa v8, v112, v10 dst_sel:DWORD dst_unused:UNUSED_PAD src0_sel:DWORD src1_sel:BYTE_1
	v_cmp_gt_i16_sdwa s18, v14, v102 src0_sel:BYTE_1 src1_sel:DWORD
	s_mov_b32 s17, -1
	v_and_b32_e32 v9, 7, v8
	v_bfe_u32 v91, v8, 3, 4
	v_ffbh_u32_e32 v89, v9
	v_cmp_eq_u32_e32 vcc_lo, 0, v91
	v_min_u32_e32 v89, 32, v89
	v_subrev_nc_u32_e32 v90, 28, v89
	v_sub_nc_u32_e32 v89, 29, v89
	v_lshlrev_b32_e32 v8, v90, v8
	v_lshlrev_b32_sdwa v90, v113, v10 dst_sel:DWORD dst_unused:UNUSED_PAD src0_sel:DWORD src1_sel:BYTE_1
	v_cndmask_b32_e32 v89, v91, v89, vcc_lo
	v_and_b32_e32 v8, 7, v8
	v_lshl_add_u32 v89, v89, 23, 0x3b800000
	v_cndmask_b32_e32 v8, v9, v8, vcc_lo
	v_and_b32_e32 v9, 0x80000000, v90
	s_and_b32 vcc_lo, exec_lo, s74
	v_lshlrev_b32_e32 v8, 20, v8
	v_or3_b32 v8, v9, v89, v8
                                        ; implicit-def: $vgpr9
	s_cbranch_vccz .LBB2_2711
; %bb.2698:                             ;   in Loop: Header=BB2_2373 Depth=3
	s_mov_b32 s17, 0
	s_and_saveexec_b32 s22, s18
	s_xor_b32 s18, exec_lo, s22
	s_cbranch_execz .LBB2_3024
; %bb.2699:                             ;   in Loop: Header=BB2_2373 Depth=3
	v_cmp_eq_u16_sdwa s23, v14, v103 src0_sel:BYTE_1 src1_sel:DWORD
	s_mov_b32 s17, -1
	s_and_saveexec_b32 s22, s23
; %bb.2700:                             ;   in Loop: Header=BB2_2373 Depth=3
	s_xor_b32 s17, exec_lo, -1
; %bb.2701:                             ;   in Loop: Header=BB2_2373 Depth=3
	s_or_b32 exec_lo, exec_lo, s22
	s_and_b32 s17, s17, exec_lo
	s_or_saveexec_b32 s18, s18
	v_mov_b32_e32 v9, 0x7f800001
	s_xor_b32 exec_lo, exec_lo, s18
	s_cbranch_execnz .LBB2_3025
.LBB2_2702:                             ;   in Loop: Header=BB2_2373 Depth=3
	s_or_b32 exec_lo, exec_lo, s18
	s_and_saveexec_b32 s18, s17
	s_cbranch_execz .LBB2_2704
.LBB2_2703:                             ;   in Loop: Header=BB2_2373 Depth=3
	v_and_b32_sdwa v9, v112, v14 dst_sel:DWORD dst_unused:UNUSED_PAD src0_sel:DWORD src1_sel:BYTE_1
	v_and_b32_e32 v89, 7, v9
	v_bfe_u32 v92, v9, 3, 4
	v_ffbh_u32_e32 v90, v89
	v_cmp_eq_u32_e32 vcc_lo, 0, v92
	v_min_u32_e32 v90, 32, v90
	v_subrev_nc_u32_e32 v91, 28, v90
	v_sub_nc_u32_e32 v90, 29, v90
	v_lshlrev_b32_e32 v9, v91, v9
	v_lshlrev_b32_e32 v91, 16, v14
	v_cndmask_b32_e32 v90, v92, v90, vcc_lo
	v_and_b32_e32 v9, 7, v9
	v_lshl_add_u32 v90, v90, 23, 0x3b800000
	v_cndmask_b32_e32 v9, v89, v9, vcc_lo
	v_and_b32_e32 v89, 0x80000000, v91
	v_lshlrev_b32_e32 v9, 20, v9
	v_or3_b32 v9, v89, v90, v9
.LBB2_2704:                             ;   in Loop: Header=BB2_2373 Depth=3
	s_or_b32 exec_lo, exec_lo, s18
	v_cmp_gt_i16_sdwa s18, v10, v102 src0_sel:BYTE_1 src1_sel:DWORD
	s_mov_b32 s17, 0
	s_and_saveexec_b32 s22, s18
	s_xor_b32 s18, exec_lo, s22
	s_cbranch_execz .LBB2_3026
; %bb.2705:                             ;   in Loop: Header=BB2_2373 Depth=3
	v_cmp_eq_u16_sdwa s23, v10, v103 src0_sel:BYTE_1 src1_sel:DWORD
	s_mov_b32 s17, -1
	s_and_saveexec_b32 s22, s23
; %bb.2706:                             ;   in Loop: Header=BB2_2373 Depth=3
	s_xor_b32 s17, exec_lo, -1
; %bb.2707:                             ;   in Loop: Header=BB2_2373 Depth=3
	s_or_b32 exec_lo, exec_lo, s22
	s_and_b32 s17, s17, exec_lo
	s_or_saveexec_b32 s18, s18
	v_mov_b32_e32 v89, 0x7f800001
	s_xor_b32 exec_lo, exec_lo, s18
	s_cbranch_execnz .LBB2_3027
.LBB2_2708:                             ;   in Loop: Header=BB2_2373 Depth=3
	s_or_b32 exec_lo, exec_lo, s18
	s_and_saveexec_b32 s18, s17
.LBB2_2709:                             ;   in Loop: Header=BB2_2373 Depth=3
	v_mov_b32_e32 v89, v8
.LBB2_2710:                             ;   in Loop: Header=BB2_2373 Depth=3
	s_or_b32 exec_lo, exec_lo, s18
	v_max_f32_e32 v89, v89, v89
	v_max_f32_e32 v9, v9, v9
	s_mov_b32 s17, 0
	v_max_f32_e32 v9, v9, v89
.LBB2_2711:                             ;   in Loop: Header=BB2_2373 Depth=3
	s_and_b32 vcc_lo, exec_lo, s17
	s_cbranch_vccz .LBB2_2725
; %bb.2712:                             ;   in Loop: Header=BB2_2373 Depth=3
	v_cmp_gt_i16_sdwa s18, v14, v102 src0_sel:BYTE_1 src1_sel:DWORD
	s_mov_b32 s17, 0
	s_and_saveexec_b32 s22, s18
	s_xor_b32 s18, exec_lo, s22
	s_cbranch_execz .LBB2_3028
; %bb.2713:                             ;   in Loop: Header=BB2_2373 Depth=3
	v_cmp_eq_u16_sdwa s23, v14, v103 src0_sel:BYTE_1 src1_sel:DWORD
	s_mov_b32 s17, -1
	s_and_saveexec_b32 s22, s23
; %bb.2714:                             ;   in Loop: Header=BB2_2373 Depth=3
	s_xor_b32 s17, exec_lo, -1
; %bb.2715:                             ;   in Loop: Header=BB2_2373 Depth=3
	s_or_b32 exec_lo, exec_lo, s22
	s_and_b32 s17, s17, exec_lo
	s_or_saveexec_b32 s18, s18
	v_mov_b32_e32 v9, 0x7f800001
	s_xor_b32 exec_lo, exec_lo, s18
	s_cbranch_execnz .LBB2_3029
.LBB2_2716:                             ;   in Loop: Header=BB2_2373 Depth=3
	s_or_b32 exec_lo, exec_lo, s18
	s_and_saveexec_b32 s18, s17
	s_cbranch_execz .LBB2_2718
.LBB2_2717:                             ;   in Loop: Header=BB2_2373 Depth=3
	v_and_b32_sdwa v9, v112, v14 dst_sel:DWORD dst_unused:UNUSED_PAD src0_sel:DWORD src1_sel:BYTE_1
	v_and_b32_e32 v89, 7, v9
	v_bfe_u32 v92, v9, 3, 4
	v_ffbh_u32_e32 v90, v89
	v_cmp_eq_u32_e32 vcc_lo, 0, v92
	v_min_u32_e32 v90, 32, v90
	v_subrev_nc_u32_e32 v91, 28, v90
	v_sub_nc_u32_e32 v90, 29, v90
	v_lshlrev_b32_e32 v9, v91, v9
	v_lshlrev_b32_e32 v91, 16, v14
	v_cndmask_b32_e32 v90, v92, v90, vcc_lo
	v_and_b32_e32 v9, 7, v9
	v_lshl_add_u32 v90, v90, 23, 0x3b800000
	v_cndmask_b32_e32 v9, v89, v9, vcc_lo
	v_and_b32_e32 v89, 0x80000000, v91
	v_lshlrev_b32_e32 v9, 20, v9
	v_or3_b32 v9, v89, v90, v9
.LBB2_2718:                             ;   in Loop: Header=BB2_2373 Depth=3
	s_or_b32 exec_lo, exec_lo, s18
	v_cmp_gt_i16_sdwa s18, v10, v102 src0_sel:BYTE_1 src1_sel:DWORD
	s_mov_b32 s17, 0
	s_and_saveexec_b32 s22, s18
	s_xor_b32 s18, exec_lo, s22
	s_cbranch_execz .LBB2_3030
; %bb.2719:                             ;   in Loop: Header=BB2_2373 Depth=3
	v_cmp_eq_u16_sdwa s23, v10, v103 src0_sel:BYTE_1 src1_sel:DWORD
	s_mov_b32 s17, -1
	s_and_saveexec_b32 s22, s23
; %bb.2720:                             ;   in Loop: Header=BB2_2373 Depth=3
	s_xor_b32 s17, exec_lo, -1
; %bb.2721:                             ;   in Loop: Header=BB2_2373 Depth=3
	s_or_b32 exec_lo, exec_lo, s22
	s_and_b32 s17, s17, exec_lo
	s_or_saveexec_b32 s18, s18
	v_mov_b32_e32 v89, 0x7f800001
	s_xor_b32 exec_lo, exec_lo, s18
	s_cbranch_execnz .LBB2_3031
.LBB2_2722:                             ;   in Loop: Header=BB2_2373 Depth=3
	s_or_b32 exec_lo, exec_lo, s18
	s_and_saveexec_b32 s18, s17
.LBB2_2723:                             ;   in Loop: Header=BB2_2373 Depth=3
	v_mov_b32_e32 v89, v8
.LBB2_2724:                             ;   in Loop: Header=BB2_2373 Depth=3
	s_or_b32 exec_lo, exec_lo, s18
	v_max_f32_e32 v8, v89, v89
	v_max_f32_e32 v9, v9, v9
	v_min_f32_e32 v9, v9, v8
.LBB2_2725:                             ;   in Loop: Header=BB2_2373 Depth=3
	v_and_b32_e32 v8, 0x7f800000, v9
	v_mov_b32_e32 v89, 0x8000
	s_mov_b32 s18, exec_lo
	v_cmpx_ne_u32_e32 0x7f800000, v8
	s_cbranch_execz .LBB2_2733
; %bb.2726:                             ;   in Loop: Header=BB2_2373 Depth=3
	v_mov_b32_e32 v89, 0
	s_mov_b32 s22, exec_lo
	v_cmpx_ne_u32_e32 0, v9
	s_cbranch_execz .LBB2_2732
; %bb.2727:                             ;   in Loop: Header=BB2_2373 Depth=3
	v_bfe_u32 v8, v9, 23, 8
	v_and_b32_e32 v89, 0x7fffff, v9
	v_sub_nc_u32_e32 v90, 0x78, v8
	v_cmp_gt_u32_e32 vcc_lo, 0x79, v8
	v_or_b32_e32 v91, 0x800000, v89
	v_cndmask_b32_e32 v90, 0, v90, vcc_lo
	v_cmp_eq_u32_e32 vcc_lo, 0, v8
	v_add_nc_u32_e32 v8, 0xffffff89, v8
	v_cndmask_b32_e64 v90, v90, 0x77, vcc_lo
	v_cndmask_b32_e32 v89, v91, v89, vcc_lo
	v_cndmask_b32_e64 v8, v8, 0xffffff8a, vcc_lo
	v_lshl_add_u32 v91, 0x100000, v90, -1
	v_lshrrev_b32_e32 v92, v90, v89
	v_lshlrev_b32_e64 v94, v90, 0x80000
	v_add_nc_u32_e32 v90, v90, v8
	v_and_b32_e32 v89, v91, v89
	v_bfe_u32 v93, v92, 20, 1
	v_cmp_eq_u32_e64 s17, v89, v94
	v_add_nc_u32_e32 v91, -1, v93
	v_cndmask_b32_e64 v89, 0, v91, s17
	v_lshrrev_b32_e32 v91, 23, v92
	s_mov_b32 s17, exec_lo
	v_add_nc_u32_e32 v89, v89, v92
	v_xor_b32_e32 v91, 1, v91
	v_and_b32_e32 v8, 0xfffff, v89
	v_add_nc_u32_e32 v89, v8, v92
                                        ; implicit-def: $vgpr8
	v_cmpx_ne_u32_e64 v90, v91
	s_xor_b32 s17, exec_lo, s17
; %bb.2728:                             ;   in Loop: Header=BB2_2373 Depth=3
	v_cmp_lt_u32_e32 vcc_lo, 0xffffff, v89
	v_sub_nc_u32_e32 v8, v90, v91
	v_cndmask_b32_e64 v90, 0, 1, vcc_lo
	v_add_co_ci_u32_e64 v8, null, 0, v8, vcc_lo
	v_lshrrev_b32_e32 v89, v90, v89
; %bb.2729:                             ;   in Loop: Header=BB2_2373 Depth=3
	s_andn2_saveexec_b32 s17, s17
; %bb.2730:                             ;   in Loop: Header=BB2_2373 Depth=3
	v_bfe_u32 v8, v89, 23, 1
; %bb.2731:                             ;   in Loop: Header=BB2_2373 Depth=3
	s_or_b32 exec_lo, exec_lo, s17
	v_lshrrev_b32_e32 v89, 20, v89
	v_min_i32_e32 v90, 15, v8
	v_cmp_gt_i32_e32 vcc_lo, 16, v8
	v_and_b32_sdwa v9, v9, v103 dst_sel:DWORD dst_unused:UNUSED_PAD src0_sel:BYTE_3 src1_sel:DWORD
	v_lshlrev_b32_e32 v90, 3, v90
	v_cndmask_b32_e32 v89, 7, v89, vcc_lo
	v_and_b32_e32 v90, 0xf8, v90
	v_and_b32_e32 v91, 7, v89
	v_or_b32_e32 v8, v8, v89
	v_or3_b32 v9, v9, v90, v91
	v_cmp_ne_u32_e32 vcc_lo, 0, v8
	v_lshlrev_b32_e32 v9, 8, v9
	v_cndmask_b32_e32 v89, 0, v9, vcc_lo
.LBB2_2732:                             ;   in Loop: Header=BB2_2373 Depth=3
	s_or_b32 exec_lo, exec_lo, s22
.LBB2_2733:                             ;   in Loop: Header=BB2_2373 Depth=3
	s_or_b32 exec_lo, exec_lo, s18
	v_bfe_u32 v8, v10, 16, 3
	v_bfe_u32 v91, v10, 19, 4
	v_lshlrev_b32_e32 v92, 8, v10
	s_mov_b32 s18, -1
	v_ffbh_u32_e32 v9, v8
	v_cmp_eq_u32_e32 vcc_lo, 0, v91
	v_min_u32_e32 v9, 32, v9
	v_subrev_nc_u32_e32 v90, 28, v9
	v_sub_nc_u32_e32 v9, 29, v9
	v_lshlrev_b32_sdwa v90, v90, v10 dst_sel:DWORD dst_unused:UNUSED_PAD src0_sel:DWORD src1_sel:WORD_1
	v_cndmask_b32_e32 v9, v91, v9, vcc_lo
	v_and_b32_e32 v90, 7, v90
	v_lshl_add_u32 v91, v9, 23, 0x3b800000
	v_and_b32_sdwa v9, v14, v114 dst_sel:DWORD dst_unused:UNUSED_PAD src0_sel:WORD_1 src1_sel:DWORD
	v_cndmask_b32_e32 v8, v8, v90, vcc_lo
	v_and_b32_e32 v90, 0x80000000, v92
	v_cmp_lt_i16_e64 s17, 0x7f, v9
	s_and_b32 vcc_lo, exec_lo, s74
	v_lshlrev_b32_e32 v8, 20, v8
	v_or3_b32 v8, v90, v91, v8
                                        ; implicit-def: $vgpr91
	s_cbranch_vccz .LBB2_2747
; %bb.2734:                             ;   in Loop: Header=BB2_2373 Depth=3
	s_mov_b32 s18, 0
	s_and_saveexec_b32 s22, s17
	s_xor_b32 s17, exec_lo, s22
	s_cbranch_execz .LBB2_3032
; %bb.2735:                             ;   in Loop: Header=BB2_2373 Depth=3
	s_mov_b32 s18, -1
	s_mov_b32 s22, exec_lo
	v_cmpx_eq_u16_e32 0x80, v9
; %bb.2736:                             ;   in Loop: Header=BB2_2373 Depth=3
	s_xor_b32 s18, exec_lo, -1
; %bb.2737:                             ;   in Loop: Header=BB2_2373 Depth=3
	s_or_b32 exec_lo, exec_lo, s22
	s_and_b32 s18, s18, exec_lo
	s_or_saveexec_b32 s17, s17
	v_mov_b32_e32 v90, 0x7f800001
	s_xor_b32 exec_lo, exec_lo, s17
	s_cbranch_execnz .LBB2_3033
.LBB2_2738:                             ;   in Loop: Header=BB2_2373 Depth=3
	s_or_b32 exec_lo, exec_lo, s17
	s_and_saveexec_b32 s17, s18
	s_cbranch_execz .LBB2_2740
.LBB2_2739:                             ;   in Loop: Header=BB2_2373 Depth=3
	v_bfe_u32 v90, v14, 16, 3
	v_bfe_u32 v93, v14, 19, 4
	v_lshlrev_b32_sdwa v94, v113, v14 dst_sel:DWORD dst_unused:UNUSED_PAD src0_sel:DWORD src1_sel:WORD_1
	v_ffbh_u32_e32 v91, v90
	v_cmp_eq_u32_e32 vcc_lo, 0, v93
	v_min_u32_e32 v91, 32, v91
	v_subrev_nc_u32_e32 v92, 28, v91
	v_sub_nc_u32_e32 v91, 29, v91
	v_lshlrev_b32_sdwa v92, v92, v14 dst_sel:DWORD dst_unused:UNUSED_PAD src0_sel:DWORD src1_sel:WORD_1
	v_cndmask_b32_e32 v91, v93, v91, vcc_lo
	v_and_b32_e32 v92, 7, v92
	v_lshl_add_u32 v91, v91, 23, 0x3b800000
	v_cndmask_b32_e32 v90, v90, v92, vcc_lo
	v_and_b32_e32 v92, 0x80000000, v94
	v_lshlrev_b32_e32 v90, 20, v90
	v_or3_b32 v90, v92, v91, v90
.LBB2_2740:                             ;   in Loop: Header=BB2_2373 Depth=3
	s_or_b32 exec_lo, exec_lo, s17
	v_and_b32_sdwa v92, v10, v114 dst_sel:DWORD dst_unused:UNUSED_PAD src0_sel:WORD_1 src1_sel:DWORD
	s_mov_b32 s17, 0
	s_mov_b32 s18, exec_lo
	v_cmpx_lt_i16_e32 0x7f, v92
	s_xor_b32 s18, exec_lo, s18
	s_cbranch_execz .LBB2_3034
; %bb.2741:                             ;   in Loop: Header=BB2_2373 Depth=3
	s_mov_b32 s17, -1
	s_mov_b32 s22, exec_lo
	v_cmpx_eq_u16_e32 0x80, v92
; %bb.2742:                             ;   in Loop: Header=BB2_2373 Depth=3
	s_xor_b32 s17, exec_lo, -1
; %bb.2743:                             ;   in Loop: Header=BB2_2373 Depth=3
	s_or_b32 exec_lo, exec_lo, s22
	s_and_b32 s17, s17, exec_lo
                                        ; implicit-def: $vgpr92
	s_or_saveexec_b32 s18, s18
	v_mov_b32_e32 v91, 0x7f800001
	s_xor_b32 exec_lo, exec_lo, s18
	s_cbranch_execnz .LBB2_3035
.LBB2_2744:                             ;   in Loop: Header=BB2_2373 Depth=3
	s_or_b32 exec_lo, exec_lo, s18
	s_and_saveexec_b32 s18, s17
.LBB2_2745:                             ;   in Loop: Header=BB2_2373 Depth=3
	v_mov_b32_e32 v91, v8
.LBB2_2746:                             ;   in Loop: Header=BB2_2373 Depth=3
	s_or_b32 exec_lo, exec_lo, s18
	v_max_f32_e32 v91, v91, v91
	v_max_f32_e32 v90, v90, v90
	s_mov_b32 s18, 0
	v_max_f32_e32 v91, v90, v91
.LBB2_2747:                             ;   in Loop: Header=BB2_2373 Depth=3
	s_and_b32 vcc_lo, exec_lo, s18
	s_cbranch_vccz .LBB2_2761
; %bb.2748:                             ;   in Loop: Header=BB2_2373 Depth=3
	s_mov_b32 s17, 0
	s_mov_b32 s18, exec_lo
	v_cmpx_lt_i16_e32 0x7f, v9
	s_xor_b32 s18, exec_lo, s18
	s_cbranch_execz .LBB2_3036
; %bb.2749:                             ;   in Loop: Header=BB2_2373 Depth=3
	s_mov_b32 s17, -1
	s_mov_b32 s22, exec_lo
	v_cmpx_eq_u16_e32 0x80, v9
; %bb.2750:                             ;   in Loop: Header=BB2_2373 Depth=3
	s_xor_b32 s17, exec_lo, -1
; %bb.2751:                             ;   in Loop: Header=BB2_2373 Depth=3
	s_or_b32 exec_lo, exec_lo, s22
	s_and_b32 s17, s17, exec_lo
                                        ; implicit-def: $vgpr9
	s_or_saveexec_b32 s18, s18
	v_mov_b32_e32 v90, 0x7f800001
	s_xor_b32 exec_lo, exec_lo, s18
	s_cbranch_execnz .LBB2_3037
.LBB2_2752:                             ;   in Loop: Header=BB2_2373 Depth=3
	s_or_b32 exec_lo, exec_lo, s18
	s_and_saveexec_b32 s18, s17
	s_cbranch_execz .LBB2_2754
.LBB2_2753:                             ;   in Loop: Header=BB2_2373 Depth=3
	v_bfe_u32 v9, v14, 16, 3
	v_bfe_u32 v92, v14, 19, 4
	v_lshlrev_b32_sdwa v93, v113, v14 dst_sel:DWORD dst_unused:UNUSED_PAD src0_sel:DWORD src1_sel:WORD_1
	v_ffbh_u32_e32 v90, v9
	v_cmp_eq_u32_e32 vcc_lo, 0, v92
	v_min_u32_e32 v90, 32, v90
	v_subrev_nc_u32_e32 v91, 28, v90
	v_sub_nc_u32_e32 v90, 29, v90
	v_lshlrev_b32_sdwa v91, v91, v14 dst_sel:DWORD dst_unused:UNUSED_PAD src0_sel:DWORD src1_sel:WORD_1
	v_cndmask_b32_e32 v90, v92, v90, vcc_lo
	v_and_b32_e32 v91, 7, v91
	v_lshl_add_u32 v90, v90, 23, 0x3b800000
	v_cndmask_b32_e32 v9, v9, v91, vcc_lo
	v_and_b32_e32 v91, 0x80000000, v93
	v_lshlrev_b32_e32 v9, 20, v9
	v_or3_b32 v90, v91, v90, v9
.LBB2_2754:                             ;   in Loop: Header=BB2_2373 Depth=3
	s_or_b32 exec_lo, exec_lo, s18
	v_and_b32_sdwa v91, v10, v114 dst_sel:DWORD dst_unused:UNUSED_PAD src0_sel:WORD_1 src1_sel:DWORD
	s_mov_b32 s17, 0
	s_mov_b32 s18, exec_lo
	v_cmpx_lt_i16_e32 0x7f, v91
	s_xor_b32 s18, exec_lo, s18
	s_cbranch_execz .LBB2_3038
; %bb.2755:                             ;   in Loop: Header=BB2_2373 Depth=3
	s_mov_b32 s17, -1
	s_mov_b32 s22, exec_lo
	v_cmpx_eq_u16_e32 0x80, v91
; %bb.2756:                             ;   in Loop: Header=BB2_2373 Depth=3
	s_xor_b32 s17, exec_lo, -1
; %bb.2757:                             ;   in Loop: Header=BB2_2373 Depth=3
	s_or_b32 exec_lo, exec_lo, s22
	s_and_b32 s17, s17, exec_lo
                                        ; implicit-def: $vgpr91
	s_or_saveexec_b32 s18, s18
	v_mov_b32_e32 v9, 0x7f800001
	s_xor_b32 exec_lo, exec_lo, s18
	s_cbranch_execnz .LBB2_3039
.LBB2_2758:                             ;   in Loop: Header=BB2_2373 Depth=3
	s_or_b32 exec_lo, exec_lo, s18
	s_and_saveexec_b32 s18, s17
.LBB2_2759:                             ;   in Loop: Header=BB2_2373 Depth=3
	v_mov_b32_e32 v9, v8
.LBB2_2760:                             ;   in Loop: Header=BB2_2373 Depth=3
	s_or_b32 exec_lo, exec_lo, s18
	v_max_f32_e32 v8, v9, v9
	v_max_f32_e32 v9, v90, v90
	v_min_f32_e32 v91, v9, v8
.LBB2_2761:                             ;   in Loop: Header=BB2_2373 Depth=3
	v_and_b32_e32 v8, 0x7f800000, v91
	v_mov_b32_e32 v90, 0x80
	s_mov_b32 s18, exec_lo
	v_cmpx_ne_u32_e32 0x7f800000, v8
	s_cbranch_execz .LBB2_2769
; %bb.2762:                             ;   in Loop: Header=BB2_2373 Depth=3
	v_mov_b32_e32 v90, 0
	s_mov_b32 s22, exec_lo
	v_cmpx_ne_u32_e32 0, v91
	s_cbranch_execz .LBB2_2768
; %bb.2763:                             ;   in Loop: Header=BB2_2373 Depth=3
	v_bfe_u32 v8, v91, 23, 8
	v_and_b32_e32 v9, 0x7fffff, v91
	v_sub_nc_u32_e32 v90, 0x78, v8
	v_cmp_gt_u32_e32 vcc_lo, 0x79, v8
	v_or_b32_e32 v92, 0x800000, v9
	v_cndmask_b32_e32 v90, 0, v90, vcc_lo
	v_cmp_eq_u32_e32 vcc_lo, 0, v8
	v_add_nc_u32_e32 v8, 0xffffff89, v8
	v_cndmask_b32_e64 v90, v90, 0x77, vcc_lo
	v_cndmask_b32_e32 v9, v92, v9, vcc_lo
	v_cndmask_b32_e64 v8, v8, 0xffffff8a, vcc_lo
	v_lshl_add_u32 v92, 0x100000, v90, -1
	v_lshrrev_b32_e32 v93, v90, v9
	v_lshlrev_b32_e64 v95, v90, 0x80000
	v_add_nc_u32_e32 v90, v90, v8
	v_and_b32_e32 v9, v92, v9
	v_bfe_u32 v94, v93, 20, 1
	v_cmp_eq_u32_e64 s17, v9, v95
	v_add_nc_u32_e32 v92, -1, v94
	v_cndmask_b32_e64 v9, 0, v92, s17
	v_lshrrev_b32_e32 v92, 23, v93
	s_mov_b32 s17, exec_lo
	v_add_nc_u32_e32 v9, v9, v93
	v_xor_b32_e32 v92, 1, v92
	v_and_b32_e32 v8, 0xfffff, v9
	v_add_nc_u32_e32 v9, v8, v93
                                        ; implicit-def: $vgpr8
	v_cmpx_ne_u32_e64 v90, v92
	s_xor_b32 s17, exec_lo, s17
; %bb.2764:                             ;   in Loop: Header=BB2_2373 Depth=3
	v_cmp_lt_u32_e32 vcc_lo, 0xffffff, v9
	v_sub_nc_u32_e32 v8, v90, v92
	v_cndmask_b32_e64 v90, 0, 1, vcc_lo
	v_add_co_ci_u32_e64 v8, null, 0, v8, vcc_lo
	v_lshrrev_b32_e32 v9, v90, v9
; %bb.2765:                             ;   in Loop: Header=BB2_2373 Depth=3
	s_andn2_saveexec_b32 s17, s17
; %bb.2766:                             ;   in Loop: Header=BB2_2373 Depth=3
	v_bfe_u32 v8, v9, 23, 1
; %bb.2767:                             ;   in Loop: Header=BB2_2373 Depth=3
	s_or_b32 exec_lo, exec_lo, s17
	v_lshrrev_b32_e32 v9, 20, v9
	v_min_i32_e32 v90, 15, v8
	v_cmp_gt_i32_e32 vcc_lo, 16, v8
	v_and_b32_sdwa v91, v91, v103 dst_sel:DWORD dst_unused:UNUSED_PAD src0_sel:BYTE_3 src1_sel:DWORD
	v_lshlrev_b32_e32 v90, 3, v90
	v_cndmask_b32_e32 v9, 7, v9, vcc_lo
	v_and_b32_e32 v90, 0xf8, v90
	v_and_b32_e32 v92, 7, v9
	v_or_b32_e32 v8, v8, v9
	v_or3_b32 v9, v90, v91, v92
	v_cmp_ne_u32_e32 vcc_lo, 0, v8
	v_cndmask_b32_e32 v90, 0, v9, vcc_lo
.LBB2_2768:                             ;   in Loop: Header=BB2_2373 Depth=3
	s_or_b32 exec_lo, exec_lo, s22
.LBB2_2769:                             ;   in Loop: Header=BB2_2373 Depth=3
	s_or_b32 exec_lo, exec_lo, s18
	v_bfe_u32 v8, v10, 24, 3
	v_bfe_u32 v92, v10, 27, 4
	v_cmp_gt_i16_sdwa s18, v14, v102 src0_sel:BYTE_3 src1_sel:DWORD
	s_mov_b32 s17, -1
	v_ffbh_u32_e32 v9, v8
	v_cmp_eq_u32_e32 vcc_lo, 0, v92
	v_min_u32_e32 v9, 32, v9
	v_subrev_nc_u32_e32 v91, 28, v9
	v_sub_nc_u32_e32 v9, 29, v9
	v_lshlrev_b32_sdwa v91, v91, v10 dst_sel:DWORD dst_unused:UNUSED_PAD src0_sel:DWORD src1_sel:BYTE_3
	v_cndmask_b32_e32 v9, v92, v9, vcc_lo
	v_and_b32_e32 v91, 7, v91
	v_lshl_add_u32 v9, v9, 23, 0x3b800000
	v_cndmask_b32_e32 v8, v8, v91, vcc_lo
	v_and_b32_e32 v91, 0x80000000, v10
	s_and_b32 vcc_lo, exec_lo, s74
	v_lshlrev_b32_e32 v8, 20, v8
	v_or3_b32 v8, v91, v9, v8
                                        ; implicit-def: $vgpr9
	s_cbranch_vccz .LBB2_2783
; %bb.2770:                             ;   in Loop: Header=BB2_2373 Depth=3
	s_mov_b32 s17, 0
	s_and_saveexec_b32 s22, s18
	s_xor_b32 s18, exec_lo, s22
	s_cbranch_execz .LBB2_3040
; %bb.2771:                             ;   in Loop: Header=BB2_2373 Depth=3
	v_cmp_eq_u16_sdwa s23, v14, v103 src0_sel:BYTE_3 src1_sel:DWORD
	s_mov_b32 s17, -1
	s_and_saveexec_b32 s22, s23
; %bb.2772:                             ;   in Loop: Header=BB2_2373 Depth=3
	s_xor_b32 s17, exec_lo, -1
; %bb.2773:                             ;   in Loop: Header=BB2_2373 Depth=3
	s_or_b32 exec_lo, exec_lo, s22
	s_and_b32 s17, s17, exec_lo
	s_or_saveexec_b32 s18, s18
	v_mov_b32_e32 v9, 0x7f800001
	s_xor_b32 exec_lo, exec_lo, s18
	s_cbranch_execnz .LBB2_3041
.LBB2_2774:                             ;   in Loop: Header=BB2_2373 Depth=3
	s_or_b32 exec_lo, exec_lo, s18
	s_and_saveexec_b32 s18, s17
	s_cbranch_execz .LBB2_2776
.LBB2_2775:                             ;   in Loop: Header=BB2_2373 Depth=3
	v_bfe_u32 v9, v14, 24, 3
	v_bfe_u32 v93, v14, 27, 4
	v_ffbh_u32_e32 v91, v9
	v_cmp_eq_u32_e32 vcc_lo, 0, v93
	v_min_u32_e32 v91, 32, v91
	v_subrev_nc_u32_e32 v92, 28, v91
	v_sub_nc_u32_e32 v91, 29, v91
	v_lshlrev_b32_sdwa v92, v92, v14 dst_sel:DWORD dst_unused:UNUSED_PAD src0_sel:DWORD src1_sel:BYTE_3
	v_cndmask_b32_e32 v91, v93, v91, vcc_lo
	v_and_b32_e32 v92, 7, v92
	v_lshl_add_u32 v91, v91, 23, 0x3b800000
	v_cndmask_b32_e32 v9, v9, v92, vcc_lo
	v_and_b32_e32 v92, 0x80000000, v14
	v_lshlrev_b32_e32 v9, 20, v9
	v_or3_b32 v9, v92, v91, v9
.LBB2_2776:                             ;   in Loop: Header=BB2_2373 Depth=3
	s_or_b32 exec_lo, exec_lo, s18
	v_cmp_gt_i16_sdwa s18, v10, v102 src0_sel:BYTE_3 src1_sel:DWORD
	s_mov_b32 s17, 0
	s_and_saveexec_b32 s22, s18
	s_xor_b32 s18, exec_lo, s22
	s_cbranch_execz .LBB2_3042
; %bb.2777:                             ;   in Loop: Header=BB2_2373 Depth=3
	v_cmp_eq_u16_sdwa s23, v10, v103 src0_sel:BYTE_3 src1_sel:DWORD
	s_mov_b32 s17, -1
	s_and_saveexec_b32 s22, s23
; %bb.2778:                             ;   in Loop: Header=BB2_2373 Depth=3
	s_xor_b32 s17, exec_lo, -1
; %bb.2779:                             ;   in Loop: Header=BB2_2373 Depth=3
	s_or_b32 exec_lo, exec_lo, s22
	s_and_b32 s17, s17, exec_lo
	s_or_saveexec_b32 s18, s18
	v_mov_b32_e32 v91, 0x7f800001
	s_xor_b32 exec_lo, exec_lo, s18
	s_cbranch_execnz .LBB2_3043
.LBB2_2780:                             ;   in Loop: Header=BB2_2373 Depth=3
	s_or_b32 exec_lo, exec_lo, s18
	s_and_saveexec_b32 s18, s17
.LBB2_2781:                             ;   in Loop: Header=BB2_2373 Depth=3
	v_mov_b32_e32 v91, v8
.LBB2_2782:                             ;   in Loop: Header=BB2_2373 Depth=3
	s_or_b32 exec_lo, exec_lo, s18
	v_max_f32_e32 v91, v91, v91
	v_max_f32_e32 v9, v9, v9
	s_mov_b32 s17, 0
	v_max_f32_e32 v9, v9, v91
.LBB2_2783:                             ;   in Loop: Header=BB2_2373 Depth=3
	s_and_b32 vcc_lo, exec_lo, s17
	s_cbranch_vccz .LBB2_2797
; %bb.2784:                             ;   in Loop: Header=BB2_2373 Depth=3
	v_cmp_gt_i16_sdwa s18, v14, v102 src0_sel:BYTE_3 src1_sel:DWORD
	s_mov_b32 s17, 0
	s_and_saveexec_b32 s22, s18
	s_xor_b32 s18, exec_lo, s22
	s_cbranch_execz .LBB2_3044
; %bb.2785:                             ;   in Loop: Header=BB2_2373 Depth=3
	v_cmp_eq_u16_sdwa s23, v14, v103 src0_sel:BYTE_3 src1_sel:DWORD
	s_mov_b32 s17, -1
	s_and_saveexec_b32 s22, s23
; %bb.2786:                             ;   in Loop: Header=BB2_2373 Depth=3
	s_xor_b32 s17, exec_lo, -1
; %bb.2787:                             ;   in Loop: Header=BB2_2373 Depth=3
	s_or_b32 exec_lo, exec_lo, s22
	s_and_b32 s17, s17, exec_lo
	s_or_saveexec_b32 s18, s18
	v_mov_b32_e32 v9, 0x7f800001
	s_xor_b32 exec_lo, exec_lo, s18
	s_cbranch_execnz .LBB2_3045
.LBB2_2788:                             ;   in Loop: Header=BB2_2373 Depth=3
	s_or_b32 exec_lo, exec_lo, s18
	s_and_saveexec_b32 s18, s17
	s_cbranch_execz .LBB2_2790
.LBB2_2789:                             ;   in Loop: Header=BB2_2373 Depth=3
	v_bfe_u32 v9, v14, 24, 3
	v_bfe_u32 v93, v14, 27, 4
	v_ffbh_u32_e32 v91, v9
	v_cmp_eq_u32_e32 vcc_lo, 0, v93
	v_min_u32_e32 v91, 32, v91
	v_subrev_nc_u32_e32 v92, 28, v91
	v_sub_nc_u32_e32 v91, 29, v91
	v_lshlrev_b32_sdwa v92, v92, v14 dst_sel:DWORD dst_unused:UNUSED_PAD src0_sel:DWORD src1_sel:BYTE_3
	v_cndmask_b32_e32 v91, v93, v91, vcc_lo
	v_and_b32_e32 v14, 0x80000000, v14
	v_and_b32_e32 v92, 7, v92
	v_lshl_add_u32 v91, v91, 23, 0x3b800000
	v_cndmask_b32_e32 v9, v9, v92, vcc_lo
	v_lshlrev_b32_e32 v9, 20, v9
	v_or3_b32 v9, v14, v91, v9
.LBB2_2790:                             ;   in Loop: Header=BB2_2373 Depth=3
	s_or_b32 exec_lo, exec_lo, s18
	v_cmp_gt_i16_sdwa s18, v10, v102 src0_sel:BYTE_3 src1_sel:DWORD
	s_mov_b32 s17, 0
	s_and_saveexec_b32 s22, s18
	s_xor_b32 s18, exec_lo, s22
	s_cbranch_execz .LBB2_3046
; %bb.2791:                             ;   in Loop: Header=BB2_2373 Depth=3
	v_cmp_eq_u16_sdwa s23, v10, v103 src0_sel:BYTE_3 src1_sel:DWORD
	s_mov_b32 s17, -1
	s_and_saveexec_b32 s22, s23
; %bb.2792:                             ;   in Loop: Header=BB2_2373 Depth=3
	s_xor_b32 s17, exec_lo, -1
; %bb.2793:                             ;   in Loop: Header=BB2_2373 Depth=3
	s_or_b32 exec_lo, exec_lo, s22
	s_and_b32 s17, s17, exec_lo
	s_or_saveexec_b32 s18, s18
	v_mov_b32_e32 v14, 0x7f800001
	s_xor_b32 exec_lo, exec_lo, s18
	s_cbranch_execnz .LBB2_3047
.LBB2_2794:                             ;   in Loop: Header=BB2_2373 Depth=3
	s_or_b32 exec_lo, exec_lo, s18
	s_and_saveexec_b32 s18, s17
.LBB2_2795:                             ;   in Loop: Header=BB2_2373 Depth=3
	v_mov_b32_e32 v14, v8
.LBB2_2796:                             ;   in Loop: Header=BB2_2373 Depth=3
	s_or_b32 exec_lo, exec_lo, s18
	v_max_f32_e32 v8, v14, v14
	v_max_f32_e32 v9, v9, v9
	v_min_f32_e32 v9, v9, v8
.LBB2_2797:                             ;   in Loop: Header=BB2_2373 Depth=3
	v_and_b32_e32 v8, 0x7f800000, v9
	v_mov_b32_e32 v14, 0x8000
	s_mov_b32 s18, exec_lo
	v_cmpx_ne_u32_e32 0x7f800000, v8
	s_cbranch_execz .LBB2_2805
; %bb.2798:                             ;   in Loop: Header=BB2_2373 Depth=3
	v_mov_b32_e32 v14, 0
	s_mov_b32 s22, exec_lo
	v_cmpx_ne_u32_e32 0, v9
	s_cbranch_execz .LBB2_2804
; %bb.2799:                             ;   in Loop: Header=BB2_2373 Depth=3
	v_bfe_u32 v8, v9, 23, 8
	v_and_b32_e32 v10, 0x7fffff, v9
	v_sub_nc_u32_e32 v14, 0x78, v8
	v_cmp_gt_u32_e32 vcc_lo, 0x79, v8
	v_or_b32_e32 v91, 0x800000, v10
	v_cndmask_b32_e32 v14, 0, v14, vcc_lo
	v_cmp_eq_u32_e32 vcc_lo, 0, v8
	v_add_nc_u32_e32 v8, 0xffffff89, v8
	v_cndmask_b32_e64 v14, v14, 0x77, vcc_lo
	v_cndmask_b32_e32 v10, v91, v10, vcc_lo
	v_cndmask_b32_e64 v8, v8, 0xffffff8a, vcc_lo
	v_lshl_add_u32 v91, 0x100000, v14, -1
	v_lshrrev_b32_e32 v92, v14, v10
	v_lshlrev_b32_e64 v94, v14, 0x80000
	v_add_nc_u32_e32 v14, v14, v8
	v_and_b32_e32 v10, v91, v10
	v_bfe_u32 v93, v92, 20, 1
	v_cmp_eq_u32_e64 s17, v10, v94
	v_add_nc_u32_e32 v91, -1, v93
	v_cndmask_b32_e64 v10, 0, v91, s17
	v_lshrrev_b32_e32 v91, 23, v92
	s_mov_b32 s17, exec_lo
	v_add_nc_u32_e32 v10, v10, v92
	v_xor_b32_e32 v91, 1, v91
	v_and_b32_e32 v8, 0xfffff, v10
	v_add_nc_u32_e32 v10, v8, v92
                                        ; implicit-def: $vgpr8
	v_cmpx_ne_u32_e64 v14, v91
	s_xor_b32 s17, exec_lo, s17
; %bb.2800:                             ;   in Loop: Header=BB2_2373 Depth=3
	v_cmp_lt_u32_e32 vcc_lo, 0xffffff, v10
	v_sub_nc_u32_e32 v8, v14, v91
	v_cndmask_b32_e64 v14, 0, 1, vcc_lo
	v_add_co_ci_u32_e64 v8, null, 0, v8, vcc_lo
	v_lshrrev_b32_e32 v10, v14, v10
; %bb.2801:                             ;   in Loop: Header=BB2_2373 Depth=3
	s_andn2_saveexec_b32 s17, s17
; %bb.2802:                             ;   in Loop: Header=BB2_2373 Depth=3
	v_bfe_u32 v8, v10, 23, 1
; %bb.2803:                             ;   in Loop: Header=BB2_2373 Depth=3
	s_or_b32 exec_lo, exec_lo, s17
	v_lshrrev_b32_e32 v10, 20, v10
	v_min_i32_e32 v14, 15, v8
	v_cmp_gt_i32_e32 vcc_lo, 16, v8
	v_and_b32_sdwa v9, v9, v103 dst_sel:DWORD dst_unused:UNUSED_PAD src0_sel:BYTE_3 src1_sel:DWORD
	v_lshlrev_b32_e32 v14, 3, v14
	v_cndmask_b32_e32 v10, 7, v10, vcc_lo
	v_and_b32_e32 v14, 0xf8, v14
	v_and_b32_e32 v91, 7, v10
	v_or_b32_e32 v8, v8, v10
	v_or3_b32 v9, v9, v14, v91
	v_cmp_ne_u32_e32 vcc_lo, 0, v8
	v_lshlrev_b32_e32 v9, 8, v9
	v_cndmask_b32_e32 v14, 0, v9, vcc_lo
.LBB2_2804:                             ;   in Loop: Header=BB2_2373 Depth=3
	s_or_b32 exec_lo, exec_lo, s22
.LBB2_2805:                             ;   in Loop: Header=BB2_2373 Depth=3
	s_or_b32 exec_lo, exec_lo, s18
	v_and_b32_e32 v8, 7, v11
	v_bfe_u32 v91, v11, 3, 4
	v_lshlrev_b32_e32 v92, 24, v11
	v_cmp_gt_i16_sdwa s18, v15, v102 src0_sel:BYTE_0 src1_sel:DWORD
	s_mov_b32 s17, -1
	v_ffbh_u32_e32 v9, v8
	v_cmp_eq_u32_e32 vcc_lo, 0, v91
	v_min_u32_e32 v9, 32, v9
	v_subrev_nc_u32_e32 v10, 28, v9
	v_sub_nc_u32_e32 v9, 29, v9
	v_lshlrev_b32_e32 v10, v10, v11
	v_cndmask_b32_e32 v9, v91, v9, vcc_lo
	v_and_b32_e32 v10, 7, v10
	v_lshl_add_u32 v9, v9, 23, 0x3b800000
	v_cndmask_b32_e32 v8, v8, v10, vcc_lo
	v_and_b32_e32 v10, 0x80000000, v92
	s_and_b32 vcc_lo, exec_lo, s74
	v_lshlrev_b32_e32 v8, 20, v8
	v_or3_b32 v8, v10, v9, v8
                                        ; implicit-def: $vgpr9
	s_cbranch_vccz .LBB2_2819
; %bb.2806:                             ;   in Loop: Header=BB2_2373 Depth=3
	s_mov_b32 s17, 0
	s_and_saveexec_b32 s22, s18
	s_xor_b32 s18, exec_lo, s22
	s_cbranch_execz .LBB2_3048
; %bb.2807:                             ;   in Loop: Header=BB2_2373 Depth=3
	v_cmp_eq_u16_sdwa s23, v15, v103 src0_sel:BYTE_0 src1_sel:DWORD
	s_mov_b32 s17, -1
	s_and_saveexec_b32 s22, s23
; %bb.2808:                             ;   in Loop: Header=BB2_2373 Depth=3
	s_xor_b32 s17, exec_lo, -1
; %bb.2809:                             ;   in Loop: Header=BB2_2373 Depth=3
	s_or_b32 exec_lo, exec_lo, s22
	s_and_b32 s17, s17, exec_lo
	s_or_saveexec_b32 s18, s18
	v_mov_b32_e32 v9, 0x7f800001
	s_xor_b32 exec_lo, exec_lo, s18
	s_cbranch_execnz .LBB2_3049
.LBB2_2810:                             ;   in Loop: Header=BB2_2373 Depth=3
	s_or_b32 exec_lo, exec_lo, s18
	s_and_saveexec_b32 s18, s17
	s_cbranch_execz .LBB2_2812
.LBB2_2811:                             ;   in Loop: Header=BB2_2373 Depth=3
	v_and_b32_e32 v9, 7, v15
	v_bfe_u32 v92, v15, 3, 4
	v_lshlrev_b32_e32 v93, 24, v15
	v_ffbh_u32_e32 v10, v9
	v_cmp_eq_u32_e32 vcc_lo, 0, v92
	v_min_u32_e32 v10, 32, v10
	v_subrev_nc_u32_e32 v91, 28, v10
	v_sub_nc_u32_e32 v10, 29, v10
	v_lshlrev_b32_e32 v91, v91, v15
	v_cndmask_b32_e32 v10, v92, v10, vcc_lo
	v_and_b32_e32 v91, 7, v91
	v_lshl_add_u32 v10, v10, 23, 0x3b800000
	v_cndmask_b32_e32 v9, v9, v91, vcc_lo
	v_and_b32_e32 v91, 0x80000000, v93
	v_lshlrev_b32_e32 v9, 20, v9
	v_or3_b32 v9, v91, v10, v9
.LBB2_2812:                             ;   in Loop: Header=BB2_2373 Depth=3
	s_or_b32 exec_lo, exec_lo, s18
	v_cmp_gt_i16_sdwa s18, v11, v102 src0_sel:BYTE_0 src1_sel:DWORD
	s_mov_b32 s17, 0
	s_and_saveexec_b32 s22, s18
	s_xor_b32 s18, exec_lo, s22
	s_cbranch_execz .LBB2_3050
; %bb.2813:                             ;   in Loop: Header=BB2_2373 Depth=3
	v_cmp_eq_u16_sdwa s23, v11, v103 src0_sel:BYTE_0 src1_sel:DWORD
	s_mov_b32 s17, -1
	s_and_saveexec_b32 s22, s23
; %bb.2814:                             ;   in Loop: Header=BB2_2373 Depth=3
	s_xor_b32 s17, exec_lo, -1
; %bb.2815:                             ;   in Loop: Header=BB2_2373 Depth=3
	s_or_b32 exec_lo, exec_lo, s22
	s_and_b32 s17, s17, exec_lo
	s_or_saveexec_b32 s18, s18
	v_mov_b32_e32 v10, 0x7f800001
	s_xor_b32 exec_lo, exec_lo, s18
	s_cbranch_execnz .LBB2_3051
.LBB2_2816:                             ;   in Loop: Header=BB2_2373 Depth=3
	s_or_b32 exec_lo, exec_lo, s18
	s_and_saveexec_b32 s18, s17
.LBB2_2817:                             ;   in Loop: Header=BB2_2373 Depth=3
	v_mov_b32_e32 v10, v8
.LBB2_2818:                             ;   in Loop: Header=BB2_2373 Depth=3
	s_or_b32 exec_lo, exec_lo, s18
	v_max_f32_e32 v10, v10, v10
	v_max_f32_e32 v9, v9, v9
	s_mov_b32 s17, 0
	v_max_f32_e32 v9, v9, v10
.LBB2_2819:                             ;   in Loop: Header=BB2_2373 Depth=3
	s_and_b32 vcc_lo, exec_lo, s17
	s_cbranch_vccz .LBB2_2833
; %bb.2820:                             ;   in Loop: Header=BB2_2373 Depth=3
	v_cmp_gt_i16_sdwa s18, v15, v102 src0_sel:BYTE_0 src1_sel:DWORD
	s_mov_b32 s17, 0
	s_and_saveexec_b32 s22, s18
	s_xor_b32 s18, exec_lo, s22
	s_cbranch_execz .LBB2_3052
; %bb.2821:                             ;   in Loop: Header=BB2_2373 Depth=3
	v_cmp_eq_u16_sdwa s23, v15, v103 src0_sel:BYTE_0 src1_sel:DWORD
	s_mov_b32 s17, -1
	s_and_saveexec_b32 s22, s23
; %bb.2822:                             ;   in Loop: Header=BB2_2373 Depth=3
	s_xor_b32 s17, exec_lo, -1
; %bb.2823:                             ;   in Loop: Header=BB2_2373 Depth=3
	s_or_b32 exec_lo, exec_lo, s22
	s_and_b32 s17, s17, exec_lo
	s_or_saveexec_b32 s18, s18
	v_mov_b32_e32 v9, 0x7f800001
	s_xor_b32 exec_lo, exec_lo, s18
	s_cbranch_execnz .LBB2_3053
.LBB2_2824:                             ;   in Loop: Header=BB2_2373 Depth=3
	s_or_b32 exec_lo, exec_lo, s18
	s_and_saveexec_b32 s18, s17
	s_cbranch_execz .LBB2_2826
.LBB2_2825:                             ;   in Loop: Header=BB2_2373 Depth=3
	v_and_b32_e32 v9, 7, v15
	v_bfe_u32 v92, v15, 3, 4
	v_lshlrev_b32_e32 v93, 24, v15
	v_ffbh_u32_e32 v10, v9
	v_cmp_eq_u32_e32 vcc_lo, 0, v92
	v_min_u32_e32 v10, 32, v10
	v_subrev_nc_u32_e32 v91, 28, v10
	v_sub_nc_u32_e32 v10, 29, v10
	v_lshlrev_b32_e32 v91, v91, v15
	v_cndmask_b32_e32 v10, v92, v10, vcc_lo
	v_and_b32_e32 v91, 7, v91
	v_lshl_add_u32 v10, v10, 23, 0x3b800000
	v_cndmask_b32_e32 v9, v9, v91, vcc_lo
	v_and_b32_e32 v91, 0x80000000, v93
	v_lshlrev_b32_e32 v9, 20, v9
	v_or3_b32 v9, v91, v10, v9
.LBB2_2826:                             ;   in Loop: Header=BB2_2373 Depth=3
	s_or_b32 exec_lo, exec_lo, s18
	v_cmp_gt_i16_sdwa s18, v11, v102 src0_sel:BYTE_0 src1_sel:DWORD
	s_mov_b32 s17, 0
	s_and_saveexec_b32 s22, s18
	s_xor_b32 s18, exec_lo, s22
	s_cbranch_execz .LBB2_3054
; %bb.2827:                             ;   in Loop: Header=BB2_2373 Depth=3
	v_cmp_eq_u16_sdwa s23, v11, v103 src0_sel:BYTE_0 src1_sel:DWORD
	s_mov_b32 s17, -1
	s_and_saveexec_b32 s22, s23
; %bb.2828:                             ;   in Loop: Header=BB2_2373 Depth=3
	s_xor_b32 s17, exec_lo, -1
; %bb.2829:                             ;   in Loop: Header=BB2_2373 Depth=3
	s_or_b32 exec_lo, exec_lo, s22
	s_and_b32 s17, s17, exec_lo
	s_or_saveexec_b32 s18, s18
	v_mov_b32_e32 v10, 0x7f800001
	s_xor_b32 exec_lo, exec_lo, s18
	s_cbranch_execnz .LBB2_3055
.LBB2_2830:                             ;   in Loop: Header=BB2_2373 Depth=3
	s_or_b32 exec_lo, exec_lo, s18
	s_and_saveexec_b32 s18, s17
.LBB2_2831:                             ;   in Loop: Header=BB2_2373 Depth=3
	v_mov_b32_e32 v10, v8
.LBB2_2832:                             ;   in Loop: Header=BB2_2373 Depth=3
	s_or_b32 exec_lo, exec_lo, s18
	v_max_f32_e32 v8, v10, v10
	v_max_f32_e32 v9, v9, v9
	v_min_f32_e32 v9, v9, v8
.LBB2_2833:                             ;   in Loop: Header=BB2_2373 Depth=3
	v_and_b32_e32 v8, 0x7f800000, v9
	v_mov_b32_e32 v91, 0x80
	s_mov_b32 s18, exec_lo
	v_cmpx_ne_u32_e32 0x7f800000, v8
	s_cbranch_execz .LBB2_2841
; %bb.2834:                             ;   in Loop: Header=BB2_2373 Depth=3
	v_mov_b32_e32 v91, 0
	s_mov_b32 s22, exec_lo
	v_cmpx_ne_u32_e32 0, v9
	s_cbranch_execz .LBB2_2840
; %bb.2835:                             ;   in Loop: Header=BB2_2373 Depth=3
	v_bfe_u32 v8, v9, 23, 8
	v_and_b32_e32 v10, 0x7fffff, v9
	v_sub_nc_u32_e32 v91, 0x78, v8
	v_cmp_gt_u32_e32 vcc_lo, 0x79, v8
	v_or_b32_e32 v92, 0x800000, v10
	v_cndmask_b32_e32 v91, 0, v91, vcc_lo
	v_cmp_eq_u32_e32 vcc_lo, 0, v8
	v_add_nc_u32_e32 v8, 0xffffff89, v8
	v_cndmask_b32_e64 v91, v91, 0x77, vcc_lo
	v_cndmask_b32_e32 v10, v92, v10, vcc_lo
	v_cndmask_b32_e64 v8, v8, 0xffffff8a, vcc_lo
	v_lshl_add_u32 v92, 0x100000, v91, -1
	v_lshrrev_b32_e32 v93, v91, v10
	v_lshlrev_b32_e64 v95, v91, 0x80000
	v_add_nc_u32_e32 v91, v91, v8
	v_and_b32_e32 v10, v92, v10
	v_bfe_u32 v94, v93, 20, 1
	v_cmp_eq_u32_e64 s17, v10, v95
	v_add_nc_u32_e32 v92, -1, v94
	v_cndmask_b32_e64 v10, 0, v92, s17
	v_lshrrev_b32_e32 v92, 23, v93
	s_mov_b32 s17, exec_lo
	v_add_nc_u32_e32 v10, v10, v93
	v_xor_b32_e32 v92, 1, v92
	v_and_b32_e32 v8, 0xfffff, v10
	v_add_nc_u32_e32 v10, v8, v93
                                        ; implicit-def: $vgpr8
	v_cmpx_ne_u32_e64 v91, v92
	s_xor_b32 s17, exec_lo, s17
; %bb.2836:                             ;   in Loop: Header=BB2_2373 Depth=3
	v_cmp_lt_u32_e32 vcc_lo, 0xffffff, v10
	v_sub_nc_u32_e32 v8, v91, v92
	v_cndmask_b32_e64 v91, 0, 1, vcc_lo
	v_add_co_ci_u32_e64 v8, null, 0, v8, vcc_lo
	v_lshrrev_b32_e32 v10, v91, v10
; %bb.2837:                             ;   in Loop: Header=BB2_2373 Depth=3
	s_andn2_saveexec_b32 s17, s17
; %bb.2838:                             ;   in Loop: Header=BB2_2373 Depth=3
	v_bfe_u32 v8, v10, 23, 1
; %bb.2839:                             ;   in Loop: Header=BB2_2373 Depth=3
	s_or_b32 exec_lo, exec_lo, s17
	v_lshrrev_b32_e32 v10, 20, v10
	v_min_i32_e32 v91, 15, v8
	v_cmp_gt_i32_e32 vcc_lo, 16, v8
	v_and_b32_sdwa v9, v9, v103 dst_sel:DWORD dst_unused:UNUSED_PAD src0_sel:BYTE_3 src1_sel:DWORD
	v_lshlrev_b32_e32 v91, 3, v91
	v_cndmask_b32_e32 v10, 7, v10, vcc_lo
	v_and_b32_e32 v91, 0xf8, v91
	v_and_b32_e32 v92, 7, v10
	v_or_b32_e32 v8, v8, v10
	v_or3_b32 v9, v91, v9, v92
	v_cmp_ne_u32_e32 vcc_lo, 0, v8
	v_cndmask_b32_e32 v91, 0, v9, vcc_lo
.LBB2_2840:                             ;   in Loop: Header=BB2_2373 Depth=3
	s_or_b32 exec_lo, exec_lo, s22
.LBB2_2841:                             ;   in Loop: Header=BB2_2373 Depth=3
	s_or_b32 exec_lo, exec_lo, s18
	v_and_b32_sdwa v8, v112, v11 dst_sel:DWORD dst_unused:UNUSED_PAD src0_sel:DWORD src1_sel:BYTE_1
	v_cmp_gt_i16_sdwa s18, v15, v102 src0_sel:BYTE_1 src1_sel:DWORD
	s_mov_b32 s17, -1
	v_and_b32_e32 v9, 7, v8
	v_bfe_u32 v93, v8, 3, 4
	v_ffbh_u32_e32 v10, v9
	v_cmp_eq_u32_e32 vcc_lo, 0, v93
	v_min_u32_e32 v10, 32, v10
	v_subrev_nc_u32_e32 v92, 28, v10
	v_sub_nc_u32_e32 v10, 29, v10
	v_lshlrev_b32_e32 v8, v92, v8
	v_lshlrev_b32_sdwa v92, v113, v11 dst_sel:DWORD dst_unused:UNUSED_PAD src0_sel:DWORD src1_sel:BYTE_1
	v_cndmask_b32_e32 v10, v93, v10, vcc_lo
	v_and_b32_e32 v8, 7, v8
	v_lshl_add_u32 v10, v10, 23, 0x3b800000
	v_cndmask_b32_e32 v8, v9, v8, vcc_lo
	v_and_b32_e32 v9, 0x80000000, v92
	s_and_b32 vcc_lo, exec_lo, s74
	v_lshlrev_b32_e32 v8, 20, v8
	v_or3_b32 v8, v9, v10, v8
                                        ; implicit-def: $vgpr9
	s_cbranch_vccz .LBB2_2855
; %bb.2842:                             ;   in Loop: Header=BB2_2373 Depth=3
	s_mov_b32 s17, 0
	s_and_saveexec_b32 s22, s18
	s_xor_b32 s18, exec_lo, s22
	s_cbranch_execz .LBB2_3056
; %bb.2843:                             ;   in Loop: Header=BB2_2373 Depth=3
	v_cmp_eq_u16_sdwa s23, v15, v103 src0_sel:BYTE_1 src1_sel:DWORD
	s_mov_b32 s17, -1
	s_and_saveexec_b32 s22, s23
; %bb.2844:                             ;   in Loop: Header=BB2_2373 Depth=3
	s_xor_b32 s17, exec_lo, -1
; %bb.2845:                             ;   in Loop: Header=BB2_2373 Depth=3
	s_or_b32 exec_lo, exec_lo, s22
	s_and_b32 s17, s17, exec_lo
	s_or_saveexec_b32 s18, s18
	v_mov_b32_e32 v9, 0x7f800001
	s_xor_b32 exec_lo, exec_lo, s18
	s_cbranch_execnz .LBB2_3057
.LBB2_2846:                             ;   in Loop: Header=BB2_2373 Depth=3
	s_or_b32 exec_lo, exec_lo, s18
	s_and_saveexec_b32 s18, s17
	s_cbranch_execz .LBB2_2848
.LBB2_2847:                             ;   in Loop: Header=BB2_2373 Depth=3
	v_and_b32_sdwa v9, v112, v15 dst_sel:DWORD dst_unused:UNUSED_PAD src0_sel:DWORD src1_sel:BYTE_1
	v_and_b32_e32 v10, 7, v9
	v_bfe_u32 v94, v9, 3, 4
	v_ffbh_u32_e32 v92, v10
	v_cmp_eq_u32_e32 vcc_lo, 0, v94
	v_min_u32_e32 v92, 32, v92
	v_subrev_nc_u32_e32 v93, 28, v92
	v_sub_nc_u32_e32 v92, 29, v92
	v_lshlrev_b32_e32 v9, v93, v9
	v_lshlrev_b32_e32 v93, 16, v15
	v_cndmask_b32_e32 v92, v94, v92, vcc_lo
	v_and_b32_e32 v9, 7, v9
	v_lshl_add_u32 v92, v92, 23, 0x3b800000
	v_cndmask_b32_e32 v9, v10, v9, vcc_lo
	v_and_b32_e32 v10, 0x80000000, v93
	v_lshlrev_b32_e32 v9, 20, v9
	v_or3_b32 v9, v10, v92, v9
.LBB2_2848:                             ;   in Loop: Header=BB2_2373 Depth=3
	s_or_b32 exec_lo, exec_lo, s18
	v_cmp_gt_i16_sdwa s18, v11, v102 src0_sel:BYTE_1 src1_sel:DWORD
	s_mov_b32 s17, 0
	s_and_saveexec_b32 s22, s18
	s_xor_b32 s18, exec_lo, s22
	s_cbranch_execz .LBB2_3058
; %bb.2849:                             ;   in Loop: Header=BB2_2373 Depth=3
	v_cmp_eq_u16_sdwa s23, v11, v103 src0_sel:BYTE_1 src1_sel:DWORD
	s_mov_b32 s17, -1
	s_and_saveexec_b32 s22, s23
; %bb.2850:                             ;   in Loop: Header=BB2_2373 Depth=3
	s_xor_b32 s17, exec_lo, -1
; %bb.2851:                             ;   in Loop: Header=BB2_2373 Depth=3
	s_or_b32 exec_lo, exec_lo, s22
	s_and_b32 s17, s17, exec_lo
	s_or_saveexec_b32 s18, s18
	v_mov_b32_e32 v10, 0x7f800001
	s_xor_b32 exec_lo, exec_lo, s18
	s_cbranch_execnz .LBB2_3059
.LBB2_2852:                             ;   in Loop: Header=BB2_2373 Depth=3
	s_or_b32 exec_lo, exec_lo, s18
	s_and_saveexec_b32 s18, s17
.LBB2_2853:                             ;   in Loop: Header=BB2_2373 Depth=3
	v_mov_b32_e32 v10, v8
.LBB2_2854:                             ;   in Loop: Header=BB2_2373 Depth=3
	s_or_b32 exec_lo, exec_lo, s18
	v_max_f32_e32 v10, v10, v10
	v_max_f32_e32 v9, v9, v9
	s_mov_b32 s17, 0
	v_max_f32_e32 v9, v9, v10
.LBB2_2855:                             ;   in Loop: Header=BB2_2373 Depth=3
	s_and_b32 vcc_lo, exec_lo, s17
	s_cbranch_vccz .LBB2_2869
; %bb.2856:                             ;   in Loop: Header=BB2_2373 Depth=3
	v_cmp_gt_i16_sdwa s18, v15, v102 src0_sel:BYTE_1 src1_sel:DWORD
	s_mov_b32 s17, 0
	s_and_saveexec_b32 s22, s18
	s_xor_b32 s18, exec_lo, s22
	s_cbranch_execz .LBB2_3060
; %bb.2857:                             ;   in Loop: Header=BB2_2373 Depth=3
	v_cmp_eq_u16_sdwa s23, v15, v103 src0_sel:BYTE_1 src1_sel:DWORD
	s_mov_b32 s17, -1
	s_and_saveexec_b32 s22, s23
; %bb.2858:                             ;   in Loop: Header=BB2_2373 Depth=3
	s_xor_b32 s17, exec_lo, -1
; %bb.2859:                             ;   in Loop: Header=BB2_2373 Depth=3
	s_or_b32 exec_lo, exec_lo, s22
	s_and_b32 s17, s17, exec_lo
	s_or_saveexec_b32 s18, s18
	v_mov_b32_e32 v9, 0x7f800001
	s_xor_b32 exec_lo, exec_lo, s18
	s_cbranch_execnz .LBB2_3061
.LBB2_2860:                             ;   in Loop: Header=BB2_2373 Depth=3
	s_or_b32 exec_lo, exec_lo, s18
	s_and_saveexec_b32 s18, s17
	s_cbranch_execz .LBB2_2862
.LBB2_2861:                             ;   in Loop: Header=BB2_2373 Depth=3
	v_and_b32_sdwa v9, v112, v15 dst_sel:DWORD dst_unused:UNUSED_PAD src0_sel:DWORD src1_sel:BYTE_1
	v_and_b32_e32 v10, 7, v9
	v_bfe_u32 v94, v9, 3, 4
	v_ffbh_u32_e32 v92, v10
	v_cmp_eq_u32_e32 vcc_lo, 0, v94
	v_min_u32_e32 v92, 32, v92
	v_subrev_nc_u32_e32 v93, 28, v92
	v_sub_nc_u32_e32 v92, 29, v92
	v_lshlrev_b32_e32 v9, v93, v9
	v_lshlrev_b32_e32 v93, 16, v15
	v_cndmask_b32_e32 v92, v94, v92, vcc_lo
	v_and_b32_e32 v9, 7, v9
	v_lshl_add_u32 v92, v92, 23, 0x3b800000
	v_cndmask_b32_e32 v9, v10, v9, vcc_lo
	v_and_b32_e32 v10, 0x80000000, v93
	v_lshlrev_b32_e32 v9, 20, v9
	v_or3_b32 v9, v10, v92, v9
.LBB2_2862:                             ;   in Loop: Header=BB2_2373 Depth=3
	s_or_b32 exec_lo, exec_lo, s18
	v_cmp_gt_i16_sdwa s18, v11, v102 src0_sel:BYTE_1 src1_sel:DWORD
	s_mov_b32 s17, 0
	s_and_saveexec_b32 s22, s18
	s_xor_b32 s18, exec_lo, s22
	s_cbranch_execz .LBB2_3062
; %bb.2863:                             ;   in Loop: Header=BB2_2373 Depth=3
	v_cmp_eq_u16_sdwa s23, v11, v103 src0_sel:BYTE_1 src1_sel:DWORD
	s_mov_b32 s17, -1
	s_and_saveexec_b32 s22, s23
; %bb.2864:                             ;   in Loop: Header=BB2_2373 Depth=3
	s_xor_b32 s17, exec_lo, -1
; %bb.2865:                             ;   in Loop: Header=BB2_2373 Depth=3
	s_or_b32 exec_lo, exec_lo, s22
	s_and_b32 s17, s17, exec_lo
	s_or_saveexec_b32 s18, s18
	v_mov_b32_e32 v10, 0x7f800001
	s_xor_b32 exec_lo, exec_lo, s18
	s_cbranch_execnz .LBB2_3063
.LBB2_2866:                             ;   in Loop: Header=BB2_2373 Depth=3
	s_or_b32 exec_lo, exec_lo, s18
	s_and_saveexec_b32 s18, s17
.LBB2_2867:                             ;   in Loop: Header=BB2_2373 Depth=3
	v_mov_b32_e32 v10, v8
.LBB2_2868:                             ;   in Loop: Header=BB2_2373 Depth=3
	s_or_b32 exec_lo, exec_lo, s18
	v_max_f32_e32 v8, v10, v10
	v_max_f32_e32 v9, v9, v9
	v_min_f32_e32 v9, v9, v8
.LBB2_2869:                             ;   in Loop: Header=BB2_2373 Depth=3
	v_and_b32_e32 v8, 0x7f800000, v9
	v_mov_b32_e32 v92, 0x8000
	s_mov_b32 s18, exec_lo
	v_cmpx_ne_u32_e32 0x7f800000, v8
	s_cbranch_execz .LBB2_2877
; %bb.2870:                             ;   in Loop: Header=BB2_2373 Depth=3
	v_mov_b32_e32 v92, 0
	s_mov_b32 s22, exec_lo
	v_cmpx_ne_u32_e32 0, v9
	s_cbranch_execz .LBB2_2876
; %bb.2871:                             ;   in Loop: Header=BB2_2373 Depth=3
	v_bfe_u32 v8, v9, 23, 8
	v_and_b32_e32 v10, 0x7fffff, v9
	v_sub_nc_u32_e32 v92, 0x78, v8
	v_cmp_gt_u32_e32 vcc_lo, 0x79, v8
	v_or_b32_e32 v93, 0x800000, v10
	v_cndmask_b32_e32 v92, 0, v92, vcc_lo
	v_cmp_eq_u32_e32 vcc_lo, 0, v8
	v_add_nc_u32_e32 v8, 0xffffff89, v8
	v_cndmask_b32_e64 v92, v92, 0x77, vcc_lo
	v_cndmask_b32_e32 v10, v93, v10, vcc_lo
	v_cndmask_b32_e64 v8, v8, 0xffffff8a, vcc_lo
	v_lshl_add_u32 v93, 0x100000, v92, -1
	v_lshrrev_b32_e32 v94, v92, v10
	v_lshlrev_b32_e64 v104, v92, 0x80000
	v_add_nc_u32_e32 v92, v92, v8
	v_and_b32_e32 v10, v93, v10
	v_bfe_u32 v95, v94, 20, 1
	v_cmp_eq_u32_e64 s17, v10, v104
	v_add_nc_u32_e32 v93, -1, v95
	v_cndmask_b32_e64 v10, 0, v93, s17
	v_lshrrev_b32_e32 v93, 23, v94
	s_mov_b32 s17, exec_lo
	v_add_nc_u32_e32 v10, v10, v94
	v_xor_b32_e32 v93, 1, v93
	v_and_b32_e32 v8, 0xfffff, v10
	v_add_nc_u32_e32 v10, v8, v94
                                        ; implicit-def: $vgpr8
	v_cmpx_ne_u32_e64 v92, v93
	s_xor_b32 s17, exec_lo, s17
; %bb.2872:                             ;   in Loop: Header=BB2_2373 Depth=3
	v_cmp_lt_u32_e32 vcc_lo, 0xffffff, v10
	v_sub_nc_u32_e32 v8, v92, v93
	v_cndmask_b32_e64 v92, 0, 1, vcc_lo
	v_add_co_ci_u32_e64 v8, null, 0, v8, vcc_lo
	v_lshrrev_b32_e32 v10, v92, v10
; %bb.2873:                             ;   in Loop: Header=BB2_2373 Depth=3
	s_andn2_saveexec_b32 s17, s17
; %bb.2874:                             ;   in Loop: Header=BB2_2373 Depth=3
	v_bfe_u32 v8, v10, 23, 1
; %bb.2875:                             ;   in Loop: Header=BB2_2373 Depth=3
	s_or_b32 exec_lo, exec_lo, s17
	v_lshrrev_b32_e32 v10, 20, v10
	v_min_i32_e32 v92, 15, v8
	v_cmp_gt_i32_e32 vcc_lo, 16, v8
	v_and_b32_sdwa v9, v9, v103 dst_sel:DWORD dst_unused:UNUSED_PAD src0_sel:BYTE_3 src1_sel:DWORD
	v_lshlrev_b32_e32 v92, 3, v92
	v_cndmask_b32_e32 v10, 7, v10, vcc_lo
	v_and_b32_e32 v92, 0xf8, v92
	v_and_b32_e32 v93, 7, v10
	v_or_b32_e32 v8, v8, v10
	v_or3_b32 v9, v9, v92, v93
	v_cmp_ne_u32_e32 vcc_lo, 0, v8
	v_lshlrev_b32_e32 v9, 8, v9
	v_cndmask_b32_e32 v92, 0, v9, vcc_lo
.LBB2_2876:                             ;   in Loop: Header=BB2_2373 Depth=3
	s_or_b32 exec_lo, exec_lo, s22
.LBB2_2877:                             ;   in Loop: Header=BB2_2373 Depth=3
	s_or_b32 exec_lo, exec_lo, s18
	v_bfe_u32 v8, v11, 16, 3
	v_bfe_u32 v93, v11, 19, 4
	v_lshlrev_b32_e32 v94, 8, v11
	s_mov_b32 s18, -1
	v_ffbh_u32_e32 v9, v8
	v_cmp_eq_u32_e32 vcc_lo, 0, v93
	v_min_u32_e32 v9, 32, v9
	v_subrev_nc_u32_e32 v10, 28, v9
	v_sub_nc_u32_e32 v9, 29, v9
	v_lshlrev_b32_sdwa v10, v10, v11 dst_sel:DWORD dst_unused:UNUSED_PAD src0_sel:DWORD src1_sel:WORD_1
	v_cndmask_b32_e32 v9, v93, v9, vcc_lo
	v_and_b32_e32 v10, 7, v10
	v_lshl_add_u32 v93, v9, 23, 0x3b800000
	v_and_b32_sdwa v9, v15, v114 dst_sel:DWORD dst_unused:UNUSED_PAD src0_sel:WORD_1 src1_sel:DWORD
	v_cndmask_b32_e32 v8, v8, v10, vcc_lo
	v_and_b32_e32 v10, 0x80000000, v94
	v_cmp_lt_i16_e64 s17, 0x7f, v9
	s_and_b32 vcc_lo, exec_lo, s74
	v_lshlrev_b32_e32 v8, 20, v8
	v_or3_b32 v8, v10, v93, v8
                                        ; implicit-def: $vgpr10
	s_cbranch_vccz .LBB2_2891
; %bb.2878:                             ;   in Loop: Header=BB2_2373 Depth=3
	s_mov_b32 s18, 0
	s_and_saveexec_b32 s22, s17
	s_xor_b32 s17, exec_lo, s22
	s_cbranch_execz .LBB2_3064
; %bb.2879:                             ;   in Loop: Header=BB2_2373 Depth=3
	s_mov_b32 s18, -1
	s_mov_b32 s22, exec_lo
	v_cmpx_eq_u16_e32 0x80, v9
; %bb.2880:                             ;   in Loop: Header=BB2_2373 Depth=3
	s_xor_b32 s18, exec_lo, -1
; %bb.2881:                             ;   in Loop: Header=BB2_2373 Depth=3
	s_or_b32 exec_lo, exec_lo, s22
	s_and_b32 s18, s18, exec_lo
	s_or_saveexec_b32 s17, s17
	v_mov_b32_e32 v10, 0x7f800001
	s_xor_b32 exec_lo, exec_lo, s17
	s_cbranch_execnz .LBB2_3065
.LBB2_2882:                             ;   in Loop: Header=BB2_2373 Depth=3
	s_or_b32 exec_lo, exec_lo, s17
	s_and_saveexec_b32 s17, s18
	s_cbranch_execz .LBB2_2884
.LBB2_2883:                             ;   in Loop: Header=BB2_2373 Depth=3
	v_bfe_u32 v10, v15, 16, 3
	v_bfe_u32 v95, v15, 19, 4
	v_lshlrev_b32_sdwa v104, v113, v15 dst_sel:DWORD dst_unused:UNUSED_PAD src0_sel:DWORD src1_sel:WORD_1
	v_ffbh_u32_e32 v93, v10
	v_cmp_eq_u32_e32 vcc_lo, 0, v95
	v_min_u32_e32 v93, 32, v93
	v_subrev_nc_u32_e32 v94, 28, v93
	v_sub_nc_u32_e32 v93, 29, v93
	v_lshlrev_b32_sdwa v94, v94, v15 dst_sel:DWORD dst_unused:UNUSED_PAD src0_sel:DWORD src1_sel:WORD_1
	v_cndmask_b32_e32 v93, v95, v93, vcc_lo
	v_and_b32_e32 v94, 7, v94
	v_lshl_add_u32 v93, v93, 23, 0x3b800000
	v_cndmask_b32_e32 v10, v10, v94, vcc_lo
	v_and_b32_e32 v94, 0x80000000, v104
	v_lshlrev_b32_e32 v10, 20, v10
	v_or3_b32 v10, v94, v93, v10
.LBB2_2884:                             ;   in Loop: Header=BB2_2373 Depth=3
	s_or_b32 exec_lo, exec_lo, s17
	v_and_b32_sdwa v94, v11, v114 dst_sel:DWORD dst_unused:UNUSED_PAD src0_sel:WORD_1 src1_sel:DWORD
	s_mov_b32 s17, 0
	s_mov_b32 s18, exec_lo
	v_cmpx_lt_i16_e32 0x7f, v94
	s_xor_b32 s18, exec_lo, s18
	s_cbranch_execz .LBB2_3066
; %bb.2885:                             ;   in Loop: Header=BB2_2373 Depth=3
	s_mov_b32 s17, -1
	s_mov_b32 s22, exec_lo
	v_cmpx_eq_u16_e32 0x80, v94
; %bb.2886:                             ;   in Loop: Header=BB2_2373 Depth=3
	s_xor_b32 s17, exec_lo, -1
; %bb.2887:                             ;   in Loop: Header=BB2_2373 Depth=3
	s_or_b32 exec_lo, exec_lo, s22
	s_and_b32 s17, s17, exec_lo
                                        ; implicit-def: $vgpr94
	s_or_saveexec_b32 s18, s18
	v_mov_b32_e32 v93, 0x7f800001
	s_xor_b32 exec_lo, exec_lo, s18
	s_cbranch_execnz .LBB2_3067
.LBB2_2888:                             ;   in Loop: Header=BB2_2373 Depth=3
	s_or_b32 exec_lo, exec_lo, s18
	s_and_saveexec_b32 s18, s17
.LBB2_2889:                             ;   in Loop: Header=BB2_2373 Depth=3
	v_mov_b32_e32 v93, v8
.LBB2_2890:                             ;   in Loop: Header=BB2_2373 Depth=3
	s_or_b32 exec_lo, exec_lo, s18
	v_max_f32_e32 v93, v93, v93
	v_max_f32_e32 v10, v10, v10
	s_mov_b32 s18, 0
	v_max_f32_e32 v10, v10, v93
.LBB2_2891:                             ;   in Loop: Header=BB2_2373 Depth=3
	s_and_b32 vcc_lo, exec_lo, s18
	s_cbranch_vccz .LBB2_2905
; %bb.2892:                             ;   in Loop: Header=BB2_2373 Depth=3
	s_mov_b32 s17, 0
	s_mov_b32 s18, exec_lo
	v_cmpx_lt_i16_e32 0x7f, v9
	s_xor_b32 s18, exec_lo, s18
	s_cbranch_execz .LBB2_3068
; %bb.2893:                             ;   in Loop: Header=BB2_2373 Depth=3
	s_mov_b32 s17, -1
	s_mov_b32 s22, exec_lo
	v_cmpx_eq_u16_e32 0x80, v9
; %bb.2894:                             ;   in Loop: Header=BB2_2373 Depth=3
	s_xor_b32 s17, exec_lo, -1
; %bb.2895:                             ;   in Loop: Header=BB2_2373 Depth=3
	s_or_b32 exec_lo, exec_lo, s22
	s_and_b32 s17, s17, exec_lo
                                        ; implicit-def: $vgpr9
	s_or_saveexec_b32 s18, s18
	v_mov_b32_e32 v10, 0x7f800001
	s_xor_b32 exec_lo, exec_lo, s18
	s_cbranch_execnz .LBB2_3069
.LBB2_2896:                             ;   in Loop: Header=BB2_2373 Depth=3
	s_or_b32 exec_lo, exec_lo, s18
	s_and_saveexec_b32 s18, s17
	s_cbranch_execz .LBB2_2898
.LBB2_2897:                             ;   in Loop: Header=BB2_2373 Depth=3
	v_bfe_u32 v9, v15, 16, 3
	v_bfe_u32 v94, v15, 19, 4
	v_lshlrev_b32_sdwa v95, v113, v15 dst_sel:DWORD dst_unused:UNUSED_PAD src0_sel:DWORD src1_sel:WORD_1
	v_ffbh_u32_e32 v10, v9
	v_cmp_eq_u32_e32 vcc_lo, 0, v94
	v_min_u32_e32 v10, 32, v10
	v_subrev_nc_u32_e32 v93, 28, v10
	v_sub_nc_u32_e32 v10, 29, v10
	v_lshlrev_b32_sdwa v93, v93, v15 dst_sel:DWORD dst_unused:UNUSED_PAD src0_sel:DWORD src1_sel:WORD_1
	v_cndmask_b32_e32 v10, v94, v10, vcc_lo
	v_and_b32_e32 v93, 7, v93
	v_lshl_add_u32 v10, v10, 23, 0x3b800000
	v_cndmask_b32_e32 v9, v9, v93, vcc_lo
	v_and_b32_e32 v93, 0x80000000, v95
	v_lshlrev_b32_e32 v9, 20, v9
	v_or3_b32 v10, v93, v10, v9
.LBB2_2898:                             ;   in Loop: Header=BB2_2373 Depth=3
	s_or_b32 exec_lo, exec_lo, s18
	v_and_b32_sdwa v93, v11, v114 dst_sel:DWORD dst_unused:UNUSED_PAD src0_sel:WORD_1 src1_sel:DWORD
	s_mov_b32 s17, 0
	s_mov_b32 s18, exec_lo
	v_cmpx_lt_i16_e32 0x7f, v93
	s_xor_b32 s18, exec_lo, s18
	s_cbranch_execz .LBB2_3070
; %bb.2899:                             ;   in Loop: Header=BB2_2373 Depth=3
	s_mov_b32 s17, -1
	s_mov_b32 s22, exec_lo
	v_cmpx_eq_u16_e32 0x80, v93
; %bb.2900:                             ;   in Loop: Header=BB2_2373 Depth=3
	s_xor_b32 s17, exec_lo, -1
; %bb.2901:                             ;   in Loop: Header=BB2_2373 Depth=3
	s_or_b32 exec_lo, exec_lo, s22
	s_and_b32 s17, s17, exec_lo
                                        ; implicit-def: $vgpr93
	s_or_saveexec_b32 s18, s18
	v_mov_b32_e32 v9, 0x7f800001
	s_xor_b32 exec_lo, exec_lo, s18
	s_cbranch_execnz .LBB2_3071
.LBB2_2902:                             ;   in Loop: Header=BB2_2373 Depth=3
	s_or_b32 exec_lo, exec_lo, s18
	s_and_saveexec_b32 s18, s17
.LBB2_2903:                             ;   in Loop: Header=BB2_2373 Depth=3
	v_mov_b32_e32 v9, v8
.LBB2_2904:                             ;   in Loop: Header=BB2_2373 Depth=3
	s_or_b32 exec_lo, exec_lo, s18
	v_max_f32_e32 v8, v9, v9
	v_max_f32_e32 v9, v10, v10
	v_min_f32_e32 v10, v9, v8
.LBB2_2905:                             ;   in Loop: Header=BB2_2373 Depth=3
	v_and_b32_e32 v8, 0x7f800000, v10
	v_mov_b32_e32 v93, 0x80
	s_mov_b32 s18, exec_lo
	v_cmpx_ne_u32_e32 0x7f800000, v8
	s_cbranch_execz .LBB2_2913
; %bb.2906:                             ;   in Loop: Header=BB2_2373 Depth=3
	v_mov_b32_e32 v93, 0
	s_mov_b32 s22, exec_lo
	v_cmpx_ne_u32_e32 0, v10
	s_cbranch_execz .LBB2_2912
; %bb.2907:                             ;   in Loop: Header=BB2_2373 Depth=3
	v_bfe_u32 v8, v10, 23, 8
	v_and_b32_e32 v9, 0x7fffff, v10
	v_sub_nc_u32_e32 v93, 0x78, v8
	v_cmp_gt_u32_e32 vcc_lo, 0x79, v8
	v_or_b32_e32 v94, 0x800000, v9
	v_cndmask_b32_e32 v93, 0, v93, vcc_lo
	v_cmp_eq_u32_e32 vcc_lo, 0, v8
	v_add_nc_u32_e32 v8, 0xffffff89, v8
	v_cndmask_b32_e64 v93, v93, 0x77, vcc_lo
	v_cndmask_b32_e32 v9, v94, v9, vcc_lo
	v_cndmask_b32_e64 v8, v8, 0xffffff8a, vcc_lo
	v_lshl_add_u32 v94, 0x100000, v93, -1
	v_lshrrev_b32_e32 v95, v93, v9
	v_lshlrev_b32_e64 v105, v93, 0x80000
	v_add_nc_u32_e32 v93, v93, v8
	v_and_b32_e32 v9, v94, v9
	v_bfe_u32 v104, v95, 20, 1
	v_cmp_eq_u32_e64 s17, v9, v105
	v_add_nc_u32_e32 v94, -1, v104
	v_cndmask_b32_e64 v9, 0, v94, s17
	v_lshrrev_b32_e32 v94, 23, v95
	s_mov_b32 s17, exec_lo
	v_add_nc_u32_e32 v9, v9, v95
	v_xor_b32_e32 v94, 1, v94
	v_and_b32_e32 v8, 0xfffff, v9
	v_add_nc_u32_e32 v9, v8, v95
                                        ; implicit-def: $vgpr8
	v_cmpx_ne_u32_e64 v93, v94
	s_xor_b32 s17, exec_lo, s17
; %bb.2908:                             ;   in Loop: Header=BB2_2373 Depth=3
	v_cmp_lt_u32_e32 vcc_lo, 0xffffff, v9
	v_sub_nc_u32_e32 v8, v93, v94
	v_cndmask_b32_e64 v93, 0, 1, vcc_lo
	v_add_co_ci_u32_e64 v8, null, 0, v8, vcc_lo
	v_lshrrev_b32_e32 v9, v93, v9
; %bb.2909:                             ;   in Loop: Header=BB2_2373 Depth=3
	s_andn2_saveexec_b32 s17, s17
; %bb.2910:                             ;   in Loop: Header=BB2_2373 Depth=3
	v_bfe_u32 v8, v9, 23, 1
; %bb.2911:                             ;   in Loop: Header=BB2_2373 Depth=3
	s_or_b32 exec_lo, exec_lo, s17
	v_lshrrev_b32_e32 v9, 20, v9
	v_min_i32_e32 v93, 15, v8
	v_cmp_gt_i32_e32 vcc_lo, 16, v8
	v_and_b32_sdwa v10, v10, v103 dst_sel:DWORD dst_unused:UNUSED_PAD src0_sel:BYTE_3 src1_sel:DWORD
	v_lshlrev_b32_e32 v93, 3, v93
	v_cndmask_b32_e32 v9, 7, v9, vcc_lo
	v_and_b32_e32 v93, 0xf8, v93
	v_and_b32_e32 v94, 7, v9
	v_or_b32_e32 v8, v8, v9
	v_or3_b32 v9, v93, v10, v94
	v_cmp_ne_u32_e32 vcc_lo, 0, v8
	v_cndmask_b32_e32 v93, 0, v9, vcc_lo
.LBB2_2912:                             ;   in Loop: Header=BB2_2373 Depth=3
	s_or_b32 exec_lo, exec_lo, s22
.LBB2_2913:                             ;   in Loop: Header=BB2_2373 Depth=3
	s_or_b32 exec_lo, exec_lo, s18
	v_bfe_u32 v8, v11, 24, 3
	v_bfe_u32 v94, v11, 27, 4
	v_cmp_gt_i16_sdwa s18, v15, v102 src0_sel:BYTE_3 src1_sel:DWORD
	s_mov_b32 s17, -1
	v_ffbh_u32_e32 v9, v8
	v_cmp_eq_u32_e32 vcc_lo, 0, v94
	v_min_u32_e32 v9, 32, v9
	v_subrev_nc_u32_e32 v10, 28, v9
	v_sub_nc_u32_e32 v9, 29, v9
	v_lshlrev_b32_sdwa v10, v10, v11 dst_sel:DWORD dst_unused:UNUSED_PAD src0_sel:DWORD src1_sel:BYTE_3
	v_cndmask_b32_e32 v9, v94, v9, vcc_lo
	v_and_b32_e32 v10, 7, v10
	v_lshl_add_u32 v9, v9, 23, 0x3b800000
	v_cndmask_b32_e32 v8, v8, v10, vcc_lo
	v_and_b32_e32 v10, 0x80000000, v11
	s_and_b32 vcc_lo, exec_lo, s74
	v_lshlrev_b32_e32 v8, 20, v8
	v_or3_b32 v94, v10, v9, v8
                                        ; implicit-def: $vgpr8
	s_cbranch_vccz .LBB2_2927
; %bb.2914:                             ;   in Loop: Header=BB2_2373 Depth=3
	s_mov_b32 s17, 0
	s_and_saveexec_b32 s22, s18
	s_xor_b32 s18, exec_lo, s22
	s_cbranch_execz .LBB2_3072
; %bb.2915:                             ;   in Loop: Header=BB2_2373 Depth=3
	v_cmp_eq_u16_sdwa s23, v15, v103 src0_sel:BYTE_3 src1_sel:DWORD
	s_mov_b32 s17, -1
	s_and_saveexec_b32 s22, s23
; %bb.2916:                             ;   in Loop: Header=BB2_2373 Depth=3
	s_xor_b32 s17, exec_lo, -1
; %bb.2917:                             ;   in Loop: Header=BB2_2373 Depth=3
	s_or_b32 exec_lo, exec_lo, s22
	s_and_b32 s17, s17, exec_lo
	s_or_saveexec_b32 s18, s18
	v_mov_b32_e32 v8, 0x7f800001
	s_xor_b32 exec_lo, exec_lo, s18
	s_cbranch_execnz .LBB2_3073
.LBB2_2918:                             ;   in Loop: Header=BB2_2373 Depth=3
	s_or_b32 exec_lo, exec_lo, s18
	s_and_saveexec_b32 s18, s17
	s_cbranch_execz .LBB2_2920
.LBB2_2919:                             ;   in Loop: Header=BB2_2373 Depth=3
	v_bfe_u32 v8, v15, 24, 3
	v_bfe_u32 v95, v15, 27, 4
	v_ffbh_u32_e32 v9, v8
	v_cmp_eq_u32_e32 vcc_lo, 0, v95
	v_min_u32_e32 v9, 32, v9
	v_subrev_nc_u32_e32 v10, 28, v9
	v_sub_nc_u32_e32 v9, 29, v9
	v_lshlrev_b32_sdwa v10, v10, v15 dst_sel:DWORD dst_unused:UNUSED_PAD src0_sel:DWORD src1_sel:BYTE_3
	v_cndmask_b32_e32 v9, v95, v9, vcc_lo
	v_and_b32_e32 v10, 7, v10
	v_lshl_add_u32 v9, v9, 23, 0x3b800000
	v_cndmask_b32_e32 v8, v8, v10, vcc_lo
	v_and_b32_e32 v10, 0x80000000, v15
	v_lshlrev_b32_e32 v8, 20, v8
	v_or3_b32 v8, v10, v9, v8
.LBB2_2920:                             ;   in Loop: Header=BB2_2373 Depth=3
	s_or_b32 exec_lo, exec_lo, s18
	v_cmp_gt_i16_sdwa s18, v11, v102 src0_sel:BYTE_3 src1_sel:DWORD
	s_mov_b32 s17, 0
	s_and_saveexec_b32 s22, s18
	s_xor_b32 s18, exec_lo, s22
	s_cbranch_execz .LBB2_3074
; %bb.2921:                             ;   in Loop: Header=BB2_2373 Depth=3
	v_cmp_eq_u16_sdwa s23, v11, v103 src0_sel:BYTE_3 src1_sel:DWORD
	s_mov_b32 s17, -1
	s_and_saveexec_b32 s22, s23
; %bb.2922:                             ;   in Loop: Header=BB2_2373 Depth=3
	s_xor_b32 s17, exec_lo, -1
; %bb.2923:                             ;   in Loop: Header=BB2_2373 Depth=3
	s_or_b32 exec_lo, exec_lo, s22
	s_and_b32 s17, s17, exec_lo
	s_or_saveexec_b32 s18, s18
	v_mov_b32_e32 v9, 0x7f800001
	s_xor_b32 exec_lo, exec_lo, s18
	s_cbranch_execnz .LBB2_3075
.LBB2_2924:                             ;   in Loop: Header=BB2_2373 Depth=3
	s_or_b32 exec_lo, exec_lo, s18
	s_and_saveexec_b32 s18, s17
.LBB2_2925:                             ;   in Loop: Header=BB2_2373 Depth=3
	v_mov_b32_e32 v9, v94
.LBB2_2926:                             ;   in Loop: Header=BB2_2373 Depth=3
	s_or_b32 exec_lo, exec_lo, s18
	v_max_f32_e32 v9, v9, v9
	v_max_f32_e32 v8, v8, v8
	s_mov_b32 s17, 0
	v_max_f32_e32 v8, v8, v9
.LBB2_2927:                             ;   in Loop: Header=BB2_2373 Depth=3
	s_and_b32 vcc_lo, exec_lo, s17
	s_cbranch_vccz .LBB2_2941
; %bb.2928:                             ;   in Loop: Header=BB2_2373 Depth=3
	v_cmp_gt_i16_sdwa s18, v15, v102 src0_sel:BYTE_3 src1_sel:DWORD
	s_mov_b32 s17, 0
	s_and_saveexec_b32 s22, s18
	s_xor_b32 s18, exec_lo, s22
	s_cbranch_execz .LBB2_3076
; %bb.2929:                             ;   in Loop: Header=BB2_2373 Depth=3
	v_cmp_eq_u16_sdwa s23, v15, v103 src0_sel:BYTE_3 src1_sel:DWORD
	s_mov_b32 s17, -1
	s_and_saveexec_b32 s22, s23
; %bb.2930:                             ;   in Loop: Header=BB2_2373 Depth=3
	s_xor_b32 s17, exec_lo, -1
; %bb.2931:                             ;   in Loop: Header=BB2_2373 Depth=3
	s_or_b32 exec_lo, exec_lo, s22
	s_and_b32 s17, s17, exec_lo
	s_or_saveexec_b32 s18, s18
	v_mov_b32_e32 v95, 0x7f800001
	s_xor_b32 exec_lo, exec_lo, s18
	s_cbranch_execnz .LBB2_3077
.LBB2_2932:                             ;   in Loop: Header=BB2_2373 Depth=3
	s_or_b32 exec_lo, exec_lo, s18
	s_and_saveexec_b32 s18, s17
	s_cbranch_execz .LBB2_2934
.LBB2_2933:                             ;   in Loop: Header=BB2_2373 Depth=3
	v_bfe_u32 v8, v15, 24, 3
	v_bfe_u32 v95, v15, 27, 4
	v_ffbh_u32_e32 v9, v8
	v_cmp_eq_u32_e32 vcc_lo, 0, v95
	v_min_u32_e32 v9, 32, v9
	v_subrev_nc_u32_e32 v10, 28, v9
	v_sub_nc_u32_e32 v9, 29, v9
	v_lshlrev_b32_sdwa v10, v10, v15 dst_sel:DWORD dst_unused:UNUSED_PAD src0_sel:DWORD src1_sel:BYTE_3
	v_cndmask_b32_e32 v9, v95, v9, vcc_lo
	v_and_b32_e32 v10, 7, v10
	v_lshl_add_u32 v9, v9, 23, 0x3b800000
	v_cndmask_b32_e32 v8, v8, v10, vcc_lo
	v_and_b32_e32 v10, 0x80000000, v15
	v_lshlrev_b32_e32 v8, 20, v8
	v_or3_b32 v95, v10, v9, v8
.LBB2_2934:                             ;   in Loop: Header=BB2_2373 Depth=3
	s_or_b32 exec_lo, exec_lo, s18
	v_cmp_gt_i16_sdwa s18, v11, v102 src0_sel:BYTE_3 src1_sel:DWORD
	s_mov_b32 s17, 0
	s_and_saveexec_b32 s22, s18
	s_xor_b32 s18, exec_lo, s22
	s_cbranch_execz .LBB2_3078
; %bb.2935:                             ;   in Loop: Header=BB2_2373 Depth=3
	v_cmp_eq_u16_sdwa s23, v11, v103 src0_sel:BYTE_3 src1_sel:DWORD
	s_mov_b32 s17, -1
	s_and_saveexec_b32 s22, s23
; %bb.2936:                             ;   in Loop: Header=BB2_2373 Depth=3
	s_xor_b32 s17, exec_lo, -1
; %bb.2937:                             ;   in Loop: Header=BB2_2373 Depth=3
	s_or_b32 exec_lo, exec_lo, s22
	s_and_b32 s17, s17, exec_lo
                                        ; implicit-def: $vgpr8_vgpr9_vgpr10_vgpr11
	s_or_saveexec_b32 s18, s18
	v_mov_b32_e32 v8, 0x7f800001
	s_xor_b32 exec_lo, exec_lo, s18
	s_cbranch_execnz .LBB2_3079
.LBB2_2938:                             ;   in Loop: Header=BB2_2373 Depth=3
	s_or_b32 exec_lo, exec_lo, s18
	s_and_saveexec_b32 s18, s17
.LBB2_2939:                             ;   in Loop: Header=BB2_2373 Depth=3
	v_mov_b32_e32 v8, v94
.LBB2_2940:                             ;   in Loop: Header=BB2_2373 Depth=3
	s_or_b32 exec_lo, exec_lo, s18
	v_max_f32_e32 v8, v8, v8
	v_max_f32_e32 v9, v95, v95
	v_min_f32_e32 v8, v9, v8
.LBB2_2941:                             ;   in Loop: Header=BB2_2373 Depth=3
	v_and_b32_e32 v9, 0x7f800000, v8
	v_cmp_ne_u32_e32 vcc_lo, 0x7f800000, v9
	v_mov_b32_e32 v9, 0x8000
	s_and_saveexec_b32 s18, vcc_lo
	s_cbranch_execz .LBB2_2949
; %bb.2942:                             ;   in Loop: Header=BB2_2373 Depth=3
	v_mov_b32_e32 v9, 0
	s_mov_b32 s22, exec_lo
	v_cmpx_ne_u32_e32 0, v8
	s_cbranch_execz .LBB2_2948
; %bb.2943:                             ;   in Loop: Header=BB2_2373 Depth=3
	v_bfe_u32 v9, v8, 23, 8
	v_and_b32_e32 v10, 0x7fffff, v8
	v_sub_nc_u32_e32 v11, 0x78, v9
	v_cmp_gt_u32_e32 vcc_lo, 0x79, v9
	v_or_b32_e32 v15, 0x800000, v10
	v_cndmask_b32_e32 v11, 0, v11, vcc_lo
	v_cmp_eq_u32_e32 vcc_lo, 0, v9
	v_add_nc_u32_e32 v9, 0xffffff89, v9
	v_cndmask_b32_e64 v11, v11, 0x77, vcc_lo
	v_cndmask_b32_e32 v10, v15, v10, vcc_lo
	v_cndmask_b32_e64 v9, v9, 0xffffff8a, vcc_lo
	v_lshl_add_u32 v15, 0x100000, v11, -1
	v_lshrrev_b32_e32 v94, v11, v10
	v_lshlrev_b32_e64 v104, v11, 0x80000
	v_add_nc_u32_e32 v11, v11, v9
	v_and_b32_e32 v10, v15, v10
	v_bfe_u32 v95, v94, 20, 1
	v_cmp_eq_u32_e64 s17, v10, v104
	v_add_nc_u32_e32 v15, -1, v95
	v_cndmask_b32_e64 v10, 0, v15, s17
	v_lshrrev_b32_e32 v15, 23, v94
	s_mov_b32 s17, exec_lo
	v_add_nc_u32_e32 v10, v10, v94
	v_xor_b32_e32 v15, 1, v15
	v_and_b32_e32 v9, 0xfffff, v10
	v_add_nc_u32_e32 v10, v9, v94
                                        ; implicit-def: $vgpr9
	v_cmpx_ne_u32_e64 v11, v15
	s_xor_b32 s17, exec_lo, s17
; %bb.2944:                             ;   in Loop: Header=BB2_2373 Depth=3
	v_cmp_lt_u32_e32 vcc_lo, 0xffffff, v10
	v_sub_nc_u32_e32 v9, v11, v15
	v_cndmask_b32_e64 v11, 0, 1, vcc_lo
	v_add_co_ci_u32_e64 v9, null, 0, v9, vcc_lo
	v_lshrrev_b32_e32 v10, v11, v10
; %bb.2945:                             ;   in Loop: Header=BB2_2373 Depth=3
	s_andn2_saveexec_b32 s17, s17
; %bb.2946:                             ;   in Loop: Header=BB2_2373 Depth=3
	v_bfe_u32 v9, v10, 23, 1
; %bb.2947:                             ;   in Loop: Header=BB2_2373 Depth=3
	s_or_b32 exec_lo, exec_lo, s17
	v_lshrrev_b32_e32 v10, 20, v10
	v_min_i32_e32 v11, 15, v9
	v_cmp_gt_i32_e32 vcc_lo, 16, v9
	v_and_b32_sdwa v8, v8, v103 dst_sel:DWORD dst_unused:UNUSED_PAD src0_sel:BYTE_3 src1_sel:DWORD
	v_lshlrev_b32_e32 v11, 3, v11
	v_cndmask_b32_e32 v10, 7, v10, vcc_lo
	v_and_b32_e32 v11, 0xf8, v11
	v_and_b32_e32 v15, 7, v10
	v_or_b32_e32 v9, v9, v10
	v_or3_b32 v8, v8, v11, v15
	v_cmp_ne_u32_e32 vcc_lo, 0, v9
	v_lshlrev_b32_e32 v8, 8, v8
	v_cndmask_b32_e32 v9, 0, v8, vcc_lo
.LBB2_2948:                             ;   in Loop: Header=BB2_2373 Depth=3
	s_or_b32 exec_lo, exec_lo, s22
.LBB2_2949:                             ;   in Loop: Header=BB2_2373 Depth=3
	s_or_b32 exec_lo, exec_lo, s18
	v_or_b32_sdwa v8, v13, v79 dst_sel:WORD_1 dst_unused:UNUSED_PAD src0_sel:DWORD src1_sel:DWORD
	v_or_b32_sdwa v10, v12, v76 dst_sel:WORD_1 dst_unused:UNUSED_PAD src0_sel:DWORD src1_sel:DWORD
	v_or_b32_sdwa v11, v14, v90 dst_sel:WORD_1 dst_unused:UNUSED_PAD src0_sel:DWORD src1_sel:DWORD
	v_or_b32_sdwa v12, v9, v93 dst_sel:WORD_1 dst_unused:UNUSED_PAD src0_sel:DWORD src1_sel:DWORD
	s_mov_b64 s[22:23], 0
	v_or3_b32 v9, v78, v77, v8
	v_or3_b32 v8, v75, v74, v10
	;; [unrolled: 1-line block ×4, first 2 shown]
	s_mov_b32 s75, -1
	.p2align	6
.LBB2_2950:                             ;   Parent Loop BB2_47 Depth=1
                                        ;     Parent Loop BB2_2295 Depth=2
                                        ;       Parent Loop BB2_2373 Depth=3
                                        ; =>      This Inner Loop Header: Depth=4
	s_cmp_eq_u32 s22, 1
	s_cselect_b32 vcc_lo, -1, 0
	s_cmp_eq_u32 s22, 0
	v_cndmask_b32_e32 v12, v62, v72, vcc_lo
	v_cndmask_b32_e32 v13, v63, v73, vcc_lo
	s_mov_b64 s[22:23], 1
	v_add_co_u32 v14, s17, 0x200, v12
	v_add_co_ci_u32_e64 v15, null, 0, v13, s17
	s_cselect_b32 s17, -1, 0
	v_cndmask_b32_e32 v72, v72, v14, vcc_lo
	v_cndmask_b32_e64 v62, v62, v14, s17
	v_cndmask_b32_e32 v73, v73, v15, vcc_lo
	v_cndmask_b32_e64 v63, v63, v15, s17
	s_and_b32 s18, exec_lo, s75
	s_mov_b32 s75, 0
	s_mov_b32 vcc_lo, s18
	global_store_dwordx4 v[12:13], v[8:11], off glc slc
	s_cbranch_vccnz .LBB2_2950
; %bb.2951:                             ;   in Loop: Header=BB2_2373 Depth=3
	v_add_co_u32 v70, vcc_lo, v70, v45
	v_sub_nc_u32_e32 v59, v59, v117
	v_add_co_ci_u32_e64 v71, null, v71, v46, vcc_lo
	v_add_co_u32 v80, vcc_lo, v80, v45
	v_add_co_ci_u32_e64 v81, null, v81, v46, vcc_lo
	v_add_co_u32 v62, vcc_lo, v62, v40
	v_add_co_ci_u32_e64 v63, null, v63, v42, vcc_lo
	v_cmp_gt_i32_e32 vcc_lo, 16, v59
	v_add_co_u32 v72, s17, v72, v40
	v_add_co_ci_u32_e64 v73, null, v73, v42, s17
	v_sub_nc_u32_e32 v61, v61, v87
	s_or_b32 s73, vcc_lo, s73
	s_andn2_b32 exec_lo, exec_lo, s73
	s_cbranch_execnz .LBB2_2373
	s_branch .LBB2_3080
.LBB2_2952:                             ;   in Loop: Header=BB2_2373 Depth=3
	s_or_saveexec_b32 s18, s18
	v_mov_b32_e32 v75, 0x7f800001
	s_xor_b32 exec_lo, exec_lo, s18
	s_cbranch_execz .LBB2_2378
.LBB2_2953:                             ;   in Loop: Header=BB2_2373 Depth=3
	v_cmp_ne_u16_sdwa s22, v12, v2 src0_sel:BYTE_0 src1_sel:DWORD
	v_mov_b32_e32 v75, 0
	s_andn2_b32 s17, s17, exec_lo
	s_and_b32 s22, s22, exec_lo
	s_or_b32 s17, s17, s22
	s_or_b32 exec_lo, exec_lo, s18
	s_and_saveexec_b32 s18, s17
	s_cbranch_execnz .LBB2_2379
	s_branch .LBB2_2380
.LBB2_2954:                             ;   in Loop: Header=BB2_2373 Depth=3
	s_or_saveexec_b32 s18, s18
	v_mov_b32_e32 v76, 0x7f800001
	s_xor_b32 exec_lo, exec_lo, s18
	s_cbranch_execz .LBB2_2384
.LBB2_2955:                             ;   in Loop: Header=BB2_2373 Depth=3
	v_cmp_ne_u16_sdwa s22, v8, v2 src0_sel:BYTE_0 src1_sel:DWORD
	v_mov_b32_e32 v76, 0
	s_andn2_b32 s17, s17, exec_lo
	s_and_b32 s22, s22, exec_lo
	s_or_b32 s17, s17, s22
	s_or_b32 exec_lo, exec_lo, s18
	s_and_saveexec_b32 s18, s17
	s_cbranch_execnz .LBB2_2385
	s_branch .LBB2_2386
.LBB2_2956:                             ;   in Loop: Header=BB2_2373 Depth=3
	s_or_saveexec_b32 s18, s18
	v_mov_b32_e32 v75, 0x7f800001
	s_xor_b32 exec_lo, exec_lo, s18
	s_cbranch_execz .LBB2_2392
.LBB2_2957:                             ;   in Loop: Header=BB2_2373 Depth=3
	v_cmp_ne_u16_sdwa s22, v12, v2 src0_sel:BYTE_0 src1_sel:DWORD
	v_mov_b32_e32 v75, 0
	s_andn2_b32 s17, s17, exec_lo
	s_and_b32 s22, s22, exec_lo
	s_or_b32 s17, s17, s22
	s_or_b32 exec_lo, exec_lo, s18
	s_and_saveexec_b32 s18, s17
	s_cbranch_execnz .LBB2_2393
	s_branch .LBB2_2394
.LBB2_2958:                             ;   in Loop: Header=BB2_2373 Depth=3
	s_or_saveexec_b32 s18, s18
	v_mov_b32_e32 v76, 0x7f800001
	s_xor_b32 exec_lo, exec_lo, s18
	s_cbranch_execz .LBB2_2398
.LBB2_2959:                             ;   in Loop: Header=BB2_2373 Depth=3
	v_cmp_ne_u16_sdwa s22, v8, v2 src0_sel:BYTE_0 src1_sel:DWORD
	v_mov_b32_e32 v76, 0
	s_andn2_b32 s17, s17, exec_lo
	s_and_b32 s22, s22, exec_lo
	s_or_b32 s17, s17, s22
	s_or_b32 exec_lo, exec_lo, s18
	s_and_saveexec_b32 s18, s17
	s_cbranch_execnz .LBB2_2399
	s_branch .LBB2_2400
.LBB2_2960:                             ;   in Loop: Header=BB2_2373 Depth=3
	s_or_saveexec_b32 s18, s18
	v_mov_b32_e32 v76, 0x7f800001
	s_xor_b32 exec_lo, exec_lo, s18
	s_cbranch_execz .LBB2_2414
.LBB2_2961:                             ;   in Loop: Header=BB2_2373 Depth=3
	v_cmp_ne_u16_sdwa s22, v12, v2 src0_sel:BYTE_1 src1_sel:DWORD
	v_mov_b32_e32 v76, 0
	s_andn2_b32 s17, s17, exec_lo
	s_and_b32 s22, s22, exec_lo
	s_or_b32 s17, s17, s22
	s_or_b32 exec_lo, exec_lo, s18
	s_and_saveexec_b32 s18, s17
	s_cbranch_execnz .LBB2_2415
	s_branch .LBB2_2416
.LBB2_2962:                             ;   in Loop: Header=BB2_2373 Depth=3
	s_or_saveexec_b32 s18, s18
	v_mov_b32_e32 v77, 0x7f800001
	s_xor_b32 exec_lo, exec_lo, s18
	s_cbranch_execz .LBB2_2420
.LBB2_2963:                             ;   in Loop: Header=BB2_2373 Depth=3
	v_cmp_ne_u16_sdwa s22, v8, v2 src0_sel:BYTE_1 src1_sel:DWORD
	v_mov_b32_e32 v77, 0
	s_andn2_b32 s17, s17, exec_lo
	s_and_b32 s22, s22, exec_lo
	s_or_b32 s17, s17, s22
	s_or_b32 exec_lo, exec_lo, s18
	s_and_saveexec_b32 s18, s17
	s_cbranch_execnz .LBB2_2421
	s_branch .LBB2_2422
.LBB2_2964:                             ;   in Loop: Header=BB2_2373 Depth=3
	s_or_saveexec_b32 s18, s18
	v_mov_b32_e32 v76, 0x7f800001
	s_xor_b32 exec_lo, exec_lo, s18
	s_cbranch_execz .LBB2_2428
.LBB2_2965:                             ;   in Loop: Header=BB2_2373 Depth=3
	v_cmp_ne_u16_sdwa s22, v12, v2 src0_sel:BYTE_1 src1_sel:DWORD
	v_mov_b32_e32 v76, 0
	s_andn2_b32 s17, s17, exec_lo
	s_and_b32 s22, s22, exec_lo
	s_or_b32 s17, s17, s22
	s_or_b32 exec_lo, exec_lo, s18
	s_and_saveexec_b32 s18, s17
	s_cbranch_execnz .LBB2_2429
	s_branch .LBB2_2430
.LBB2_2966:                             ;   in Loop: Header=BB2_2373 Depth=3
	s_or_saveexec_b32 s18, s18
	v_mov_b32_e32 v77, 0x7f800001
	s_xor_b32 exec_lo, exec_lo, s18
	s_cbranch_execz .LBB2_2434
.LBB2_2967:                             ;   in Loop: Header=BB2_2373 Depth=3
	v_cmp_ne_u16_sdwa s22, v8, v2 src0_sel:BYTE_1 src1_sel:DWORD
	v_mov_b32_e32 v77, 0
	s_andn2_b32 s17, s17, exec_lo
	s_and_b32 s22, s22, exec_lo
	s_or_b32 s17, s17, s22
	s_or_b32 exec_lo, exec_lo, s18
	s_and_saveexec_b32 s18, s17
	s_cbranch_execnz .LBB2_2435
	s_branch .LBB2_2436
.LBB2_2968:                             ;   in Loop: Header=BB2_2373 Depth=3
	s_or_saveexec_b32 s17, s17
	v_mov_b32_e32 v78, 0x7f800001
	s_xor_b32 exec_lo, exec_lo, s17
	s_cbranch_execz .LBB2_2450
.LBB2_2969:                             ;   in Loop: Header=BB2_2373 Depth=3
	v_cmp_ne_u16_e32 vcc_lo, 0, v77
	v_mov_b32_e32 v78, 0
	s_andn2_b32 s18, s18, exec_lo
	s_and_b32 s22, vcc_lo, exec_lo
	s_or_b32 s18, s18, s22
	s_or_b32 exec_lo, exec_lo, s17
	s_and_saveexec_b32 s17, s18
	s_cbranch_execnz .LBB2_2451
	s_branch .LBB2_2452
.LBB2_2970:                             ;   in Loop: Header=BB2_2373 Depth=3
	s_or_saveexec_b32 s18, s18
	v_mov_b32_e32 v79, 0x7f800001
	s_xor_b32 exec_lo, exec_lo, s18
	s_cbranch_execz .LBB2_2456
.LBB2_2971:                             ;   in Loop: Header=BB2_2373 Depth=3
	v_cmp_ne_u16_e32 vcc_lo, 0, v88
	v_mov_b32_e32 v79, 0
	s_andn2_b32 s17, s17, exec_lo
	s_and_b32 s22, vcc_lo, exec_lo
	s_or_b32 s17, s17, s22
	s_or_b32 exec_lo, exec_lo, s18
	s_and_saveexec_b32 s18, s17
	s_cbranch_execnz .LBB2_2457
	s_branch .LBB2_2458
.LBB2_2972:                             ;   in Loop: Header=BB2_2373 Depth=3
	s_or_saveexec_b32 s18, s18
	v_mov_b32_e32 v78, 0x7f800001
	s_xor_b32 exec_lo, exec_lo, s18
	s_cbranch_execz .LBB2_2464
.LBB2_2973:                             ;   in Loop: Header=BB2_2373 Depth=3
	v_cmp_ne_u16_e32 vcc_lo, 0, v77
	v_mov_b32_e32 v78, 0
	s_andn2_b32 s17, s17, exec_lo
	s_and_b32 s22, vcc_lo, exec_lo
	s_or_b32 s17, s17, s22
	s_or_b32 exec_lo, exec_lo, s18
	s_and_saveexec_b32 s18, s17
	s_cbranch_execnz .LBB2_2465
	s_branch .LBB2_2466
.LBB2_2974:                             ;   in Loop: Header=BB2_2373 Depth=3
	s_or_saveexec_b32 s18, s18
	v_mov_b32_e32 v77, 0x7f800001
	s_xor_b32 exec_lo, exec_lo, s18
	s_cbranch_execz .LBB2_2470
.LBB2_2975:                             ;   in Loop: Header=BB2_2373 Depth=3
	v_cmp_ne_u16_e32 vcc_lo, 0, v79
	v_mov_b32_e32 v77, 0
	s_andn2_b32 s17, s17, exec_lo
	s_and_b32 s22, vcc_lo, exec_lo
	s_or_b32 s17, s17, s22
	s_or_b32 exec_lo, exec_lo, s18
	s_and_saveexec_b32 s18, s17
	s_cbranch_execnz .LBB2_2471
	s_branch .LBB2_2472
.LBB2_2976:                             ;   in Loop: Header=BB2_2373 Depth=3
	s_or_saveexec_b32 s18, s18
	v_mov_b32_e32 v78, 0x7f800001
	s_xor_b32 exec_lo, exec_lo, s18
	s_cbranch_execz .LBB2_2486
.LBB2_2977:                             ;   in Loop: Header=BB2_2373 Depth=3
	v_cmp_ne_u16_sdwa s22, v12, v2 src0_sel:BYTE_3 src1_sel:DWORD
	v_mov_b32_e32 v78, 0
	s_andn2_b32 s17, s17, exec_lo
	s_and_b32 s22, s22, exec_lo
	s_or_b32 s17, s17, s22
	s_or_b32 exec_lo, exec_lo, s18
	s_and_saveexec_b32 s18, s17
	s_cbranch_execnz .LBB2_2487
	s_branch .LBB2_2488
.LBB2_2978:                             ;   in Loop: Header=BB2_2373 Depth=3
	s_or_saveexec_b32 s18, s18
	v_mov_b32_e32 v79, 0x7f800001
	s_xor_b32 exec_lo, exec_lo, s18
	s_cbranch_execz .LBB2_2492
.LBB2_2979:                             ;   in Loop: Header=BB2_2373 Depth=3
	v_cmp_ne_u16_sdwa s22, v8, v2 src0_sel:BYTE_3 src1_sel:DWORD
	v_mov_b32_e32 v79, 0
	s_andn2_b32 s17, s17, exec_lo
	s_and_b32 s22, s22, exec_lo
	s_or_b32 s17, s17, s22
	s_or_b32 exec_lo, exec_lo, s18
	s_and_saveexec_b32 s18, s17
	s_cbranch_execnz .LBB2_2493
	s_branch .LBB2_2494
.LBB2_2980:                             ;   in Loop: Header=BB2_2373 Depth=3
	s_or_saveexec_b32 s18, s18
	v_mov_b32_e32 v78, 0x7f800001
	s_xor_b32 exec_lo, exec_lo, s18
	s_cbranch_execz .LBB2_2500
.LBB2_2981:                             ;   in Loop: Header=BB2_2373 Depth=3
	v_cmp_ne_u16_sdwa s22, v12, v2 src0_sel:BYTE_3 src1_sel:DWORD
	v_mov_b32_e32 v78, 0
	s_andn2_b32 s17, s17, exec_lo
	s_and_b32 s22, s22, exec_lo
	s_or_b32 s17, s17, s22
	s_or_b32 exec_lo, exec_lo, s18
	s_and_saveexec_b32 s18, s17
	s_cbranch_execnz .LBB2_2501
	s_branch .LBB2_2502
.LBB2_2982:                             ;   in Loop: Header=BB2_2373 Depth=3
	s_or_saveexec_b32 s18, s18
	v_mov_b32_e32 v12, 0x7f800001
	s_xor_b32 exec_lo, exec_lo, s18
	s_cbranch_execz .LBB2_2506
.LBB2_2983:                             ;   in Loop: Header=BB2_2373 Depth=3
	v_cmp_ne_u16_sdwa s22, v8, v2 src0_sel:BYTE_3 src1_sel:DWORD
	v_mov_b32_e32 v12, 0
	s_andn2_b32 s17, s17, exec_lo
	s_and_b32 s22, s22, exec_lo
	s_or_b32 s17, s17, s22
	s_or_b32 exec_lo, exec_lo, s18
	s_and_saveexec_b32 s18, s17
	s_cbranch_execnz .LBB2_2507
	s_branch .LBB2_2508
.LBB2_2984:                             ;   in Loop: Header=BB2_2373 Depth=3
	s_or_saveexec_b32 s18, s18
	v_mov_b32_e32 v77, 0x7f800001
	s_xor_b32 exec_lo, exec_lo, s18
	s_cbranch_execz .LBB2_2522
.LBB2_2985:                             ;   in Loop: Header=BB2_2373 Depth=3
	v_cmp_ne_u16_sdwa s22, v13, v2 src0_sel:BYTE_0 src1_sel:DWORD
	v_mov_b32_e32 v77, 0
	s_andn2_b32 s17, s17, exec_lo
	s_and_b32 s22, s22, exec_lo
	s_or_b32 s17, s17, s22
	s_or_b32 exec_lo, exec_lo, s18
	s_and_saveexec_b32 s18, s17
	s_cbranch_execnz .LBB2_2523
	s_branch .LBB2_2524
.LBB2_2986:                             ;   in Loop: Header=BB2_2373 Depth=3
	s_or_saveexec_b32 s18, s18
	v_mov_b32_e32 v78, 0x7f800001
	s_xor_b32 exec_lo, exec_lo, s18
	s_cbranch_execz .LBB2_2528
.LBB2_2987:                             ;   in Loop: Header=BB2_2373 Depth=3
	v_cmp_ne_u16_sdwa s22, v9, v2 src0_sel:BYTE_0 src1_sel:DWORD
	v_mov_b32_e32 v78, 0
	s_andn2_b32 s17, s17, exec_lo
	s_and_b32 s22, s22, exec_lo
	s_or_b32 s17, s17, s22
	s_or_b32 exec_lo, exec_lo, s18
	s_and_saveexec_b32 s18, s17
	s_cbranch_execnz .LBB2_2529
	s_branch .LBB2_2530
.LBB2_2988:                             ;   in Loop: Header=BB2_2373 Depth=3
	s_or_saveexec_b32 s18, s18
	v_mov_b32_e32 v77, 0x7f800001
	s_xor_b32 exec_lo, exec_lo, s18
	s_cbranch_execz .LBB2_2536
.LBB2_2989:                             ;   in Loop: Header=BB2_2373 Depth=3
	v_cmp_ne_u16_sdwa s22, v13, v2 src0_sel:BYTE_0 src1_sel:DWORD
	v_mov_b32_e32 v77, 0
	s_andn2_b32 s17, s17, exec_lo
	s_and_b32 s22, s22, exec_lo
	s_or_b32 s17, s17, s22
	s_or_b32 exec_lo, exec_lo, s18
	s_and_saveexec_b32 s18, s17
	s_cbranch_execnz .LBB2_2537
	s_branch .LBB2_2538
.LBB2_2990:                             ;   in Loop: Header=BB2_2373 Depth=3
	s_or_saveexec_b32 s18, s18
	v_mov_b32_e32 v78, 0x7f800001
	s_xor_b32 exec_lo, exec_lo, s18
	s_cbranch_execz .LBB2_2542
.LBB2_2991:                             ;   in Loop: Header=BB2_2373 Depth=3
	v_cmp_ne_u16_sdwa s22, v9, v2 src0_sel:BYTE_0 src1_sel:DWORD
	v_mov_b32_e32 v78, 0
	s_andn2_b32 s17, s17, exec_lo
	s_and_b32 s22, s22, exec_lo
	s_or_b32 s17, s17, s22
	s_or_b32 exec_lo, exec_lo, s18
	s_and_saveexec_b32 s18, s17
	s_cbranch_execnz .LBB2_2543
	s_branch .LBB2_2544
.LBB2_2992:                             ;   in Loop: Header=BB2_2373 Depth=3
	s_or_saveexec_b32 s18, s18
	v_mov_b32_e32 v78, 0x7f800001
	s_xor_b32 exec_lo, exec_lo, s18
	s_cbranch_execz .LBB2_2558
.LBB2_2993:                             ;   in Loop: Header=BB2_2373 Depth=3
	v_cmp_ne_u16_sdwa s22, v13, v2 src0_sel:BYTE_1 src1_sel:DWORD
	v_mov_b32_e32 v78, 0
	s_andn2_b32 s17, s17, exec_lo
	s_and_b32 s22, s22, exec_lo
	s_or_b32 s17, s17, s22
	s_or_b32 exec_lo, exec_lo, s18
	s_and_saveexec_b32 s18, s17
	s_cbranch_execnz .LBB2_2559
	s_branch .LBB2_2560
.LBB2_2994:                             ;   in Loop: Header=BB2_2373 Depth=3
	s_or_saveexec_b32 s18, s18
	v_mov_b32_e32 v79, 0x7f800001
	s_xor_b32 exec_lo, exec_lo, s18
	s_cbranch_execz .LBB2_2564
.LBB2_2995:                             ;   in Loop: Header=BB2_2373 Depth=3
	v_cmp_ne_u16_sdwa s22, v9, v2 src0_sel:BYTE_1 src1_sel:DWORD
	v_mov_b32_e32 v79, 0
	s_andn2_b32 s17, s17, exec_lo
	s_and_b32 s22, s22, exec_lo
	s_or_b32 s17, s17, s22
	s_or_b32 exec_lo, exec_lo, s18
	s_and_saveexec_b32 s18, s17
	s_cbranch_execnz .LBB2_2565
	s_branch .LBB2_2566
.LBB2_2996:                             ;   in Loop: Header=BB2_2373 Depth=3
	s_or_saveexec_b32 s18, s18
	v_mov_b32_e32 v78, 0x7f800001
	s_xor_b32 exec_lo, exec_lo, s18
	s_cbranch_execz .LBB2_2572
.LBB2_2997:                             ;   in Loop: Header=BB2_2373 Depth=3
	v_cmp_ne_u16_sdwa s22, v13, v2 src0_sel:BYTE_1 src1_sel:DWORD
	v_mov_b32_e32 v78, 0
	s_andn2_b32 s17, s17, exec_lo
	s_and_b32 s22, s22, exec_lo
	s_or_b32 s17, s17, s22
	s_or_b32 exec_lo, exec_lo, s18
	s_and_saveexec_b32 s18, s17
	s_cbranch_execnz .LBB2_2573
	s_branch .LBB2_2574
.LBB2_2998:                             ;   in Loop: Header=BB2_2373 Depth=3
	s_or_saveexec_b32 s18, s18
	v_mov_b32_e32 v79, 0x7f800001
	s_xor_b32 exec_lo, exec_lo, s18
	s_cbranch_execz .LBB2_2578
.LBB2_2999:                             ;   in Loop: Header=BB2_2373 Depth=3
	v_cmp_ne_u16_sdwa s22, v9, v2 src0_sel:BYTE_1 src1_sel:DWORD
	v_mov_b32_e32 v79, 0
	s_andn2_b32 s17, s17, exec_lo
	s_and_b32 s22, s22, exec_lo
	s_or_b32 s17, s17, s22
	s_or_b32 exec_lo, exec_lo, s18
	s_and_saveexec_b32 s18, s17
	s_cbranch_execnz .LBB2_2579
	s_branch .LBB2_2580
.LBB2_3000:                             ;   in Loop: Header=BB2_2373 Depth=3
	s_or_saveexec_b32 s17, s17
	v_mov_b32_e32 v88, 0x7f800001
	s_xor_b32 exec_lo, exec_lo, s17
	s_cbranch_execz .LBB2_2594
.LBB2_3001:                             ;   in Loop: Header=BB2_2373 Depth=3
	v_cmp_ne_u16_e32 vcc_lo, 0, v79
	v_mov_b32_e32 v88, 0
	s_andn2_b32 s18, s18, exec_lo
	s_and_b32 s22, vcc_lo, exec_lo
	s_or_b32 s18, s18, s22
	s_or_b32 exec_lo, exec_lo, s17
	s_and_saveexec_b32 s17, s18
	s_cbranch_execnz .LBB2_2595
	s_branch .LBB2_2596
.LBB2_3002:                             ;   in Loop: Header=BB2_2373 Depth=3
	s_or_saveexec_b32 s18, s18
	v_mov_b32_e32 v89, 0x7f800001
	s_xor_b32 exec_lo, exec_lo, s18
	s_cbranch_execz .LBB2_2600
.LBB2_3003:                             ;   in Loop: Header=BB2_2373 Depth=3
	v_cmp_ne_u16_e32 vcc_lo, 0, v90
	v_mov_b32_e32 v89, 0
	s_andn2_b32 s17, s17, exec_lo
	s_and_b32 s22, vcc_lo, exec_lo
	s_or_b32 s17, s17, s22
	s_or_b32 exec_lo, exec_lo, s18
	s_and_saveexec_b32 s18, s17
	s_cbranch_execnz .LBB2_2601
	s_branch .LBB2_2602
.LBB2_3004:                             ;   in Loop: Header=BB2_2373 Depth=3
	s_or_saveexec_b32 s18, s18
	v_mov_b32_e32 v88, 0x7f800001
	s_xor_b32 exec_lo, exec_lo, s18
	s_cbranch_execz .LBB2_2608
.LBB2_3005:                             ;   in Loop: Header=BB2_2373 Depth=3
	v_cmp_ne_u16_e32 vcc_lo, 0, v79
	v_mov_b32_e32 v88, 0
	s_andn2_b32 s17, s17, exec_lo
	s_and_b32 s22, vcc_lo, exec_lo
	s_or_b32 s17, s17, s22
	s_or_b32 exec_lo, exec_lo, s18
	s_and_saveexec_b32 s18, s17
	s_cbranch_execnz .LBB2_2609
	s_branch .LBB2_2610
.LBB2_3006:                             ;   in Loop: Header=BB2_2373 Depth=3
	s_or_saveexec_b32 s18, s18
	v_mov_b32_e32 v79, 0x7f800001
	s_xor_b32 exec_lo, exec_lo, s18
	s_cbranch_execz .LBB2_2614
.LBB2_3007:                             ;   in Loop: Header=BB2_2373 Depth=3
	v_cmp_ne_u16_e32 vcc_lo, 0, v89
	v_mov_b32_e32 v79, 0
	s_andn2_b32 s17, s17, exec_lo
	s_and_b32 s22, vcc_lo, exec_lo
	s_or_b32 s17, s17, s22
	s_or_b32 exec_lo, exec_lo, s18
	s_and_saveexec_b32 s18, s17
	s_cbranch_execnz .LBB2_2615
	s_branch .LBB2_2616
.LBB2_3008:                             ;   in Loop: Header=BB2_2373 Depth=3
	s_or_saveexec_b32 s18, s18
	v_mov_b32_e32 v88, 0x7f800001
	s_xor_b32 exec_lo, exec_lo, s18
	s_cbranch_execz .LBB2_2630
.LBB2_3009:                             ;   in Loop: Header=BB2_2373 Depth=3
	v_cmp_ne_u16_sdwa s22, v13, v2 src0_sel:BYTE_3 src1_sel:DWORD
	v_mov_b32_e32 v88, 0
	s_andn2_b32 s17, s17, exec_lo
	s_and_b32 s22, s22, exec_lo
	s_or_b32 s17, s17, s22
	s_or_b32 exec_lo, exec_lo, s18
	s_and_saveexec_b32 s18, s17
	s_cbranch_execnz .LBB2_2631
	s_branch .LBB2_2632
.LBB2_3010:                             ;   in Loop: Header=BB2_2373 Depth=3
	s_or_saveexec_b32 s18, s18
	v_mov_b32_e32 v89, 0x7f800001
	s_xor_b32 exec_lo, exec_lo, s18
	s_cbranch_execz .LBB2_2636
.LBB2_3011:                             ;   in Loop: Header=BB2_2373 Depth=3
	v_cmp_ne_u16_sdwa s22, v9, v2 src0_sel:BYTE_3 src1_sel:DWORD
	v_mov_b32_e32 v89, 0
	s_andn2_b32 s17, s17, exec_lo
	s_and_b32 s22, s22, exec_lo
	s_or_b32 s17, s17, s22
	s_or_b32 exec_lo, exec_lo, s18
	s_and_saveexec_b32 s18, s17
	s_cbranch_execnz .LBB2_2637
	s_branch .LBB2_2638
.LBB2_3012:                             ;   in Loop: Header=BB2_2373 Depth=3
	s_or_saveexec_b32 s18, s18
	v_mov_b32_e32 v88, 0x7f800001
	s_xor_b32 exec_lo, exec_lo, s18
	s_cbranch_execz .LBB2_2644
.LBB2_3013:                             ;   in Loop: Header=BB2_2373 Depth=3
	v_cmp_ne_u16_sdwa s22, v13, v2 src0_sel:BYTE_3 src1_sel:DWORD
	v_mov_b32_e32 v88, 0
	s_andn2_b32 s17, s17, exec_lo
	s_and_b32 s22, s22, exec_lo
	s_or_b32 s17, s17, s22
	s_or_b32 exec_lo, exec_lo, s18
	s_and_saveexec_b32 s18, s17
	s_cbranch_execnz .LBB2_2645
	s_branch .LBB2_2646
.LBB2_3014:                             ;   in Loop: Header=BB2_2373 Depth=3
	s_or_saveexec_b32 s18, s18
	v_mov_b32_e32 v13, 0x7f800001
	s_xor_b32 exec_lo, exec_lo, s18
	s_cbranch_execz .LBB2_2650
.LBB2_3015:                             ;   in Loop: Header=BB2_2373 Depth=3
	v_cmp_ne_u16_sdwa s22, v9, v2 src0_sel:BYTE_3 src1_sel:DWORD
	v_mov_b32_e32 v13, 0
	s_andn2_b32 s17, s17, exec_lo
	s_and_b32 s22, s22, exec_lo
	s_or_b32 s17, s17, s22
	s_or_b32 exec_lo, exec_lo, s18
	s_and_saveexec_b32 s18, s17
	s_cbranch_execnz .LBB2_2651
	s_branch .LBB2_2652
.LBB2_3016:                             ;   in Loop: Header=BB2_2373 Depth=3
	s_or_saveexec_b32 s18, s18
	v_mov_b32_e32 v9, 0x7f800001
	s_xor_b32 exec_lo, exec_lo, s18
	s_cbranch_execz .LBB2_2666
.LBB2_3017:                             ;   in Loop: Header=BB2_2373 Depth=3
	v_cmp_ne_u16_sdwa s22, v14, v2 src0_sel:BYTE_0 src1_sel:DWORD
	v_mov_b32_e32 v9, 0
	s_andn2_b32 s17, s17, exec_lo
	s_and_b32 s22, s22, exec_lo
	s_or_b32 s17, s17, s22
	s_or_b32 exec_lo, exec_lo, s18
	s_and_saveexec_b32 s18, s17
	s_cbranch_execnz .LBB2_2667
	s_branch .LBB2_2668
.LBB2_3018:                             ;   in Loop: Header=BB2_2373 Depth=3
	s_or_saveexec_b32 s18, s18
	v_mov_b32_e32 v88, 0x7f800001
	s_xor_b32 exec_lo, exec_lo, s18
	s_cbranch_execz .LBB2_2672
.LBB2_3019:                             ;   in Loop: Header=BB2_2373 Depth=3
	v_cmp_ne_u16_sdwa s22, v10, v2 src0_sel:BYTE_0 src1_sel:DWORD
	v_mov_b32_e32 v88, 0
	s_andn2_b32 s17, s17, exec_lo
	s_and_b32 s22, s22, exec_lo
	s_or_b32 s17, s17, s22
	s_or_b32 exec_lo, exec_lo, s18
	s_and_saveexec_b32 s18, s17
	s_cbranch_execnz .LBB2_2673
	s_branch .LBB2_2674
.LBB2_3020:                             ;   in Loop: Header=BB2_2373 Depth=3
	s_or_saveexec_b32 s18, s18
	v_mov_b32_e32 v9, 0x7f800001
	s_xor_b32 exec_lo, exec_lo, s18
	s_cbranch_execz .LBB2_2680
.LBB2_3021:                             ;   in Loop: Header=BB2_2373 Depth=3
	v_cmp_ne_u16_sdwa s22, v14, v2 src0_sel:BYTE_0 src1_sel:DWORD
	v_mov_b32_e32 v9, 0
	s_andn2_b32 s17, s17, exec_lo
	s_and_b32 s22, s22, exec_lo
	s_or_b32 s17, s17, s22
	s_or_b32 exec_lo, exec_lo, s18
	s_and_saveexec_b32 s18, s17
	s_cbranch_execnz .LBB2_2681
	s_branch .LBB2_2682
.LBB2_3022:                             ;   in Loop: Header=BB2_2373 Depth=3
	s_or_saveexec_b32 s18, s18
	v_mov_b32_e32 v88, 0x7f800001
	s_xor_b32 exec_lo, exec_lo, s18
	s_cbranch_execz .LBB2_2686
.LBB2_3023:                             ;   in Loop: Header=BB2_2373 Depth=3
	v_cmp_ne_u16_sdwa s22, v10, v2 src0_sel:BYTE_0 src1_sel:DWORD
	v_mov_b32_e32 v88, 0
	s_andn2_b32 s17, s17, exec_lo
	s_and_b32 s22, s22, exec_lo
	s_or_b32 s17, s17, s22
	s_or_b32 exec_lo, exec_lo, s18
	s_and_saveexec_b32 s18, s17
	s_cbranch_execnz .LBB2_2687
	s_branch .LBB2_2688
.LBB2_3024:                             ;   in Loop: Header=BB2_2373 Depth=3
	s_or_saveexec_b32 s18, s18
	v_mov_b32_e32 v9, 0x7f800001
	s_xor_b32 exec_lo, exec_lo, s18
	s_cbranch_execz .LBB2_2702
.LBB2_3025:                             ;   in Loop: Header=BB2_2373 Depth=3
	v_cmp_ne_u16_sdwa s22, v14, v2 src0_sel:BYTE_1 src1_sel:DWORD
	v_mov_b32_e32 v9, 0
	s_andn2_b32 s17, s17, exec_lo
	s_and_b32 s22, s22, exec_lo
	s_or_b32 s17, s17, s22
	s_or_b32 exec_lo, exec_lo, s18
	s_and_saveexec_b32 s18, s17
	s_cbranch_execnz .LBB2_2703
	s_branch .LBB2_2704
.LBB2_3026:                             ;   in Loop: Header=BB2_2373 Depth=3
	s_or_saveexec_b32 s18, s18
	v_mov_b32_e32 v89, 0x7f800001
	s_xor_b32 exec_lo, exec_lo, s18
	s_cbranch_execz .LBB2_2708
.LBB2_3027:                             ;   in Loop: Header=BB2_2373 Depth=3
	v_cmp_ne_u16_sdwa s22, v10, v2 src0_sel:BYTE_1 src1_sel:DWORD
	v_mov_b32_e32 v89, 0
	s_andn2_b32 s17, s17, exec_lo
	s_and_b32 s22, s22, exec_lo
	s_or_b32 s17, s17, s22
	s_or_b32 exec_lo, exec_lo, s18
	s_and_saveexec_b32 s18, s17
	s_cbranch_execnz .LBB2_2709
	s_branch .LBB2_2710
.LBB2_3028:                             ;   in Loop: Header=BB2_2373 Depth=3
	s_or_saveexec_b32 s18, s18
	v_mov_b32_e32 v9, 0x7f800001
	s_xor_b32 exec_lo, exec_lo, s18
	s_cbranch_execz .LBB2_2716
.LBB2_3029:                             ;   in Loop: Header=BB2_2373 Depth=3
	v_cmp_ne_u16_sdwa s22, v14, v2 src0_sel:BYTE_1 src1_sel:DWORD
	v_mov_b32_e32 v9, 0
	s_andn2_b32 s17, s17, exec_lo
	s_and_b32 s22, s22, exec_lo
	s_or_b32 s17, s17, s22
	s_or_b32 exec_lo, exec_lo, s18
	s_and_saveexec_b32 s18, s17
	s_cbranch_execnz .LBB2_2717
	s_branch .LBB2_2718
.LBB2_3030:                             ;   in Loop: Header=BB2_2373 Depth=3
	s_or_saveexec_b32 s18, s18
	v_mov_b32_e32 v89, 0x7f800001
	s_xor_b32 exec_lo, exec_lo, s18
	s_cbranch_execz .LBB2_2722
.LBB2_3031:                             ;   in Loop: Header=BB2_2373 Depth=3
	v_cmp_ne_u16_sdwa s22, v10, v2 src0_sel:BYTE_1 src1_sel:DWORD
	v_mov_b32_e32 v89, 0
	s_andn2_b32 s17, s17, exec_lo
	s_and_b32 s22, s22, exec_lo
	s_or_b32 s17, s17, s22
	s_or_b32 exec_lo, exec_lo, s18
	s_and_saveexec_b32 s18, s17
	s_cbranch_execnz .LBB2_2723
	s_branch .LBB2_2724
.LBB2_3032:                             ;   in Loop: Header=BB2_2373 Depth=3
	s_or_saveexec_b32 s17, s17
	v_mov_b32_e32 v90, 0x7f800001
	s_xor_b32 exec_lo, exec_lo, s17
	s_cbranch_execz .LBB2_2738
.LBB2_3033:                             ;   in Loop: Header=BB2_2373 Depth=3
	v_cmp_ne_u16_e32 vcc_lo, 0, v9
	v_mov_b32_e32 v90, 0
	s_andn2_b32 s18, s18, exec_lo
	s_and_b32 s22, vcc_lo, exec_lo
	s_or_b32 s18, s18, s22
	s_or_b32 exec_lo, exec_lo, s17
	s_and_saveexec_b32 s17, s18
	s_cbranch_execnz .LBB2_2739
	s_branch .LBB2_2740
.LBB2_3034:                             ;   in Loop: Header=BB2_2373 Depth=3
	s_or_saveexec_b32 s18, s18
	v_mov_b32_e32 v91, 0x7f800001
	s_xor_b32 exec_lo, exec_lo, s18
	s_cbranch_execz .LBB2_2744
.LBB2_3035:                             ;   in Loop: Header=BB2_2373 Depth=3
	v_cmp_ne_u16_e32 vcc_lo, 0, v92
	v_mov_b32_e32 v91, 0
	s_andn2_b32 s17, s17, exec_lo
	s_and_b32 s22, vcc_lo, exec_lo
	s_or_b32 s17, s17, s22
	s_or_b32 exec_lo, exec_lo, s18
	s_and_saveexec_b32 s18, s17
	s_cbranch_execnz .LBB2_2745
	s_branch .LBB2_2746
.LBB2_3036:                             ;   in Loop: Header=BB2_2373 Depth=3
	s_or_saveexec_b32 s18, s18
	v_mov_b32_e32 v90, 0x7f800001
	s_xor_b32 exec_lo, exec_lo, s18
	s_cbranch_execz .LBB2_2752
.LBB2_3037:                             ;   in Loop: Header=BB2_2373 Depth=3
	v_cmp_ne_u16_e32 vcc_lo, 0, v9
	v_mov_b32_e32 v90, 0
	s_andn2_b32 s17, s17, exec_lo
	s_and_b32 s22, vcc_lo, exec_lo
	s_or_b32 s17, s17, s22
	s_or_b32 exec_lo, exec_lo, s18
	s_and_saveexec_b32 s18, s17
	s_cbranch_execnz .LBB2_2753
	s_branch .LBB2_2754
.LBB2_3038:                             ;   in Loop: Header=BB2_2373 Depth=3
	s_or_saveexec_b32 s18, s18
	v_mov_b32_e32 v9, 0x7f800001
	s_xor_b32 exec_lo, exec_lo, s18
	s_cbranch_execz .LBB2_2758
.LBB2_3039:                             ;   in Loop: Header=BB2_2373 Depth=3
	v_cmp_ne_u16_e32 vcc_lo, 0, v91
	v_mov_b32_e32 v9, 0
	s_andn2_b32 s17, s17, exec_lo
	s_and_b32 s22, vcc_lo, exec_lo
	s_or_b32 s17, s17, s22
	s_or_b32 exec_lo, exec_lo, s18
	s_and_saveexec_b32 s18, s17
	s_cbranch_execnz .LBB2_2759
	s_branch .LBB2_2760
.LBB2_3040:                             ;   in Loop: Header=BB2_2373 Depth=3
	s_or_saveexec_b32 s18, s18
	v_mov_b32_e32 v9, 0x7f800001
	s_xor_b32 exec_lo, exec_lo, s18
	s_cbranch_execz .LBB2_2774
.LBB2_3041:                             ;   in Loop: Header=BB2_2373 Depth=3
	v_cmp_ne_u16_sdwa s22, v14, v2 src0_sel:BYTE_3 src1_sel:DWORD
	v_mov_b32_e32 v9, 0
	s_andn2_b32 s17, s17, exec_lo
	s_and_b32 s22, s22, exec_lo
	s_or_b32 s17, s17, s22
	s_or_b32 exec_lo, exec_lo, s18
	s_and_saveexec_b32 s18, s17
	s_cbranch_execnz .LBB2_2775
	s_branch .LBB2_2776
.LBB2_3042:                             ;   in Loop: Header=BB2_2373 Depth=3
	s_or_saveexec_b32 s18, s18
	v_mov_b32_e32 v91, 0x7f800001
	s_xor_b32 exec_lo, exec_lo, s18
	s_cbranch_execz .LBB2_2780
.LBB2_3043:                             ;   in Loop: Header=BB2_2373 Depth=3
	v_cmp_ne_u16_sdwa s22, v10, v2 src0_sel:BYTE_3 src1_sel:DWORD
	v_mov_b32_e32 v91, 0
	s_andn2_b32 s17, s17, exec_lo
	s_and_b32 s22, s22, exec_lo
	s_or_b32 s17, s17, s22
	s_or_b32 exec_lo, exec_lo, s18
	s_and_saveexec_b32 s18, s17
	s_cbranch_execnz .LBB2_2781
	s_branch .LBB2_2782
.LBB2_3044:                             ;   in Loop: Header=BB2_2373 Depth=3
	s_or_saveexec_b32 s18, s18
	v_mov_b32_e32 v9, 0x7f800001
	s_xor_b32 exec_lo, exec_lo, s18
	s_cbranch_execz .LBB2_2788
.LBB2_3045:                             ;   in Loop: Header=BB2_2373 Depth=3
	v_cmp_ne_u16_sdwa s22, v14, v2 src0_sel:BYTE_3 src1_sel:DWORD
	v_mov_b32_e32 v9, 0
	s_andn2_b32 s17, s17, exec_lo
	s_and_b32 s22, s22, exec_lo
	s_or_b32 s17, s17, s22
	s_or_b32 exec_lo, exec_lo, s18
	s_and_saveexec_b32 s18, s17
	s_cbranch_execnz .LBB2_2789
	s_branch .LBB2_2790
.LBB2_3046:                             ;   in Loop: Header=BB2_2373 Depth=3
	s_or_saveexec_b32 s18, s18
	v_mov_b32_e32 v14, 0x7f800001
	s_xor_b32 exec_lo, exec_lo, s18
	s_cbranch_execz .LBB2_2794
.LBB2_3047:                             ;   in Loop: Header=BB2_2373 Depth=3
	v_cmp_ne_u16_sdwa s22, v10, v2 src0_sel:BYTE_3 src1_sel:DWORD
	v_mov_b32_e32 v14, 0
	s_andn2_b32 s17, s17, exec_lo
	s_and_b32 s22, s22, exec_lo
	s_or_b32 s17, s17, s22
	s_or_b32 exec_lo, exec_lo, s18
	s_and_saveexec_b32 s18, s17
	s_cbranch_execnz .LBB2_2795
	s_branch .LBB2_2796
.LBB2_3048:                             ;   in Loop: Header=BB2_2373 Depth=3
	s_or_saveexec_b32 s18, s18
	v_mov_b32_e32 v9, 0x7f800001
	s_xor_b32 exec_lo, exec_lo, s18
	s_cbranch_execz .LBB2_2810
.LBB2_3049:                             ;   in Loop: Header=BB2_2373 Depth=3
	v_cmp_ne_u16_sdwa s22, v15, v2 src0_sel:BYTE_0 src1_sel:DWORD
	v_mov_b32_e32 v9, 0
	s_andn2_b32 s17, s17, exec_lo
	s_and_b32 s22, s22, exec_lo
	s_or_b32 s17, s17, s22
	s_or_b32 exec_lo, exec_lo, s18
	s_and_saveexec_b32 s18, s17
	s_cbranch_execnz .LBB2_2811
	s_branch .LBB2_2812
.LBB2_3050:                             ;   in Loop: Header=BB2_2373 Depth=3
	s_or_saveexec_b32 s18, s18
	v_mov_b32_e32 v10, 0x7f800001
	s_xor_b32 exec_lo, exec_lo, s18
	s_cbranch_execz .LBB2_2816
.LBB2_3051:                             ;   in Loop: Header=BB2_2373 Depth=3
	v_cmp_ne_u16_sdwa s22, v11, v2 src0_sel:BYTE_0 src1_sel:DWORD
	v_mov_b32_e32 v10, 0
	s_andn2_b32 s17, s17, exec_lo
	s_and_b32 s22, s22, exec_lo
	s_or_b32 s17, s17, s22
	s_or_b32 exec_lo, exec_lo, s18
	s_and_saveexec_b32 s18, s17
	s_cbranch_execnz .LBB2_2817
	s_branch .LBB2_2818
.LBB2_3052:                             ;   in Loop: Header=BB2_2373 Depth=3
	s_or_saveexec_b32 s18, s18
	v_mov_b32_e32 v9, 0x7f800001
	s_xor_b32 exec_lo, exec_lo, s18
	s_cbranch_execz .LBB2_2824
.LBB2_3053:                             ;   in Loop: Header=BB2_2373 Depth=3
	v_cmp_ne_u16_sdwa s22, v15, v2 src0_sel:BYTE_0 src1_sel:DWORD
	v_mov_b32_e32 v9, 0
	s_andn2_b32 s17, s17, exec_lo
	s_and_b32 s22, s22, exec_lo
	s_or_b32 s17, s17, s22
	s_or_b32 exec_lo, exec_lo, s18
	s_and_saveexec_b32 s18, s17
	s_cbranch_execnz .LBB2_2825
	s_branch .LBB2_2826
.LBB2_3054:                             ;   in Loop: Header=BB2_2373 Depth=3
	s_or_saveexec_b32 s18, s18
	v_mov_b32_e32 v10, 0x7f800001
	s_xor_b32 exec_lo, exec_lo, s18
	s_cbranch_execz .LBB2_2830
.LBB2_3055:                             ;   in Loop: Header=BB2_2373 Depth=3
	v_cmp_ne_u16_sdwa s22, v11, v2 src0_sel:BYTE_0 src1_sel:DWORD
	v_mov_b32_e32 v10, 0
	s_andn2_b32 s17, s17, exec_lo
	s_and_b32 s22, s22, exec_lo
	s_or_b32 s17, s17, s22
	s_or_b32 exec_lo, exec_lo, s18
	s_and_saveexec_b32 s18, s17
	s_cbranch_execnz .LBB2_2831
	s_branch .LBB2_2832
.LBB2_3056:                             ;   in Loop: Header=BB2_2373 Depth=3
	s_or_saveexec_b32 s18, s18
	v_mov_b32_e32 v9, 0x7f800001
	s_xor_b32 exec_lo, exec_lo, s18
	s_cbranch_execz .LBB2_2846
.LBB2_3057:                             ;   in Loop: Header=BB2_2373 Depth=3
	v_cmp_ne_u16_sdwa s22, v15, v2 src0_sel:BYTE_1 src1_sel:DWORD
	v_mov_b32_e32 v9, 0
	s_andn2_b32 s17, s17, exec_lo
	s_and_b32 s22, s22, exec_lo
	s_or_b32 s17, s17, s22
	s_or_b32 exec_lo, exec_lo, s18
	s_and_saveexec_b32 s18, s17
	s_cbranch_execnz .LBB2_2847
	s_branch .LBB2_2848
.LBB2_3058:                             ;   in Loop: Header=BB2_2373 Depth=3
	s_or_saveexec_b32 s18, s18
	v_mov_b32_e32 v10, 0x7f800001
	s_xor_b32 exec_lo, exec_lo, s18
	s_cbranch_execz .LBB2_2852
.LBB2_3059:                             ;   in Loop: Header=BB2_2373 Depth=3
	v_cmp_ne_u16_sdwa s22, v11, v2 src0_sel:BYTE_1 src1_sel:DWORD
	v_mov_b32_e32 v10, 0
	s_andn2_b32 s17, s17, exec_lo
	s_and_b32 s22, s22, exec_lo
	s_or_b32 s17, s17, s22
	s_or_b32 exec_lo, exec_lo, s18
	s_and_saveexec_b32 s18, s17
	s_cbranch_execnz .LBB2_2853
	s_branch .LBB2_2854
.LBB2_3060:                             ;   in Loop: Header=BB2_2373 Depth=3
	s_or_saveexec_b32 s18, s18
	v_mov_b32_e32 v9, 0x7f800001
	s_xor_b32 exec_lo, exec_lo, s18
	s_cbranch_execz .LBB2_2860
.LBB2_3061:                             ;   in Loop: Header=BB2_2373 Depth=3
	v_cmp_ne_u16_sdwa s22, v15, v2 src0_sel:BYTE_1 src1_sel:DWORD
	v_mov_b32_e32 v9, 0
	s_andn2_b32 s17, s17, exec_lo
	s_and_b32 s22, s22, exec_lo
	s_or_b32 s17, s17, s22
	s_or_b32 exec_lo, exec_lo, s18
	s_and_saveexec_b32 s18, s17
	s_cbranch_execnz .LBB2_2861
	s_branch .LBB2_2862
.LBB2_3062:                             ;   in Loop: Header=BB2_2373 Depth=3
	s_or_saveexec_b32 s18, s18
	v_mov_b32_e32 v10, 0x7f800001
	s_xor_b32 exec_lo, exec_lo, s18
	s_cbranch_execz .LBB2_2866
.LBB2_3063:                             ;   in Loop: Header=BB2_2373 Depth=3
	v_cmp_ne_u16_sdwa s22, v11, v2 src0_sel:BYTE_1 src1_sel:DWORD
	v_mov_b32_e32 v10, 0
	s_andn2_b32 s17, s17, exec_lo
	s_and_b32 s22, s22, exec_lo
	s_or_b32 s17, s17, s22
	s_or_b32 exec_lo, exec_lo, s18
	s_and_saveexec_b32 s18, s17
	s_cbranch_execnz .LBB2_2867
	s_branch .LBB2_2868
.LBB2_3064:                             ;   in Loop: Header=BB2_2373 Depth=3
	s_or_saveexec_b32 s17, s17
	v_mov_b32_e32 v10, 0x7f800001
	s_xor_b32 exec_lo, exec_lo, s17
	s_cbranch_execz .LBB2_2882
.LBB2_3065:                             ;   in Loop: Header=BB2_2373 Depth=3
	v_cmp_ne_u16_e32 vcc_lo, 0, v9
	v_mov_b32_e32 v10, 0
	s_andn2_b32 s18, s18, exec_lo
	s_and_b32 s22, vcc_lo, exec_lo
	s_or_b32 s18, s18, s22
	s_or_b32 exec_lo, exec_lo, s17
	s_and_saveexec_b32 s17, s18
	s_cbranch_execnz .LBB2_2883
	s_branch .LBB2_2884
.LBB2_3066:                             ;   in Loop: Header=BB2_2373 Depth=3
	s_or_saveexec_b32 s18, s18
	v_mov_b32_e32 v93, 0x7f800001
	s_xor_b32 exec_lo, exec_lo, s18
	s_cbranch_execz .LBB2_2888
.LBB2_3067:                             ;   in Loop: Header=BB2_2373 Depth=3
	v_cmp_ne_u16_e32 vcc_lo, 0, v94
	v_mov_b32_e32 v93, 0
	s_andn2_b32 s17, s17, exec_lo
	s_and_b32 s22, vcc_lo, exec_lo
	s_or_b32 s17, s17, s22
	s_or_b32 exec_lo, exec_lo, s18
	s_and_saveexec_b32 s18, s17
	s_cbranch_execnz .LBB2_2889
	s_branch .LBB2_2890
.LBB2_3068:                             ;   in Loop: Header=BB2_2373 Depth=3
	s_or_saveexec_b32 s18, s18
	v_mov_b32_e32 v10, 0x7f800001
	s_xor_b32 exec_lo, exec_lo, s18
	s_cbranch_execz .LBB2_2896
.LBB2_3069:                             ;   in Loop: Header=BB2_2373 Depth=3
	v_cmp_ne_u16_e32 vcc_lo, 0, v9
	v_mov_b32_e32 v10, 0
	s_andn2_b32 s17, s17, exec_lo
	s_and_b32 s22, vcc_lo, exec_lo
	s_or_b32 s17, s17, s22
	s_or_b32 exec_lo, exec_lo, s18
	s_and_saveexec_b32 s18, s17
	s_cbranch_execnz .LBB2_2897
	s_branch .LBB2_2898
.LBB2_3070:                             ;   in Loop: Header=BB2_2373 Depth=3
	s_or_saveexec_b32 s18, s18
	v_mov_b32_e32 v9, 0x7f800001
	s_xor_b32 exec_lo, exec_lo, s18
	s_cbranch_execz .LBB2_2902
.LBB2_3071:                             ;   in Loop: Header=BB2_2373 Depth=3
	v_cmp_ne_u16_e32 vcc_lo, 0, v93
	v_mov_b32_e32 v9, 0
	s_andn2_b32 s17, s17, exec_lo
	s_and_b32 s22, vcc_lo, exec_lo
	s_or_b32 s17, s17, s22
	s_or_b32 exec_lo, exec_lo, s18
	s_and_saveexec_b32 s18, s17
	s_cbranch_execnz .LBB2_2903
	s_branch .LBB2_2904
.LBB2_3072:                             ;   in Loop: Header=BB2_2373 Depth=3
	s_or_saveexec_b32 s18, s18
	v_mov_b32_e32 v8, 0x7f800001
	s_xor_b32 exec_lo, exec_lo, s18
	s_cbranch_execz .LBB2_2918
.LBB2_3073:                             ;   in Loop: Header=BB2_2373 Depth=3
	v_cmp_ne_u16_sdwa s22, v15, v2 src0_sel:BYTE_3 src1_sel:DWORD
	v_mov_b32_e32 v8, 0
	s_andn2_b32 s17, s17, exec_lo
	s_and_b32 s22, s22, exec_lo
	s_or_b32 s17, s17, s22
	s_or_b32 exec_lo, exec_lo, s18
	s_and_saveexec_b32 s18, s17
	s_cbranch_execnz .LBB2_2919
	s_branch .LBB2_2920
.LBB2_3074:                             ;   in Loop: Header=BB2_2373 Depth=3
	s_or_saveexec_b32 s18, s18
	v_mov_b32_e32 v9, 0x7f800001
	s_xor_b32 exec_lo, exec_lo, s18
	s_cbranch_execz .LBB2_2924
.LBB2_3075:                             ;   in Loop: Header=BB2_2373 Depth=3
	v_cmp_ne_u16_sdwa s22, v11, v2 src0_sel:BYTE_3 src1_sel:DWORD
	v_mov_b32_e32 v9, 0
	s_andn2_b32 s17, s17, exec_lo
	s_and_b32 s22, s22, exec_lo
	s_or_b32 s17, s17, s22
	s_or_b32 exec_lo, exec_lo, s18
	s_and_saveexec_b32 s18, s17
	s_cbranch_execnz .LBB2_2925
	s_branch .LBB2_2926
.LBB2_3076:                             ;   in Loop: Header=BB2_2373 Depth=3
	s_or_saveexec_b32 s18, s18
	v_mov_b32_e32 v95, 0x7f800001
	s_xor_b32 exec_lo, exec_lo, s18
	s_cbranch_execz .LBB2_2932
.LBB2_3077:                             ;   in Loop: Header=BB2_2373 Depth=3
	v_cmp_ne_u16_sdwa s22, v15, v2 src0_sel:BYTE_3 src1_sel:DWORD
	v_mov_b32_e32 v95, 0
	s_andn2_b32 s17, s17, exec_lo
	s_and_b32 s22, s22, exec_lo
	s_or_b32 s17, s17, s22
	s_or_b32 exec_lo, exec_lo, s18
	s_and_saveexec_b32 s18, s17
	s_cbranch_execnz .LBB2_2933
	s_branch .LBB2_2934
.LBB2_3078:                             ;   in Loop: Header=BB2_2373 Depth=3
	s_or_saveexec_b32 s18, s18
	v_mov_b32_e32 v8, 0x7f800001
	s_xor_b32 exec_lo, exec_lo, s18
	s_cbranch_execz .LBB2_2938
.LBB2_3079:                             ;   in Loop: Header=BB2_2373 Depth=3
	v_cmp_ne_u16_sdwa s22, v11, v2 src0_sel:BYTE_3 src1_sel:DWORD
	v_mov_b32_e32 v8, 0
	s_andn2_b32 s17, s17, exec_lo
	s_and_b32 s22, s22, exec_lo
	s_or_b32 s17, s17, s22
	s_or_b32 exec_lo, exec_lo, s18
	s_and_saveexec_b32 s18, s17
	s_cbranch_execnz .LBB2_2939
	s_branch .LBB2_2940
.LBB2_3080:                             ;   in Loop: Header=BB2_2295 Depth=2
	s_or_b32 exec_lo, exec_lo, s73
.LBB2_3081:                             ;   in Loop: Header=BB2_2295 Depth=2
	s_or_b32 exec_lo, exec_lo, s19
	v_and_b32_e32 v8, 15, v55
	v_mov_b32_e32 v70, 0
	s_mov_b32 s17, 0
	s_mov_b32 s19, exec_lo
                                        ; implicit-def: $vgpr71
                                        ; implicit-def: $vgpr80
	v_cndmask_b32_e64 v59, v60, v8, s16
	v_cmpx_ne_u32_e32 0, v59
	s_cbranch_execz .LBB2_3793
; %bb.3082:                             ;   in Loop: Header=BB2_2295 Depth=2
	v_cmp_lt_i32_e32 vcc_lo, 0, v61
	v_ashrrev_i32_e32 v11, 31, v59
	s_mov_b32 s73, exec_lo
	v_cndmask_b32_e32 v9, 0, v87, vcc_lo
	v_lshrrev_b32_e32 v11, 23, v11
	v_sub_nc_u32_e32 v9, v9, v61
	v_add_nc_u32_e32 v11, v59, v11
	v_lshl_or_b32 v9, v9, 5, v96
	v_and_b32_e32 v62, 0xfffffe00, v11
	v_ashrrev_i32_e32 v11, 9, v11
	v_ashrrev_i32_e32 v10, 31, v9
	v_lshrrev_b32_e32 v10, 27, v10
	v_add_nc_u32_e32 v10, v9, v10
	v_and_b32_e32 v12, 0xffffffe0, v10
	v_sub_nc_u32_e32 v61, v9, v12
	v_ashrrev_i32_e32 v9, 5, v10
	v_sub_nc_u32_e32 v12, v60, v8
	v_sub_nc_u32_e32 v60, v59, v62
	v_lshlrev_b32_e32 v10, 4, v61
	v_lshl_add_u32 v8, v9, 9, v10
	v_cndmask_b32_e64 v10, 0, v12, s16
	v_cmp_lt_i32_e64 s16, 15, v60
	v_sub_nc_u32_e32 v72, v59, v8
	v_add_nc_u32_e32 v58, v10, v58
	v_add_co_ci_u32_e64 v11, null, 0, v11, s16
	v_sub_nc_u32_e32 v63, v11, v9
	v_cmpx_lt_i32_e32 15, v72
	s_cbranch_execz .LBB2_3792
; %bb.3083:                             ;   in Loop: Header=BB2_2295 Depth=2
	s_trap 2
	ds_read_b64 v[9:10], v0
	v_add_nc_u32_e32 v8, v8, v58
	s_bitcmp1_b32 s72, 0
	s_mov_b32 s74, 0
	s_cselect_b32 s75, -1, 0
	v_ashrrev_i32_e32 v11, 31, v8
	v_add_co_u32 v73, vcc_lo, v8, v66
	v_add_co_ci_u32_e64 v74, null, v11, v67, vcc_lo
	v_add_co_u32 v75, vcc_lo, v8, v68
	v_add_co_ci_u32_e64 v76, null, v11, v69, vcc_lo
	;; [unrolled: 2-line block ×3, first 2 shown]
	s_waitcnt lgkmcnt(0)
	v_add_co_u32 v80, vcc_lo, v9, v8
	v_add_co_ci_u32_e64 v81, null, v10, v11, vcc_lo
.LBB2_3084:                             ;   Parent Loop BB2_47 Depth=1
                                        ;     Parent Loop BB2_2295 Depth=2
                                        ; =>    This Loop Header: Depth=3
                                        ;         Child Loop BB2_3661 Depth 4
	global_load_dwordx4 v[8:11], v[80:81], off slc
	global_load_dwordx4 v[12:15], v[70:71], off slc
	s_mov_b32 s17, -1
	s_waitcnt vmcnt(1)
	v_and_b32_e32 v77, 7, v8
	v_bfe_u32 v88, v8, 3, 4
	v_lshlrev_b32_e32 v89, 24, v8
	s_waitcnt vmcnt(0)
	v_cmp_gt_i16_sdwa s18, v12, v102 src0_sel:BYTE_0 src1_sel:DWORD
	v_ffbh_u32_e32 v78, v77
	v_cmp_eq_u32_e32 vcc_lo, 0, v88
	v_min_u32_e32 v78, 32, v78
	v_subrev_nc_u32_e32 v79, 28, v78
	v_sub_nc_u32_e32 v78, 29, v78
	v_lshlrev_b32_e32 v79, v79, v8
	v_cndmask_b32_e32 v78, v88, v78, vcc_lo
	v_and_b32_e32 v79, 7, v79
	v_lshl_add_u32 v78, v78, 23, 0x3b800000
	v_cndmask_b32_e32 v77, v77, v79, vcc_lo
	v_and_b32_e32 v79, 0x80000000, v89
	s_and_b32 vcc_lo, exec_lo, s75
	v_lshlrev_b32_e32 v77, 20, v77
	v_or3_b32 v77, v79, v78, v77
                                        ; implicit-def: $vgpr78
	s_cbranch_vccz .LBB2_3098
; %bb.3085:                             ;   in Loop: Header=BB2_3084 Depth=3
	s_mov_b32 s17, 0
	s_and_saveexec_b32 s22, s18
	s_xor_b32 s18, exec_lo, s22
	s_cbranch_execz .LBB2_3663
; %bb.3086:                             ;   in Loop: Header=BB2_3084 Depth=3
	v_cmp_eq_u16_sdwa s23, v12, v103 src0_sel:BYTE_0 src1_sel:DWORD
	s_mov_b32 s17, -1
	s_and_saveexec_b32 s22, s23
; %bb.3087:                             ;   in Loop: Header=BB2_3084 Depth=3
	s_xor_b32 s17, exec_lo, -1
; %bb.3088:                             ;   in Loop: Header=BB2_3084 Depth=3
	s_or_b32 exec_lo, exec_lo, s22
	s_and_b32 s17, s17, exec_lo
	s_or_saveexec_b32 s18, s18
	v_mov_b32_e32 v78, 0x7f800001
	s_xor_b32 exec_lo, exec_lo, s18
	s_cbranch_execnz .LBB2_3664
.LBB2_3089:                             ;   in Loop: Header=BB2_3084 Depth=3
	s_or_b32 exec_lo, exec_lo, s18
	s_and_saveexec_b32 s18, s17
	s_cbranch_execz .LBB2_3091
.LBB2_3090:                             ;   in Loop: Header=BB2_3084 Depth=3
	v_and_b32_e32 v78, 7, v12
	v_bfe_u32 v89, v12, 3, 4
	v_lshlrev_b32_e32 v90, 24, v12
	v_ffbh_u32_e32 v79, v78
	v_cmp_eq_u32_e32 vcc_lo, 0, v89
	v_min_u32_e32 v79, 32, v79
	v_subrev_nc_u32_e32 v88, 28, v79
	v_sub_nc_u32_e32 v79, 29, v79
	v_lshlrev_b32_e32 v88, v88, v12
	v_cndmask_b32_e32 v79, v89, v79, vcc_lo
	v_and_b32_e32 v88, 7, v88
	v_lshl_add_u32 v79, v79, 23, 0x3b800000
	v_cndmask_b32_e32 v78, v78, v88, vcc_lo
	v_and_b32_e32 v88, 0x80000000, v90
	v_lshlrev_b32_e32 v78, 20, v78
	v_or3_b32 v78, v88, v79, v78
.LBB2_3091:                             ;   in Loop: Header=BB2_3084 Depth=3
	s_or_b32 exec_lo, exec_lo, s18
	v_cmp_gt_i16_sdwa s18, v8, v102 src0_sel:BYTE_0 src1_sel:DWORD
	s_mov_b32 s17, 0
	s_and_saveexec_b32 s22, s18
	s_xor_b32 s18, exec_lo, s22
	s_cbranch_execz .LBB2_3665
; %bb.3092:                             ;   in Loop: Header=BB2_3084 Depth=3
	v_cmp_eq_u16_sdwa s23, v8, v103 src0_sel:BYTE_0 src1_sel:DWORD
	s_mov_b32 s17, -1
	s_and_saveexec_b32 s22, s23
; %bb.3093:                             ;   in Loop: Header=BB2_3084 Depth=3
	s_xor_b32 s17, exec_lo, -1
; %bb.3094:                             ;   in Loop: Header=BB2_3084 Depth=3
	s_or_b32 exec_lo, exec_lo, s22
	s_and_b32 s17, s17, exec_lo
	s_or_saveexec_b32 s18, s18
	v_mov_b32_e32 v79, 0x7f800001
	s_xor_b32 exec_lo, exec_lo, s18
	s_cbranch_execnz .LBB2_3666
.LBB2_3095:                             ;   in Loop: Header=BB2_3084 Depth=3
	s_or_b32 exec_lo, exec_lo, s18
	s_and_saveexec_b32 s18, s17
.LBB2_3096:                             ;   in Loop: Header=BB2_3084 Depth=3
	v_mov_b32_e32 v79, v77
.LBB2_3097:                             ;   in Loop: Header=BB2_3084 Depth=3
	s_or_b32 exec_lo, exec_lo, s18
	v_max_f32_e32 v79, v79, v79
	v_max_f32_e32 v78, v78, v78
	s_mov_b32 s17, 0
	v_max_f32_e32 v78, v78, v79
.LBB2_3098:                             ;   in Loop: Header=BB2_3084 Depth=3
	s_and_b32 vcc_lo, exec_lo, s17
	s_cbranch_vccz .LBB2_3112
; %bb.3099:                             ;   in Loop: Header=BB2_3084 Depth=3
	v_cmp_gt_i16_sdwa s18, v12, v102 src0_sel:BYTE_0 src1_sel:DWORD
	s_mov_b32 s17, 0
	s_and_saveexec_b32 s22, s18
	s_xor_b32 s18, exec_lo, s22
	s_cbranch_execz .LBB2_3667
; %bb.3100:                             ;   in Loop: Header=BB2_3084 Depth=3
	v_cmp_eq_u16_sdwa s23, v12, v103 src0_sel:BYTE_0 src1_sel:DWORD
	s_mov_b32 s17, -1
	s_and_saveexec_b32 s22, s23
; %bb.3101:                             ;   in Loop: Header=BB2_3084 Depth=3
	s_xor_b32 s17, exec_lo, -1
; %bb.3102:                             ;   in Loop: Header=BB2_3084 Depth=3
	s_or_b32 exec_lo, exec_lo, s22
	s_and_b32 s17, s17, exec_lo
	s_or_saveexec_b32 s18, s18
	v_mov_b32_e32 v78, 0x7f800001
	s_xor_b32 exec_lo, exec_lo, s18
	s_cbranch_execnz .LBB2_3668
.LBB2_3103:                             ;   in Loop: Header=BB2_3084 Depth=3
	s_or_b32 exec_lo, exec_lo, s18
	s_and_saveexec_b32 s18, s17
	s_cbranch_execz .LBB2_3105
.LBB2_3104:                             ;   in Loop: Header=BB2_3084 Depth=3
	v_and_b32_e32 v78, 7, v12
	v_bfe_u32 v89, v12, 3, 4
	v_lshlrev_b32_e32 v90, 24, v12
	v_ffbh_u32_e32 v79, v78
	v_cmp_eq_u32_e32 vcc_lo, 0, v89
	v_min_u32_e32 v79, 32, v79
	v_subrev_nc_u32_e32 v88, 28, v79
	v_sub_nc_u32_e32 v79, 29, v79
	v_lshlrev_b32_e32 v88, v88, v12
	v_cndmask_b32_e32 v79, v89, v79, vcc_lo
	v_and_b32_e32 v88, 7, v88
	v_lshl_add_u32 v79, v79, 23, 0x3b800000
	v_cndmask_b32_e32 v78, v78, v88, vcc_lo
	v_and_b32_e32 v88, 0x80000000, v90
	v_lshlrev_b32_e32 v78, 20, v78
	v_or3_b32 v78, v88, v79, v78
.LBB2_3105:                             ;   in Loop: Header=BB2_3084 Depth=3
	s_or_b32 exec_lo, exec_lo, s18
	v_cmp_gt_i16_sdwa s18, v8, v102 src0_sel:BYTE_0 src1_sel:DWORD
	s_mov_b32 s17, 0
	s_and_saveexec_b32 s22, s18
	s_xor_b32 s18, exec_lo, s22
	s_cbranch_execz .LBB2_3669
; %bb.3106:                             ;   in Loop: Header=BB2_3084 Depth=3
	v_cmp_eq_u16_sdwa s23, v8, v103 src0_sel:BYTE_0 src1_sel:DWORD
	s_mov_b32 s17, -1
	s_and_saveexec_b32 s22, s23
; %bb.3107:                             ;   in Loop: Header=BB2_3084 Depth=3
	s_xor_b32 s17, exec_lo, -1
; %bb.3108:                             ;   in Loop: Header=BB2_3084 Depth=3
	s_or_b32 exec_lo, exec_lo, s22
	s_and_b32 s17, s17, exec_lo
	s_or_saveexec_b32 s18, s18
	v_mov_b32_e32 v79, 0x7f800001
	s_xor_b32 exec_lo, exec_lo, s18
	s_cbranch_execnz .LBB2_3670
.LBB2_3109:                             ;   in Loop: Header=BB2_3084 Depth=3
	s_or_b32 exec_lo, exec_lo, s18
	s_and_saveexec_b32 s18, s17
.LBB2_3110:                             ;   in Loop: Header=BB2_3084 Depth=3
	v_mov_b32_e32 v79, v77
.LBB2_3111:                             ;   in Loop: Header=BB2_3084 Depth=3
	s_or_b32 exec_lo, exec_lo, s18
	v_max_f32_e32 v77, v79, v79
	v_max_f32_e32 v78, v78, v78
	v_min_f32_e32 v78, v78, v77
.LBB2_3112:                             ;   in Loop: Header=BB2_3084 Depth=3
	v_and_b32_e32 v77, 0x7f800000, v78
	v_cmp_ne_u32_e32 vcc_lo, 0x7f800000, v77
	v_mov_b32_e32 v77, 0x80
	s_and_saveexec_b32 s18, vcc_lo
	s_cbranch_execz .LBB2_3120
; %bb.3113:                             ;   in Loop: Header=BB2_3084 Depth=3
	v_mov_b32_e32 v77, 0
	s_mov_b32 s22, exec_lo
	v_cmpx_ne_u32_e32 0, v78
	s_cbranch_execz .LBB2_3119
; %bb.3114:                             ;   in Loop: Header=BB2_3084 Depth=3
	v_bfe_u32 v77, v78, 23, 8
	v_and_b32_e32 v79, 0x7fffff, v78
	v_sub_nc_u32_e32 v88, 0x78, v77
	v_cmp_gt_u32_e32 vcc_lo, 0x79, v77
	v_or_b32_e32 v89, 0x800000, v79
	v_cndmask_b32_e32 v88, 0, v88, vcc_lo
	v_cmp_eq_u32_e32 vcc_lo, 0, v77
	v_add_nc_u32_e32 v77, 0xffffff89, v77
	v_cndmask_b32_e64 v88, v88, 0x77, vcc_lo
	v_cndmask_b32_e32 v79, v89, v79, vcc_lo
	v_cndmask_b32_e64 v77, v77, 0xffffff8a, vcc_lo
	v_lshl_add_u32 v89, 0x100000, v88, -1
	v_lshrrev_b32_e32 v90, v88, v79
	v_lshlrev_b32_e64 v92, v88, 0x80000
	v_add_nc_u32_e32 v88, v88, v77
	v_and_b32_e32 v79, v89, v79
	v_bfe_u32 v91, v90, 20, 1
	v_cmp_eq_u32_e64 s17, v79, v92
	v_add_nc_u32_e32 v89, -1, v91
	v_cndmask_b32_e64 v79, 0, v89, s17
	v_lshrrev_b32_e32 v89, 23, v90
	s_mov_b32 s17, exec_lo
	v_add_nc_u32_e32 v79, v79, v90
	v_xor_b32_e32 v89, 1, v89
	v_and_b32_e32 v77, 0xfffff, v79
	v_add_nc_u32_e32 v79, v77, v90
                                        ; implicit-def: $vgpr77
	v_cmpx_ne_u32_e64 v88, v89
	s_xor_b32 s17, exec_lo, s17
; %bb.3115:                             ;   in Loop: Header=BB2_3084 Depth=3
	v_cmp_lt_u32_e32 vcc_lo, 0xffffff, v79
	v_sub_nc_u32_e32 v77, v88, v89
	v_cndmask_b32_e64 v88, 0, 1, vcc_lo
	v_add_co_ci_u32_e64 v77, null, 0, v77, vcc_lo
	v_lshrrev_b32_e32 v79, v88, v79
; %bb.3116:                             ;   in Loop: Header=BB2_3084 Depth=3
	s_andn2_saveexec_b32 s17, s17
; %bb.3117:                             ;   in Loop: Header=BB2_3084 Depth=3
	v_bfe_u32 v77, v79, 23, 1
; %bb.3118:                             ;   in Loop: Header=BB2_3084 Depth=3
	s_or_b32 exec_lo, exec_lo, s17
	v_lshrrev_b32_e32 v79, 20, v79
	v_min_i32_e32 v88, 15, v77
	v_cmp_gt_i32_e32 vcc_lo, 16, v77
	v_and_b32_sdwa v78, v78, v103 dst_sel:DWORD dst_unused:UNUSED_PAD src0_sel:BYTE_3 src1_sel:DWORD
	v_lshlrev_b32_e32 v88, 3, v88
	v_cndmask_b32_e32 v79, 7, v79, vcc_lo
	v_and_b32_e32 v88, 0xf8, v88
	v_and_b32_e32 v89, 7, v79
	v_or_b32_e32 v77, v77, v79
	v_or3_b32 v78, v88, v78, v89
	v_cmp_ne_u32_e32 vcc_lo, 0, v77
	v_cndmask_b32_e32 v77, 0, v78, vcc_lo
.LBB2_3119:                             ;   in Loop: Header=BB2_3084 Depth=3
	s_or_b32 exec_lo, exec_lo, s22
.LBB2_3120:                             ;   in Loop: Header=BB2_3084 Depth=3
	s_or_b32 exec_lo, exec_lo, s18
	v_and_b32_sdwa v78, v112, v8 dst_sel:DWORD dst_unused:UNUSED_PAD src0_sel:DWORD src1_sel:BYTE_1
	v_cmp_gt_i16_sdwa s18, v12, v102 src0_sel:BYTE_1 src1_sel:DWORD
	s_mov_b32 s17, -1
	v_and_b32_e32 v79, 7, v78
	v_bfe_u32 v90, v78, 3, 4
	v_ffbh_u32_e32 v88, v79
	v_cmp_eq_u32_e32 vcc_lo, 0, v90
	v_min_u32_e32 v88, 32, v88
	v_subrev_nc_u32_e32 v89, 28, v88
	v_sub_nc_u32_e32 v88, 29, v88
	v_lshlrev_b32_e32 v78, v89, v78
	v_lshlrev_b32_sdwa v89, v113, v8 dst_sel:DWORD dst_unused:UNUSED_PAD src0_sel:DWORD src1_sel:BYTE_1
	v_cndmask_b32_e32 v88, v90, v88, vcc_lo
	v_and_b32_e32 v78, 7, v78
	v_lshl_add_u32 v88, v88, 23, 0x3b800000
	v_cndmask_b32_e32 v78, v79, v78, vcc_lo
	v_and_b32_e32 v79, 0x80000000, v89
	s_and_b32 vcc_lo, exec_lo, s75
	v_lshlrev_b32_e32 v78, 20, v78
	v_or3_b32 v78, v79, v88, v78
                                        ; implicit-def: $vgpr79
	s_cbranch_vccz .LBB2_3134
; %bb.3121:                             ;   in Loop: Header=BB2_3084 Depth=3
	s_mov_b32 s17, 0
	s_and_saveexec_b32 s22, s18
	s_xor_b32 s18, exec_lo, s22
	s_cbranch_execz .LBB2_3671
; %bb.3122:                             ;   in Loop: Header=BB2_3084 Depth=3
	v_cmp_eq_u16_sdwa s23, v12, v103 src0_sel:BYTE_1 src1_sel:DWORD
	s_mov_b32 s17, -1
	s_and_saveexec_b32 s22, s23
; %bb.3123:                             ;   in Loop: Header=BB2_3084 Depth=3
	s_xor_b32 s17, exec_lo, -1
; %bb.3124:                             ;   in Loop: Header=BB2_3084 Depth=3
	s_or_b32 exec_lo, exec_lo, s22
	s_and_b32 s17, s17, exec_lo
	s_or_saveexec_b32 s18, s18
	v_mov_b32_e32 v79, 0x7f800001
	s_xor_b32 exec_lo, exec_lo, s18
	s_cbranch_execnz .LBB2_3672
.LBB2_3125:                             ;   in Loop: Header=BB2_3084 Depth=3
	s_or_b32 exec_lo, exec_lo, s18
	s_and_saveexec_b32 s18, s17
	s_cbranch_execz .LBB2_3127
.LBB2_3126:                             ;   in Loop: Header=BB2_3084 Depth=3
	v_and_b32_sdwa v79, v112, v12 dst_sel:DWORD dst_unused:UNUSED_PAD src0_sel:DWORD src1_sel:BYTE_1
	v_and_b32_e32 v88, 7, v79
	v_bfe_u32 v91, v79, 3, 4
	v_ffbh_u32_e32 v89, v88
	v_cmp_eq_u32_e32 vcc_lo, 0, v91
	v_min_u32_e32 v89, 32, v89
	v_subrev_nc_u32_e32 v90, 28, v89
	v_sub_nc_u32_e32 v89, 29, v89
	v_lshlrev_b32_e32 v79, v90, v79
	v_lshlrev_b32_e32 v90, 16, v12
	v_cndmask_b32_e32 v89, v91, v89, vcc_lo
	v_and_b32_e32 v79, 7, v79
	v_lshl_add_u32 v89, v89, 23, 0x3b800000
	v_cndmask_b32_e32 v79, v88, v79, vcc_lo
	v_and_b32_e32 v88, 0x80000000, v90
	v_lshlrev_b32_e32 v79, 20, v79
	v_or3_b32 v79, v88, v89, v79
.LBB2_3127:                             ;   in Loop: Header=BB2_3084 Depth=3
	s_or_b32 exec_lo, exec_lo, s18
	v_cmp_gt_i16_sdwa s18, v8, v102 src0_sel:BYTE_1 src1_sel:DWORD
	s_mov_b32 s17, 0
	s_and_saveexec_b32 s22, s18
	s_xor_b32 s18, exec_lo, s22
	s_cbranch_execz .LBB2_3673
; %bb.3128:                             ;   in Loop: Header=BB2_3084 Depth=3
	v_cmp_eq_u16_sdwa s23, v8, v103 src0_sel:BYTE_1 src1_sel:DWORD
	s_mov_b32 s17, -1
	s_and_saveexec_b32 s22, s23
; %bb.3129:                             ;   in Loop: Header=BB2_3084 Depth=3
	s_xor_b32 s17, exec_lo, -1
; %bb.3130:                             ;   in Loop: Header=BB2_3084 Depth=3
	s_or_b32 exec_lo, exec_lo, s22
	s_and_b32 s17, s17, exec_lo
	s_or_saveexec_b32 s18, s18
	v_mov_b32_e32 v88, 0x7f800001
	s_xor_b32 exec_lo, exec_lo, s18
	s_cbranch_execnz .LBB2_3674
.LBB2_3131:                             ;   in Loop: Header=BB2_3084 Depth=3
	s_or_b32 exec_lo, exec_lo, s18
	s_and_saveexec_b32 s18, s17
.LBB2_3132:                             ;   in Loop: Header=BB2_3084 Depth=3
	v_mov_b32_e32 v88, v78
.LBB2_3133:                             ;   in Loop: Header=BB2_3084 Depth=3
	s_or_b32 exec_lo, exec_lo, s18
	v_max_f32_e32 v88, v88, v88
	v_max_f32_e32 v79, v79, v79
	s_mov_b32 s17, 0
	v_max_f32_e32 v79, v79, v88
.LBB2_3134:                             ;   in Loop: Header=BB2_3084 Depth=3
	s_and_b32 vcc_lo, exec_lo, s17
	s_cbranch_vccz .LBB2_3148
; %bb.3135:                             ;   in Loop: Header=BB2_3084 Depth=3
	v_cmp_gt_i16_sdwa s18, v12, v102 src0_sel:BYTE_1 src1_sel:DWORD
	s_mov_b32 s17, 0
	s_and_saveexec_b32 s22, s18
	s_xor_b32 s18, exec_lo, s22
	s_cbranch_execz .LBB2_3675
; %bb.3136:                             ;   in Loop: Header=BB2_3084 Depth=3
	v_cmp_eq_u16_sdwa s23, v12, v103 src0_sel:BYTE_1 src1_sel:DWORD
	s_mov_b32 s17, -1
	s_and_saveexec_b32 s22, s23
; %bb.3137:                             ;   in Loop: Header=BB2_3084 Depth=3
	s_xor_b32 s17, exec_lo, -1
; %bb.3138:                             ;   in Loop: Header=BB2_3084 Depth=3
	s_or_b32 exec_lo, exec_lo, s22
	s_and_b32 s17, s17, exec_lo
	s_or_saveexec_b32 s18, s18
	v_mov_b32_e32 v79, 0x7f800001
	s_xor_b32 exec_lo, exec_lo, s18
	s_cbranch_execnz .LBB2_3676
.LBB2_3139:                             ;   in Loop: Header=BB2_3084 Depth=3
	s_or_b32 exec_lo, exec_lo, s18
	s_and_saveexec_b32 s18, s17
	s_cbranch_execz .LBB2_3141
.LBB2_3140:                             ;   in Loop: Header=BB2_3084 Depth=3
	v_and_b32_sdwa v79, v112, v12 dst_sel:DWORD dst_unused:UNUSED_PAD src0_sel:DWORD src1_sel:BYTE_1
	v_and_b32_e32 v88, 7, v79
	v_bfe_u32 v91, v79, 3, 4
	v_ffbh_u32_e32 v89, v88
	v_cmp_eq_u32_e32 vcc_lo, 0, v91
	v_min_u32_e32 v89, 32, v89
	v_subrev_nc_u32_e32 v90, 28, v89
	v_sub_nc_u32_e32 v89, 29, v89
	v_lshlrev_b32_e32 v79, v90, v79
	v_lshlrev_b32_e32 v90, 16, v12
	v_cndmask_b32_e32 v89, v91, v89, vcc_lo
	v_and_b32_e32 v79, 7, v79
	v_lshl_add_u32 v89, v89, 23, 0x3b800000
	v_cndmask_b32_e32 v79, v88, v79, vcc_lo
	v_and_b32_e32 v88, 0x80000000, v90
	v_lshlrev_b32_e32 v79, 20, v79
	v_or3_b32 v79, v88, v89, v79
.LBB2_3141:                             ;   in Loop: Header=BB2_3084 Depth=3
	s_or_b32 exec_lo, exec_lo, s18
	v_cmp_gt_i16_sdwa s18, v8, v102 src0_sel:BYTE_1 src1_sel:DWORD
	s_mov_b32 s17, 0
	s_and_saveexec_b32 s22, s18
	s_xor_b32 s18, exec_lo, s22
	s_cbranch_execz .LBB2_3677
; %bb.3142:                             ;   in Loop: Header=BB2_3084 Depth=3
	v_cmp_eq_u16_sdwa s23, v8, v103 src0_sel:BYTE_1 src1_sel:DWORD
	s_mov_b32 s17, -1
	s_and_saveexec_b32 s22, s23
; %bb.3143:                             ;   in Loop: Header=BB2_3084 Depth=3
	s_xor_b32 s17, exec_lo, -1
; %bb.3144:                             ;   in Loop: Header=BB2_3084 Depth=3
	s_or_b32 exec_lo, exec_lo, s22
	s_and_b32 s17, s17, exec_lo
	s_or_saveexec_b32 s18, s18
	v_mov_b32_e32 v88, 0x7f800001
	s_xor_b32 exec_lo, exec_lo, s18
	s_cbranch_execnz .LBB2_3678
.LBB2_3145:                             ;   in Loop: Header=BB2_3084 Depth=3
	s_or_b32 exec_lo, exec_lo, s18
	s_and_saveexec_b32 s18, s17
.LBB2_3146:                             ;   in Loop: Header=BB2_3084 Depth=3
	v_mov_b32_e32 v88, v78
.LBB2_3147:                             ;   in Loop: Header=BB2_3084 Depth=3
	s_or_b32 exec_lo, exec_lo, s18
	v_max_f32_e32 v78, v88, v88
	v_max_f32_e32 v79, v79, v79
	v_min_f32_e32 v79, v79, v78
.LBB2_3148:                             ;   in Loop: Header=BB2_3084 Depth=3
	v_and_b32_e32 v78, 0x7f800000, v79
	v_cmp_ne_u32_e32 vcc_lo, 0x7f800000, v78
	v_mov_b32_e32 v78, 0x8000
	s_and_saveexec_b32 s18, vcc_lo
	s_cbranch_execz .LBB2_3156
; %bb.3149:                             ;   in Loop: Header=BB2_3084 Depth=3
	v_mov_b32_e32 v78, 0
	s_mov_b32 s22, exec_lo
	v_cmpx_ne_u32_e32 0, v79
	s_cbranch_execz .LBB2_3155
; %bb.3150:                             ;   in Loop: Header=BB2_3084 Depth=3
	v_bfe_u32 v78, v79, 23, 8
	v_and_b32_e32 v88, 0x7fffff, v79
	v_sub_nc_u32_e32 v89, 0x78, v78
	v_cmp_gt_u32_e32 vcc_lo, 0x79, v78
	v_or_b32_e32 v90, 0x800000, v88
	v_cndmask_b32_e32 v89, 0, v89, vcc_lo
	v_cmp_eq_u32_e32 vcc_lo, 0, v78
	v_add_nc_u32_e32 v78, 0xffffff89, v78
	v_cndmask_b32_e64 v89, v89, 0x77, vcc_lo
	v_cndmask_b32_e32 v88, v90, v88, vcc_lo
	v_cndmask_b32_e64 v78, v78, 0xffffff8a, vcc_lo
	v_lshl_add_u32 v90, 0x100000, v89, -1
	v_lshrrev_b32_e32 v91, v89, v88
	v_lshlrev_b32_e64 v93, v89, 0x80000
	v_add_nc_u32_e32 v89, v89, v78
	v_and_b32_e32 v88, v90, v88
	v_bfe_u32 v92, v91, 20, 1
	v_cmp_eq_u32_e64 s17, v88, v93
	v_add_nc_u32_e32 v90, -1, v92
	v_cndmask_b32_e64 v88, 0, v90, s17
	v_lshrrev_b32_e32 v90, 23, v91
	s_mov_b32 s17, exec_lo
	v_add_nc_u32_e32 v88, v88, v91
	v_xor_b32_e32 v90, 1, v90
	v_and_b32_e32 v78, 0xfffff, v88
	v_add_nc_u32_e32 v88, v78, v91
                                        ; implicit-def: $vgpr78
	v_cmpx_ne_u32_e64 v89, v90
	s_xor_b32 s17, exec_lo, s17
; %bb.3151:                             ;   in Loop: Header=BB2_3084 Depth=3
	v_cmp_lt_u32_e32 vcc_lo, 0xffffff, v88
	v_sub_nc_u32_e32 v78, v89, v90
	v_cndmask_b32_e64 v89, 0, 1, vcc_lo
	v_add_co_ci_u32_e64 v78, null, 0, v78, vcc_lo
	v_lshrrev_b32_e32 v88, v89, v88
; %bb.3152:                             ;   in Loop: Header=BB2_3084 Depth=3
	s_andn2_saveexec_b32 s17, s17
; %bb.3153:                             ;   in Loop: Header=BB2_3084 Depth=3
	v_bfe_u32 v78, v88, 23, 1
; %bb.3154:                             ;   in Loop: Header=BB2_3084 Depth=3
	s_or_b32 exec_lo, exec_lo, s17
	v_lshrrev_b32_e32 v88, 20, v88
	v_min_i32_e32 v89, 15, v78
	v_cmp_gt_i32_e32 vcc_lo, 16, v78
	v_and_b32_sdwa v79, v79, v103 dst_sel:DWORD dst_unused:UNUSED_PAD src0_sel:BYTE_3 src1_sel:DWORD
	v_lshlrev_b32_e32 v89, 3, v89
	v_cndmask_b32_e32 v88, 7, v88, vcc_lo
	v_and_b32_e32 v89, 0xf8, v89
	v_and_b32_e32 v90, 7, v88
	v_or_b32_e32 v78, v78, v88
	v_or3_b32 v79, v79, v89, v90
	v_cmp_ne_u32_e32 vcc_lo, 0, v78
	v_lshlrev_b32_e32 v79, 8, v79
	v_cndmask_b32_e32 v78, 0, v79, vcc_lo
.LBB2_3155:                             ;   in Loop: Header=BB2_3084 Depth=3
	s_or_b32 exec_lo, exec_lo, s22
.LBB2_3156:                             ;   in Loop: Header=BB2_3084 Depth=3
	s_or_b32 exec_lo, exec_lo, s18
	v_bfe_u32 v79, v8, 16, 3
	v_bfe_u32 v90, v8, 19, 4
	v_lshlrev_b32_e32 v91, 8, v8
	s_mov_b32 s18, -1
	v_ffbh_u32_e32 v88, v79
	v_cmp_eq_u32_e32 vcc_lo, 0, v90
	v_min_u32_e32 v88, 32, v88
	v_subrev_nc_u32_e32 v89, 28, v88
	v_sub_nc_u32_e32 v88, 29, v88
	v_lshlrev_b32_sdwa v89, v89, v8 dst_sel:DWORD dst_unused:UNUSED_PAD src0_sel:DWORD src1_sel:WORD_1
	v_cndmask_b32_e32 v88, v90, v88, vcc_lo
	v_and_b32_e32 v89, 7, v89
	v_lshl_add_u32 v90, v88, 23, 0x3b800000
	v_and_b32_sdwa v88, v12, v114 dst_sel:DWORD dst_unused:UNUSED_PAD src0_sel:WORD_1 src1_sel:DWORD
	v_cndmask_b32_e32 v79, v79, v89, vcc_lo
	v_and_b32_e32 v89, 0x80000000, v91
	v_cmp_lt_i16_e64 s17, 0x7f, v88
	s_and_b32 vcc_lo, exec_lo, s75
	v_lshlrev_b32_e32 v79, 20, v79
	v_or3_b32 v79, v89, v90, v79
                                        ; implicit-def: $vgpr89
	s_cbranch_vccz .LBB2_3170
; %bb.3157:                             ;   in Loop: Header=BB2_3084 Depth=3
	s_mov_b32 s18, 0
	s_and_saveexec_b32 s22, s17
	s_xor_b32 s17, exec_lo, s22
	s_cbranch_execz .LBB2_3679
; %bb.3158:                             ;   in Loop: Header=BB2_3084 Depth=3
	s_mov_b32 s18, -1
	s_mov_b32 s22, exec_lo
	v_cmpx_eq_u16_e32 0x80, v88
; %bb.3159:                             ;   in Loop: Header=BB2_3084 Depth=3
	s_xor_b32 s18, exec_lo, -1
; %bb.3160:                             ;   in Loop: Header=BB2_3084 Depth=3
	s_or_b32 exec_lo, exec_lo, s22
	s_and_b32 s18, s18, exec_lo
	s_or_saveexec_b32 s17, s17
	v_mov_b32_e32 v89, 0x7f800001
	s_xor_b32 exec_lo, exec_lo, s17
	s_cbranch_execnz .LBB2_3680
.LBB2_3161:                             ;   in Loop: Header=BB2_3084 Depth=3
	s_or_b32 exec_lo, exec_lo, s17
	s_and_saveexec_b32 s17, s18
	s_cbranch_execz .LBB2_3163
.LBB2_3162:                             ;   in Loop: Header=BB2_3084 Depth=3
	v_bfe_u32 v89, v12, 16, 3
	v_bfe_u32 v92, v12, 19, 4
	v_lshlrev_b32_sdwa v93, v113, v12 dst_sel:DWORD dst_unused:UNUSED_PAD src0_sel:DWORD src1_sel:WORD_1
	v_ffbh_u32_e32 v90, v89
	v_cmp_eq_u32_e32 vcc_lo, 0, v92
	v_min_u32_e32 v90, 32, v90
	v_subrev_nc_u32_e32 v91, 28, v90
	v_sub_nc_u32_e32 v90, 29, v90
	v_lshlrev_b32_sdwa v91, v91, v12 dst_sel:DWORD dst_unused:UNUSED_PAD src0_sel:DWORD src1_sel:WORD_1
	v_cndmask_b32_e32 v90, v92, v90, vcc_lo
	v_and_b32_e32 v91, 7, v91
	v_lshl_add_u32 v90, v90, 23, 0x3b800000
	v_cndmask_b32_e32 v89, v89, v91, vcc_lo
	v_and_b32_e32 v91, 0x80000000, v93
	v_lshlrev_b32_e32 v89, 20, v89
	v_or3_b32 v89, v91, v90, v89
.LBB2_3163:                             ;   in Loop: Header=BB2_3084 Depth=3
	s_or_b32 exec_lo, exec_lo, s17
	v_and_b32_sdwa v91, v8, v114 dst_sel:DWORD dst_unused:UNUSED_PAD src0_sel:WORD_1 src1_sel:DWORD
	s_mov_b32 s17, 0
	s_mov_b32 s18, exec_lo
	v_cmpx_lt_i16_e32 0x7f, v91
	s_xor_b32 s18, exec_lo, s18
	s_cbranch_execz .LBB2_3681
; %bb.3164:                             ;   in Loop: Header=BB2_3084 Depth=3
	s_mov_b32 s17, -1
	s_mov_b32 s22, exec_lo
	v_cmpx_eq_u16_e32 0x80, v91
; %bb.3165:                             ;   in Loop: Header=BB2_3084 Depth=3
	s_xor_b32 s17, exec_lo, -1
; %bb.3166:                             ;   in Loop: Header=BB2_3084 Depth=3
	s_or_b32 exec_lo, exec_lo, s22
	s_and_b32 s17, s17, exec_lo
                                        ; implicit-def: $vgpr91
	s_or_saveexec_b32 s18, s18
	v_mov_b32_e32 v90, 0x7f800001
	s_xor_b32 exec_lo, exec_lo, s18
	s_cbranch_execnz .LBB2_3682
.LBB2_3167:                             ;   in Loop: Header=BB2_3084 Depth=3
	s_or_b32 exec_lo, exec_lo, s18
	s_and_saveexec_b32 s18, s17
.LBB2_3168:                             ;   in Loop: Header=BB2_3084 Depth=3
	v_mov_b32_e32 v90, v79
.LBB2_3169:                             ;   in Loop: Header=BB2_3084 Depth=3
	s_or_b32 exec_lo, exec_lo, s18
	v_max_f32_e32 v90, v90, v90
	v_max_f32_e32 v89, v89, v89
	s_mov_b32 s18, 0
	v_max_f32_e32 v89, v89, v90
.LBB2_3170:                             ;   in Loop: Header=BB2_3084 Depth=3
	s_and_b32 vcc_lo, exec_lo, s18
	s_cbranch_vccz .LBB2_3184
; %bb.3171:                             ;   in Loop: Header=BB2_3084 Depth=3
	s_mov_b32 s17, 0
	s_mov_b32 s18, exec_lo
	v_cmpx_lt_i16_e32 0x7f, v88
	s_xor_b32 s18, exec_lo, s18
	s_cbranch_execz .LBB2_3683
; %bb.3172:                             ;   in Loop: Header=BB2_3084 Depth=3
	s_mov_b32 s17, -1
	s_mov_b32 s22, exec_lo
	v_cmpx_eq_u16_e32 0x80, v88
; %bb.3173:                             ;   in Loop: Header=BB2_3084 Depth=3
	s_xor_b32 s17, exec_lo, -1
; %bb.3174:                             ;   in Loop: Header=BB2_3084 Depth=3
	s_or_b32 exec_lo, exec_lo, s22
	s_and_b32 s17, s17, exec_lo
                                        ; implicit-def: $vgpr88
	s_or_saveexec_b32 s18, s18
	v_mov_b32_e32 v89, 0x7f800001
	s_xor_b32 exec_lo, exec_lo, s18
	s_cbranch_execnz .LBB2_3684
.LBB2_3175:                             ;   in Loop: Header=BB2_3084 Depth=3
	s_or_b32 exec_lo, exec_lo, s18
	s_and_saveexec_b32 s18, s17
	s_cbranch_execz .LBB2_3177
.LBB2_3176:                             ;   in Loop: Header=BB2_3084 Depth=3
	v_bfe_u32 v88, v12, 16, 3
	v_bfe_u32 v91, v12, 19, 4
	v_lshlrev_b32_sdwa v92, v113, v12 dst_sel:DWORD dst_unused:UNUSED_PAD src0_sel:DWORD src1_sel:WORD_1
	v_ffbh_u32_e32 v89, v88
	v_cmp_eq_u32_e32 vcc_lo, 0, v91
	v_min_u32_e32 v89, 32, v89
	v_subrev_nc_u32_e32 v90, 28, v89
	v_sub_nc_u32_e32 v89, 29, v89
	v_lshlrev_b32_sdwa v90, v90, v12 dst_sel:DWORD dst_unused:UNUSED_PAD src0_sel:DWORD src1_sel:WORD_1
	v_cndmask_b32_e32 v89, v91, v89, vcc_lo
	v_and_b32_e32 v90, 7, v90
	v_lshl_add_u32 v89, v89, 23, 0x3b800000
	v_cndmask_b32_e32 v88, v88, v90, vcc_lo
	v_and_b32_e32 v90, 0x80000000, v92
	v_lshlrev_b32_e32 v88, 20, v88
	v_or3_b32 v89, v90, v89, v88
.LBB2_3177:                             ;   in Loop: Header=BB2_3084 Depth=3
	s_or_b32 exec_lo, exec_lo, s18
	v_and_b32_sdwa v90, v8, v114 dst_sel:DWORD dst_unused:UNUSED_PAD src0_sel:WORD_1 src1_sel:DWORD
	s_mov_b32 s17, 0
	s_mov_b32 s18, exec_lo
	v_cmpx_lt_i16_e32 0x7f, v90
	s_xor_b32 s18, exec_lo, s18
	s_cbranch_execz .LBB2_3685
; %bb.3178:                             ;   in Loop: Header=BB2_3084 Depth=3
	s_mov_b32 s17, -1
	s_mov_b32 s22, exec_lo
	v_cmpx_eq_u16_e32 0x80, v90
; %bb.3179:                             ;   in Loop: Header=BB2_3084 Depth=3
	s_xor_b32 s17, exec_lo, -1
; %bb.3180:                             ;   in Loop: Header=BB2_3084 Depth=3
	s_or_b32 exec_lo, exec_lo, s22
	s_and_b32 s17, s17, exec_lo
                                        ; implicit-def: $vgpr90
	s_or_saveexec_b32 s18, s18
	v_mov_b32_e32 v88, 0x7f800001
	s_xor_b32 exec_lo, exec_lo, s18
	s_cbranch_execnz .LBB2_3686
.LBB2_3181:                             ;   in Loop: Header=BB2_3084 Depth=3
	s_or_b32 exec_lo, exec_lo, s18
	s_and_saveexec_b32 s18, s17
.LBB2_3182:                             ;   in Loop: Header=BB2_3084 Depth=3
	v_mov_b32_e32 v88, v79
.LBB2_3183:                             ;   in Loop: Header=BB2_3084 Depth=3
	s_or_b32 exec_lo, exec_lo, s18
	v_max_f32_e32 v79, v88, v88
	v_max_f32_e32 v88, v89, v89
	v_min_f32_e32 v89, v88, v79
.LBB2_3184:                             ;   in Loop: Header=BB2_3084 Depth=3
	v_and_b32_e32 v79, 0x7f800000, v89
	v_cmp_ne_u32_e32 vcc_lo, 0x7f800000, v79
	v_mov_b32_e32 v79, 0x80
	s_and_saveexec_b32 s18, vcc_lo
	s_cbranch_execz .LBB2_3192
; %bb.3185:                             ;   in Loop: Header=BB2_3084 Depth=3
	v_mov_b32_e32 v79, 0
	s_mov_b32 s22, exec_lo
	v_cmpx_ne_u32_e32 0, v89
	s_cbranch_execz .LBB2_3191
; %bb.3186:                             ;   in Loop: Header=BB2_3084 Depth=3
	v_bfe_u32 v79, v89, 23, 8
	v_and_b32_e32 v88, 0x7fffff, v89
	v_sub_nc_u32_e32 v90, 0x78, v79
	v_cmp_gt_u32_e32 vcc_lo, 0x79, v79
	v_or_b32_e32 v91, 0x800000, v88
	v_cndmask_b32_e32 v90, 0, v90, vcc_lo
	v_cmp_eq_u32_e32 vcc_lo, 0, v79
	v_add_nc_u32_e32 v79, 0xffffff89, v79
	v_cndmask_b32_e64 v90, v90, 0x77, vcc_lo
	v_cndmask_b32_e32 v88, v91, v88, vcc_lo
	v_cndmask_b32_e64 v79, v79, 0xffffff8a, vcc_lo
	v_lshl_add_u32 v91, 0x100000, v90, -1
	v_lshrrev_b32_e32 v92, v90, v88
	v_lshlrev_b32_e64 v94, v90, 0x80000
	v_add_nc_u32_e32 v90, v90, v79
	v_and_b32_e32 v88, v91, v88
	v_bfe_u32 v93, v92, 20, 1
	v_cmp_eq_u32_e64 s17, v88, v94
	v_add_nc_u32_e32 v91, -1, v93
	v_cndmask_b32_e64 v88, 0, v91, s17
	v_lshrrev_b32_e32 v91, 23, v92
	s_mov_b32 s17, exec_lo
	v_add_nc_u32_e32 v88, v88, v92
	v_xor_b32_e32 v91, 1, v91
	v_and_b32_e32 v79, 0xfffff, v88
	v_add_nc_u32_e32 v88, v79, v92
                                        ; implicit-def: $vgpr79
	v_cmpx_ne_u32_e64 v90, v91
	s_xor_b32 s17, exec_lo, s17
; %bb.3187:                             ;   in Loop: Header=BB2_3084 Depth=3
	v_cmp_lt_u32_e32 vcc_lo, 0xffffff, v88
	v_sub_nc_u32_e32 v79, v90, v91
	v_cndmask_b32_e64 v90, 0, 1, vcc_lo
	v_add_co_ci_u32_e64 v79, null, 0, v79, vcc_lo
	v_lshrrev_b32_e32 v88, v90, v88
; %bb.3188:                             ;   in Loop: Header=BB2_3084 Depth=3
	s_andn2_saveexec_b32 s17, s17
; %bb.3189:                             ;   in Loop: Header=BB2_3084 Depth=3
	v_bfe_u32 v79, v88, 23, 1
; %bb.3190:                             ;   in Loop: Header=BB2_3084 Depth=3
	s_or_b32 exec_lo, exec_lo, s17
	v_lshrrev_b32_e32 v88, 20, v88
	v_min_i32_e32 v90, 15, v79
	v_cmp_gt_i32_e32 vcc_lo, 16, v79
	v_and_b32_sdwa v89, v89, v103 dst_sel:DWORD dst_unused:UNUSED_PAD src0_sel:BYTE_3 src1_sel:DWORD
	v_lshlrev_b32_e32 v90, 3, v90
	v_cndmask_b32_e32 v88, 7, v88, vcc_lo
	v_and_b32_e32 v90, 0xf8, v90
	v_and_b32_e32 v91, 7, v88
	v_or_b32_e32 v79, v79, v88
	v_or3_b32 v88, v90, v89, v91
	v_cmp_ne_u32_e32 vcc_lo, 0, v79
	v_cndmask_b32_e32 v79, 0, v88, vcc_lo
.LBB2_3191:                             ;   in Loop: Header=BB2_3084 Depth=3
	s_or_b32 exec_lo, exec_lo, s22
.LBB2_3192:                             ;   in Loop: Header=BB2_3084 Depth=3
	s_or_b32 exec_lo, exec_lo, s18
	v_bfe_u32 v88, v8, 24, 3
	v_bfe_u32 v91, v8, 27, 4
	v_cmp_gt_i16_sdwa s18, v12, v102 src0_sel:BYTE_3 src1_sel:DWORD
	s_mov_b32 s17, -1
	v_ffbh_u32_e32 v89, v88
	v_cmp_eq_u32_e32 vcc_lo, 0, v91
	v_min_u32_e32 v89, 32, v89
	v_subrev_nc_u32_e32 v90, 28, v89
	v_sub_nc_u32_e32 v89, 29, v89
	v_lshlrev_b32_sdwa v90, v90, v8 dst_sel:DWORD dst_unused:UNUSED_PAD src0_sel:DWORD src1_sel:BYTE_3
	v_cndmask_b32_e32 v89, v91, v89, vcc_lo
	v_and_b32_e32 v90, 7, v90
	v_lshl_add_u32 v89, v89, 23, 0x3b800000
	v_cndmask_b32_e32 v88, v88, v90, vcc_lo
	v_and_b32_e32 v90, 0x80000000, v8
	s_and_b32 vcc_lo, exec_lo, s75
	v_lshlrev_b32_e32 v88, 20, v88
	v_or3_b32 v88, v90, v89, v88
                                        ; implicit-def: $vgpr89
	s_cbranch_vccz .LBB2_3206
; %bb.3193:                             ;   in Loop: Header=BB2_3084 Depth=3
	s_mov_b32 s17, 0
	s_and_saveexec_b32 s22, s18
	s_xor_b32 s18, exec_lo, s22
	s_cbranch_execz .LBB2_3687
; %bb.3194:                             ;   in Loop: Header=BB2_3084 Depth=3
	v_cmp_eq_u16_sdwa s23, v12, v103 src0_sel:BYTE_3 src1_sel:DWORD
	s_mov_b32 s17, -1
	s_and_saveexec_b32 s22, s23
; %bb.3195:                             ;   in Loop: Header=BB2_3084 Depth=3
	s_xor_b32 s17, exec_lo, -1
; %bb.3196:                             ;   in Loop: Header=BB2_3084 Depth=3
	s_or_b32 exec_lo, exec_lo, s22
	s_and_b32 s17, s17, exec_lo
	s_or_saveexec_b32 s18, s18
	v_mov_b32_e32 v89, 0x7f800001
	s_xor_b32 exec_lo, exec_lo, s18
	s_cbranch_execnz .LBB2_3688
.LBB2_3197:                             ;   in Loop: Header=BB2_3084 Depth=3
	s_or_b32 exec_lo, exec_lo, s18
	s_and_saveexec_b32 s18, s17
	s_cbranch_execz .LBB2_3199
.LBB2_3198:                             ;   in Loop: Header=BB2_3084 Depth=3
	v_bfe_u32 v89, v12, 24, 3
	v_bfe_u32 v92, v12, 27, 4
	v_ffbh_u32_e32 v90, v89
	v_cmp_eq_u32_e32 vcc_lo, 0, v92
	v_min_u32_e32 v90, 32, v90
	v_subrev_nc_u32_e32 v91, 28, v90
	v_sub_nc_u32_e32 v90, 29, v90
	v_lshlrev_b32_sdwa v91, v91, v12 dst_sel:DWORD dst_unused:UNUSED_PAD src0_sel:DWORD src1_sel:BYTE_3
	v_cndmask_b32_e32 v90, v92, v90, vcc_lo
	v_and_b32_e32 v91, 7, v91
	v_lshl_add_u32 v90, v90, 23, 0x3b800000
	v_cndmask_b32_e32 v89, v89, v91, vcc_lo
	v_and_b32_e32 v91, 0x80000000, v12
	v_lshlrev_b32_e32 v89, 20, v89
	v_or3_b32 v89, v91, v90, v89
.LBB2_3199:                             ;   in Loop: Header=BB2_3084 Depth=3
	s_or_b32 exec_lo, exec_lo, s18
	v_cmp_gt_i16_sdwa s18, v8, v102 src0_sel:BYTE_3 src1_sel:DWORD
	s_mov_b32 s17, 0
	s_and_saveexec_b32 s22, s18
	s_xor_b32 s18, exec_lo, s22
	s_cbranch_execz .LBB2_3689
; %bb.3200:                             ;   in Loop: Header=BB2_3084 Depth=3
	v_cmp_eq_u16_sdwa s23, v8, v103 src0_sel:BYTE_3 src1_sel:DWORD
	s_mov_b32 s17, -1
	s_and_saveexec_b32 s22, s23
; %bb.3201:                             ;   in Loop: Header=BB2_3084 Depth=3
	s_xor_b32 s17, exec_lo, -1
; %bb.3202:                             ;   in Loop: Header=BB2_3084 Depth=3
	s_or_b32 exec_lo, exec_lo, s22
	s_and_b32 s17, s17, exec_lo
	s_or_saveexec_b32 s18, s18
	v_mov_b32_e32 v90, 0x7f800001
	s_xor_b32 exec_lo, exec_lo, s18
	s_cbranch_execnz .LBB2_3690
.LBB2_3203:                             ;   in Loop: Header=BB2_3084 Depth=3
	s_or_b32 exec_lo, exec_lo, s18
	s_and_saveexec_b32 s18, s17
.LBB2_3204:                             ;   in Loop: Header=BB2_3084 Depth=3
	v_mov_b32_e32 v90, v88
.LBB2_3205:                             ;   in Loop: Header=BB2_3084 Depth=3
	s_or_b32 exec_lo, exec_lo, s18
	v_max_f32_e32 v90, v90, v90
	v_max_f32_e32 v89, v89, v89
	s_mov_b32 s17, 0
	v_max_f32_e32 v89, v89, v90
.LBB2_3206:                             ;   in Loop: Header=BB2_3084 Depth=3
	s_and_b32 vcc_lo, exec_lo, s17
	s_cbranch_vccz .LBB2_3220
; %bb.3207:                             ;   in Loop: Header=BB2_3084 Depth=3
	v_cmp_gt_i16_sdwa s18, v12, v102 src0_sel:BYTE_3 src1_sel:DWORD
	s_mov_b32 s17, 0
	s_and_saveexec_b32 s22, s18
	s_xor_b32 s18, exec_lo, s22
	s_cbranch_execz .LBB2_3691
; %bb.3208:                             ;   in Loop: Header=BB2_3084 Depth=3
	v_cmp_eq_u16_sdwa s23, v12, v103 src0_sel:BYTE_3 src1_sel:DWORD
	s_mov_b32 s17, -1
	s_and_saveexec_b32 s22, s23
; %bb.3209:                             ;   in Loop: Header=BB2_3084 Depth=3
	s_xor_b32 s17, exec_lo, -1
; %bb.3210:                             ;   in Loop: Header=BB2_3084 Depth=3
	s_or_b32 exec_lo, exec_lo, s22
	s_and_b32 s17, s17, exec_lo
	s_or_saveexec_b32 s18, s18
	v_mov_b32_e32 v89, 0x7f800001
	s_xor_b32 exec_lo, exec_lo, s18
	s_cbranch_execnz .LBB2_3692
.LBB2_3211:                             ;   in Loop: Header=BB2_3084 Depth=3
	s_or_b32 exec_lo, exec_lo, s18
	s_and_saveexec_b32 s18, s17
	s_cbranch_execz .LBB2_3213
.LBB2_3212:                             ;   in Loop: Header=BB2_3084 Depth=3
	v_bfe_u32 v89, v12, 24, 3
	v_bfe_u32 v92, v12, 27, 4
	v_ffbh_u32_e32 v90, v89
	v_cmp_eq_u32_e32 vcc_lo, 0, v92
	v_min_u32_e32 v90, 32, v90
	v_subrev_nc_u32_e32 v91, 28, v90
	v_sub_nc_u32_e32 v90, 29, v90
	v_lshlrev_b32_sdwa v91, v91, v12 dst_sel:DWORD dst_unused:UNUSED_PAD src0_sel:DWORD src1_sel:BYTE_3
	v_cndmask_b32_e32 v90, v92, v90, vcc_lo
	v_and_b32_e32 v12, 0x80000000, v12
	v_and_b32_e32 v91, 7, v91
	v_lshl_add_u32 v90, v90, 23, 0x3b800000
	v_cndmask_b32_e32 v89, v89, v91, vcc_lo
	v_lshlrev_b32_e32 v89, 20, v89
	v_or3_b32 v89, v12, v90, v89
.LBB2_3213:                             ;   in Loop: Header=BB2_3084 Depth=3
	s_or_b32 exec_lo, exec_lo, s18
	v_cmp_gt_i16_sdwa s18, v8, v102 src0_sel:BYTE_3 src1_sel:DWORD
	s_mov_b32 s17, 0
	s_and_saveexec_b32 s22, s18
	s_xor_b32 s18, exec_lo, s22
	s_cbranch_execz .LBB2_3693
; %bb.3214:                             ;   in Loop: Header=BB2_3084 Depth=3
	v_cmp_eq_u16_sdwa s23, v8, v103 src0_sel:BYTE_3 src1_sel:DWORD
	s_mov_b32 s17, -1
	s_and_saveexec_b32 s22, s23
; %bb.3215:                             ;   in Loop: Header=BB2_3084 Depth=3
	s_xor_b32 s17, exec_lo, -1
; %bb.3216:                             ;   in Loop: Header=BB2_3084 Depth=3
	s_or_b32 exec_lo, exec_lo, s22
	s_and_b32 s17, s17, exec_lo
	s_or_saveexec_b32 s18, s18
	v_mov_b32_e32 v12, 0x7f800001
	s_xor_b32 exec_lo, exec_lo, s18
	s_cbranch_execnz .LBB2_3694
.LBB2_3217:                             ;   in Loop: Header=BB2_3084 Depth=3
	s_or_b32 exec_lo, exec_lo, s18
	s_and_saveexec_b32 s18, s17
.LBB2_3218:                             ;   in Loop: Header=BB2_3084 Depth=3
	v_mov_b32_e32 v12, v88
.LBB2_3219:                             ;   in Loop: Header=BB2_3084 Depth=3
	s_or_b32 exec_lo, exec_lo, s18
	v_max_f32_e32 v8, v12, v12
	v_max_f32_e32 v12, v89, v89
	v_min_f32_e32 v89, v12, v8
.LBB2_3220:                             ;   in Loop: Header=BB2_3084 Depth=3
	v_and_b32_e32 v8, 0x7f800000, v89
	v_mov_b32_e32 v12, 0x8000
	s_mov_b32 s18, exec_lo
	v_cmpx_ne_u32_e32 0x7f800000, v8
	s_cbranch_execz .LBB2_3228
; %bb.3221:                             ;   in Loop: Header=BB2_3084 Depth=3
	v_mov_b32_e32 v12, 0
	s_mov_b32 s22, exec_lo
	v_cmpx_ne_u32_e32 0, v89
	s_cbranch_execz .LBB2_3227
; %bb.3222:                             ;   in Loop: Header=BB2_3084 Depth=3
	v_bfe_u32 v8, v89, 23, 8
	v_and_b32_e32 v12, 0x7fffff, v89
	v_sub_nc_u32_e32 v88, 0x78, v8
	v_cmp_gt_u32_e32 vcc_lo, 0x79, v8
	v_or_b32_e32 v90, 0x800000, v12
	v_cndmask_b32_e32 v88, 0, v88, vcc_lo
	v_cmp_eq_u32_e32 vcc_lo, 0, v8
	v_add_nc_u32_e32 v8, 0xffffff89, v8
	v_cndmask_b32_e64 v88, v88, 0x77, vcc_lo
	v_cndmask_b32_e32 v12, v90, v12, vcc_lo
	v_cndmask_b32_e64 v8, v8, 0xffffff8a, vcc_lo
	v_lshl_add_u32 v90, 0x100000, v88, -1
	v_lshrrev_b32_e32 v91, v88, v12
	v_lshlrev_b32_e64 v93, v88, 0x80000
	v_add_nc_u32_e32 v88, v88, v8
	v_and_b32_e32 v12, v90, v12
	v_bfe_u32 v92, v91, 20, 1
	v_cmp_eq_u32_e64 s17, v12, v93
	v_add_nc_u32_e32 v90, -1, v92
	v_cndmask_b32_e64 v12, 0, v90, s17
	v_lshrrev_b32_e32 v90, 23, v91
	s_mov_b32 s17, exec_lo
	v_add_nc_u32_e32 v12, v12, v91
	v_xor_b32_e32 v90, 1, v90
	v_and_b32_e32 v8, 0xfffff, v12
	v_add_nc_u32_e32 v12, v8, v91
                                        ; implicit-def: $vgpr8
	v_cmpx_ne_u32_e64 v88, v90
	s_xor_b32 s17, exec_lo, s17
; %bb.3223:                             ;   in Loop: Header=BB2_3084 Depth=3
	v_cmp_lt_u32_e32 vcc_lo, 0xffffff, v12
	v_sub_nc_u32_e32 v8, v88, v90
	v_cndmask_b32_e64 v88, 0, 1, vcc_lo
	v_add_co_ci_u32_e64 v8, null, 0, v8, vcc_lo
	v_lshrrev_b32_e32 v12, v88, v12
; %bb.3224:                             ;   in Loop: Header=BB2_3084 Depth=3
	s_andn2_saveexec_b32 s17, s17
; %bb.3225:                             ;   in Loop: Header=BB2_3084 Depth=3
	v_bfe_u32 v8, v12, 23, 1
; %bb.3226:                             ;   in Loop: Header=BB2_3084 Depth=3
	s_or_b32 exec_lo, exec_lo, s17
	v_lshrrev_b32_e32 v12, 20, v12
	v_min_i32_e32 v88, 15, v8
	v_cmp_gt_i32_e32 vcc_lo, 16, v8
	v_and_b32_sdwa v89, v89, v103 dst_sel:DWORD dst_unused:UNUSED_PAD src0_sel:BYTE_3 src1_sel:DWORD
	v_lshlrev_b32_e32 v88, 3, v88
	v_cndmask_b32_e32 v12, 7, v12, vcc_lo
	v_and_b32_e32 v88, 0xf8, v88
	v_and_b32_e32 v90, 7, v12
	v_or_b32_e32 v8, v8, v12
	v_or3_b32 v88, v89, v88, v90
	v_cmp_ne_u32_e32 vcc_lo, 0, v8
	v_lshlrev_b32_e32 v12, 8, v88
	v_cndmask_b32_e32 v12, 0, v12, vcc_lo
.LBB2_3227:                             ;   in Loop: Header=BB2_3084 Depth=3
	s_or_b32 exec_lo, exec_lo, s22
.LBB2_3228:                             ;   in Loop: Header=BB2_3084 Depth=3
	s_or_b32 exec_lo, exec_lo, s18
	v_and_b32_e32 v8, 7, v9
	v_bfe_u32 v90, v9, 3, 4
	v_lshlrev_b32_e32 v91, 24, v9
	v_cmp_gt_i16_sdwa s18, v13, v102 src0_sel:BYTE_0 src1_sel:DWORD
	s_mov_b32 s17, -1
	v_ffbh_u32_e32 v88, v8
	v_cmp_eq_u32_e32 vcc_lo, 0, v90
	v_min_u32_e32 v88, 32, v88
	v_subrev_nc_u32_e32 v89, 28, v88
	v_sub_nc_u32_e32 v88, 29, v88
	v_lshlrev_b32_e32 v89, v89, v9
	v_cndmask_b32_e32 v88, v90, v88, vcc_lo
	v_and_b32_e32 v89, 7, v89
	v_lshl_add_u32 v88, v88, 23, 0x3b800000
	v_cndmask_b32_e32 v8, v8, v89, vcc_lo
	v_and_b32_e32 v89, 0x80000000, v91
	s_and_b32 vcc_lo, exec_lo, s75
	v_lshlrev_b32_e32 v8, 20, v8
	v_or3_b32 v8, v89, v88, v8
                                        ; implicit-def: $vgpr89
	s_cbranch_vccz .LBB2_3242
; %bb.3229:                             ;   in Loop: Header=BB2_3084 Depth=3
	s_mov_b32 s17, 0
	s_and_saveexec_b32 s22, s18
	s_xor_b32 s18, exec_lo, s22
	s_cbranch_execz .LBB2_3695
; %bb.3230:                             ;   in Loop: Header=BB2_3084 Depth=3
	v_cmp_eq_u16_sdwa s23, v13, v103 src0_sel:BYTE_0 src1_sel:DWORD
	s_mov_b32 s17, -1
	s_and_saveexec_b32 s22, s23
; %bb.3231:                             ;   in Loop: Header=BB2_3084 Depth=3
	s_xor_b32 s17, exec_lo, -1
; %bb.3232:                             ;   in Loop: Header=BB2_3084 Depth=3
	s_or_b32 exec_lo, exec_lo, s22
	s_and_b32 s17, s17, exec_lo
	s_or_saveexec_b32 s18, s18
	v_mov_b32_e32 v88, 0x7f800001
	s_xor_b32 exec_lo, exec_lo, s18
	s_cbranch_execnz .LBB2_3696
.LBB2_3233:                             ;   in Loop: Header=BB2_3084 Depth=3
	s_or_b32 exec_lo, exec_lo, s18
	s_and_saveexec_b32 s18, s17
	s_cbranch_execz .LBB2_3235
.LBB2_3234:                             ;   in Loop: Header=BB2_3084 Depth=3
	v_and_b32_e32 v88, 7, v13
	v_bfe_u32 v91, v13, 3, 4
	v_lshlrev_b32_e32 v92, 24, v13
	v_ffbh_u32_e32 v89, v88
	v_cmp_eq_u32_e32 vcc_lo, 0, v91
	v_min_u32_e32 v89, 32, v89
	v_subrev_nc_u32_e32 v90, 28, v89
	v_sub_nc_u32_e32 v89, 29, v89
	v_lshlrev_b32_e32 v90, v90, v13
	v_cndmask_b32_e32 v89, v91, v89, vcc_lo
	v_and_b32_e32 v90, 7, v90
	v_lshl_add_u32 v89, v89, 23, 0x3b800000
	v_cndmask_b32_e32 v88, v88, v90, vcc_lo
	v_and_b32_e32 v90, 0x80000000, v92
	v_lshlrev_b32_e32 v88, 20, v88
	v_or3_b32 v88, v90, v89, v88
.LBB2_3235:                             ;   in Loop: Header=BB2_3084 Depth=3
	s_or_b32 exec_lo, exec_lo, s18
	v_cmp_gt_i16_sdwa s18, v9, v102 src0_sel:BYTE_0 src1_sel:DWORD
	s_mov_b32 s17, 0
	s_and_saveexec_b32 s22, s18
	s_xor_b32 s18, exec_lo, s22
	s_cbranch_execz .LBB2_3697
; %bb.3236:                             ;   in Loop: Header=BB2_3084 Depth=3
	v_cmp_eq_u16_sdwa s23, v9, v103 src0_sel:BYTE_0 src1_sel:DWORD
	s_mov_b32 s17, -1
	s_and_saveexec_b32 s22, s23
; %bb.3237:                             ;   in Loop: Header=BB2_3084 Depth=3
	s_xor_b32 s17, exec_lo, -1
; %bb.3238:                             ;   in Loop: Header=BB2_3084 Depth=3
	s_or_b32 exec_lo, exec_lo, s22
	s_and_b32 s17, s17, exec_lo
	s_or_saveexec_b32 s18, s18
	v_mov_b32_e32 v89, 0x7f800001
	s_xor_b32 exec_lo, exec_lo, s18
	s_cbranch_execnz .LBB2_3698
.LBB2_3239:                             ;   in Loop: Header=BB2_3084 Depth=3
	s_or_b32 exec_lo, exec_lo, s18
	s_and_saveexec_b32 s18, s17
.LBB2_3240:                             ;   in Loop: Header=BB2_3084 Depth=3
	v_mov_b32_e32 v89, v8
.LBB2_3241:                             ;   in Loop: Header=BB2_3084 Depth=3
	s_or_b32 exec_lo, exec_lo, s18
	v_max_f32_e32 v89, v89, v89
	v_max_f32_e32 v88, v88, v88
	s_mov_b32 s17, 0
	v_max_f32_e32 v89, v88, v89
.LBB2_3242:                             ;   in Loop: Header=BB2_3084 Depth=3
	s_and_b32 vcc_lo, exec_lo, s17
	s_cbranch_vccz .LBB2_3256
; %bb.3243:                             ;   in Loop: Header=BB2_3084 Depth=3
	v_cmp_gt_i16_sdwa s18, v13, v102 src0_sel:BYTE_0 src1_sel:DWORD
	s_mov_b32 s17, 0
	s_and_saveexec_b32 s22, s18
	s_xor_b32 s18, exec_lo, s22
	s_cbranch_execz .LBB2_3699
; %bb.3244:                             ;   in Loop: Header=BB2_3084 Depth=3
	v_cmp_eq_u16_sdwa s23, v13, v103 src0_sel:BYTE_0 src1_sel:DWORD
	s_mov_b32 s17, -1
	s_and_saveexec_b32 s22, s23
; %bb.3245:                             ;   in Loop: Header=BB2_3084 Depth=3
	s_xor_b32 s17, exec_lo, -1
; %bb.3246:                             ;   in Loop: Header=BB2_3084 Depth=3
	s_or_b32 exec_lo, exec_lo, s22
	s_and_b32 s17, s17, exec_lo
	s_or_saveexec_b32 s18, s18
	v_mov_b32_e32 v88, 0x7f800001
	s_xor_b32 exec_lo, exec_lo, s18
	s_cbranch_execnz .LBB2_3700
.LBB2_3247:                             ;   in Loop: Header=BB2_3084 Depth=3
	s_or_b32 exec_lo, exec_lo, s18
	s_and_saveexec_b32 s18, s17
	s_cbranch_execz .LBB2_3249
.LBB2_3248:                             ;   in Loop: Header=BB2_3084 Depth=3
	v_and_b32_e32 v88, 7, v13
	v_bfe_u32 v91, v13, 3, 4
	v_lshlrev_b32_e32 v92, 24, v13
	v_ffbh_u32_e32 v89, v88
	v_cmp_eq_u32_e32 vcc_lo, 0, v91
	v_min_u32_e32 v89, 32, v89
	v_subrev_nc_u32_e32 v90, 28, v89
	v_sub_nc_u32_e32 v89, 29, v89
	v_lshlrev_b32_e32 v90, v90, v13
	v_cndmask_b32_e32 v89, v91, v89, vcc_lo
	v_and_b32_e32 v90, 7, v90
	v_lshl_add_u32 v89, v89, 23, 0x3b800000
	v_cndmask_b32_e32 v88, v88, v90, vcc_lo
	v_and_b32_e32 v90, 0x80000000, v92
	v_lshlrev_b32_e32 v88, 20, v88
	v_or3_b32 v88, v90, v89, v88
.LBB2_3249:                             ;   in Loop: Header=BB2_3084 Depth=3
	s_or_b32 exec_lo, exec_lo, s18
	v_cmp_gt_i16_sdwa s18, v9, v102 src0_sel:BYTE_0 src1_sel:DWORD
	s_mov_b32 s17, 0
	s_and_saveexec_b32 s22, s18
	s_xor_b32 s18, exec_lo, s22
	s_cbranch_execz .LBB2_3701
; %bb.3250:                             ;   in Loop: Header=BB2_3084 Depth=3
	v_cmp_eq_u16_sdwa s23, v9, v103 src0_sel:BYTE_0 src1_sel:DWORD
	s_mov_b32 s17, -1
	s_and_saveexec_b32 s22, s23
; %bb.3251:                             ;   in Loop: Header=BB2_3084 Depth=3
	s_xor_b32 s17, exec_lo, -1
; %bb.3252:                             ;   in Loop: Header=BB2_3084 Depth=3
	s_or_b32 exec_lo, exec_lo, s22
	s_and_b32 s17, s17, exec_lo
	s_or_saveexec_b32 s18, s18
	v_mov_b32_e32 v89, 0x7f800001
	s_xor_b32 exec_lo, exec_lo, s18
	s_cbranch_execnz .LBB2_3702
.LBB2_3253:                             ;   in Loop: Header=BB2_3084 Depth=3
	s_or_b32 exec_lo, exec_lo, s18
	s_and_saveexec_b32 s18, s17
.LBB2_3254:                             ;   in Loop: Header=BB2_3084 Depth=3
	v_mov_b32_e32 v89, v8
.LBB2_3255:                             ;   in Loop: Header=BB2_3084 Depth=3
	s_or_b32 exec_lo, exec_lo, s18
	v_max_f32_e32 v8, v89, v89
	v_max_f32_e32 v88, v88, v88
	v_min_f32_e32 v89, v88, v8
.LBB2_3256:                             ;   in Loop: Header=BB2_3084 Depth=3
	v_and_b32_e32 v8, 0x7f800000, v89
	v_mov_b32_e32 v88, 0x80
	s_mov_b32 s18, exec_lo
	v_cmpx_ne_u32_e32 0x7f800000, v8
	s_cbranch_execz .LBB2_3264
; %bb.3257:                             ;   in Loop: Header=BB2_3084 Depth=3
	v_mov_b32_e32 v88, 0
	s_mov_b32 s22, exec_lo
	v_cmpx_ne_u32_e32 0, v89
	s_cbranch_execz .LBB2_3263
; %bb.3258:                             ;   in Loop: Header=BB2_3084 Depth=3
	v_bfe_u32 v8, v89, 23, 8
	v_and_b32_e32 v88, 0x7fffff, v89
	v_sub_nc_u32_e32 v90, 0x78, v8
	v_cmp_gt_u32_e32 vcc_lo, 0x79, v8
	v_or_b32_e32 v91, 0x800000, v88
	v_cndmask_b32_e32 v90, 0, v90, vcc_lo
	v_cmp_eq_u32_e32 vcc_lo, 0, v8
	v_add_nc_u32_e32 v8, 0xffffff89, v8
	v_cndmask_b32_e64 v90, v90, 0x77, vcc_lo
	v_cndmask_b32_e32 v88, v91, v88, vcc_lo
	v_cndmask_b32_e64 v8, v8, 0xffffff8a, vcc_lo
	v_lshl_add_u32 v91, 0x100000, v90, -1
	v_lshrrev_b32_e32 v92, v90, v88
	v_lshlrev_b32_e64 v94, v90, 0x80000
	v_add_nc_u32_e32 v90, v90, v8
	v_and_b32_e32 v88, v91, v88
	v_bfe_u32 v93, v92, 20, 1
	v_cmp_eq_u32_e64 s17, v88, v94
	v_add_nc_u32_e32 v91, -1, v93
	v_cndmask_b32_e64 v88, 0, v91, s17
	v_lshrrev_b32_e32 v91, 23, v92
	s_mov_b32 s17, exec_lo
	v_add_nc_u32_e32 v88, v88, v92
	v_xor_b32_e32 v91, 1, v91
	v_and_b32_e32 v8, 0xfffff, v88
	v_add_nc_u32_e32 v88, v8, v92
                                        ; implicit-def: $vgpr8
	v_cmpx_ne_u32_e64 v90, v91
	s_xor_b32 s17, exec_lo, s17
; %bb.3259:                             ;   in Loop: Header=BB2_3084 Depth=3
	v_cmp_lt_u32_e32 vcc_lo, 0xffffff, v88
	v_sub_nc_u32_e32 v8, v90, v91
	v_cndmask_b32_e64 v90, 0, 1, vcc_lo
	v_add_co_ci_u32_e64 v8, null, 0, v8, vcc_lo
	v_lshrrev_b32_e32 v88, v90, v88
; %bb.3260:                             ;   in Loop: Header=BB2_3084 Depth=3
	s_andn2_saveexec_b32 s17, s17
; %bb.3261:                             ;   in Loop: Header=BB2_3084 Depth=3
	v_bfe_u32 v8, v88, 23, 1
; %bb.3262:                             ;   in Loop: Header=BB2_3084 Depth=3
	s_or_b32 exec_lo, exec_lo, s17
	v_lshrrev_b32_e32 v88, 20, v88
	v_min_i32_e32 v90, 15, v8
	v_cmp_gt_i32_e32 vcc_lo, 16, v8
	v_and_b32_sdwa v89, v89, v103 dst_sel:DWORD dst_unused:UNUSED_PAD src0_sel:BYTE_3 src1_sel:DWORD
	v_lshlrev_b32_e32 v90, 3, v90
	v_cndmask_b32_e32 v88, 7, v88, vcc_lo
	v_and_b32_e32 v90, 0xf8, v90
	v_and_b32_e32 v91, 7, v88
	v_or_b32_e32 v8, v8, v88
	v_or3_b32 v88, v90, v89, v91
	v_cmp_ne_u32_e32 vcc_lo, 0, v8
	v_cndmask_b32_e32 v88, 0, v88, vcc_lo
.LBB2_3263:                             ;   in Loop: Header=BB2_3084 Depth=3
	s_or_b32 exec_lo, exec_lo, s22
.LBB2_3264:                             ;   in Loop: Header=BB2_3084 Depth=3
	s_or_b32 exec_lo, exec_lo, s18
	v_and_b32_sdwa v8, v112, v9 dst_sel:DWORD dst_unused:UNUSED_PAD src0_sel:DWORD src1_sel:BYTE_1
	v_cmp_gt_i16_sdwa s18, v13, v102 src0_sel:BYTE_1 src1_sel:DWORD
	s_mov_b32 s17, -1
	v_and_b32_e32 v89, 7, v8
	v_bfe_u32 v92, v8, 3, 4
	v_ffbh_u32_e32 v90, v89
	v_cmp_eq_u32_e32 vcc_lo, 0, v92
	v_min_u32_e32 v90, 32, v90
	v_subrev_nc_u32_e32 v91, 28, v90
	v_sub_nc_u32_e32 v90, 29, v90
	v_lshlrev_b32_e32 v8, v91, v8
	v_lshlrev_b32_sdwa v91, v113, v9 dst_sel:DWORD dst_unused:UNUSED_PAD src0_sel:DWORD src1_sel:BYTE_1
	v_cndmask_b32_e32 v90, v92, v90, vcc_lo
	v_and_b32_e32 v8, 7, v8
	v_lshl_add_u32 v90, v90, 23, 0x3b800000
	v_cndmask_b32_e32 v8, v89, v8, vcc_lo
	v_and_b32_e32 v89, 0x80000000, v91
	s_and_b32 vcc_lo, exec_lo, s75
	v_lshlrev_b32_e32 v8, 20, v8
	v_or3_b32 v8, v89, v90, v8
                                        ; implicit-def: $vgpr90
	s_cbranch_vccz .LBB2_3278
; %bb.3265:                             ;   in Loop: Header=BB2_3084 Depth=3
	s_mov_b32 s17, 0
	s_and_saveexec_b32 s22, s18
	s_xor_b32 s18, exec_lo, s22
	s_cbranch_execz .LBB2_3703
; %bb.3266:                             ;   in Loop: Header=BB2_3084 Depth=3
	v_cmp_eq_u16_sdwa s23, v13, v103 src0_sel:BYTE_1 src1_sel:DWORD
	s_mov_b32 s17, -1
	s_and_saveexec_b32 s22, s23
; %bb.3267:                             ;   in Loop: Header=BB2_3084 Depth=3
	s_xor_b32 s17, exec_lo, -1
; %bb.3268:                             ;   in Loop: Header=BB2_3084 Depth=3
	s_or_b32 exec_lo, exec_lo, s22
	s_and_b32 s17, s17, exec_lo
	s_or_saveexec_b32 s18, s18
	v_mov_b32_e32 v89, 0x7f800001
	s_xor_b32 exec_lo, exec_lo, s18
	s_cbranch_execnz .LBB2_3704
.LBB2_3269:                             ;   in Loop: Header=BB2_3084 Depth=3
	s_or_b32 exec_lo, exec_lo, s18
	s_and_saveexec_b32 s18, s17
	s_cbranch_execz .LBB2_3271
.LBB2_3270:                             ;   in Loop: Header=BB2_3084 Depth=3
	v_and_b32_sdwa v89, v112, v13 dst_sel:DWORD dst_unused:UNUSED_PAD src0_sel:DWORD src1_sel:BYTE_1
	v_and_b32_e32 v90, 7, v89
	v_bfe_u32 v93, v89, 3, 4
	v_ffbh_u32_e32 v91, v90
	v_cmp_eq_u32_e32 vcc_lo, 0, v93
	v_min_u32_e32 v91, 32, v91
	v_subrev_nc_u32_e32 v92, 28, v91
	v_sub_nc_u32_e32 v91, 29, v91
	v_lshlrev_b32_e32 v89, v92, v89
	v_lshlrev_b32_e32 v92, 16, v13
	v_cndmask_b32_e32 v91, v93, v91, vcc_lo
	v_and_b32_e32 v89, 7, v89
	v_lshl_add_u32 v91, v91, 23, 0x3b800000
	v_cndmask_b32_e32 v89, v90, v89, vcc_lo
	v_and_b32_e32 v90, 0x80000000, v92
	v_lshlrev_b32_e32 v89, 20, v89
	v_or3_b32 v89, v90, v91, v89
.LBB2_3271:                             ;   in Loop: Header=BB2_3084 Depth=3
	s_or_b32 exec_lo, exec_lo, s18
	v_cmp_gt_i16_sdwa s18, v9, v102 src0_sel:BYTE_1 src1_sel:DWORD
	s_mov_b32 s17, 0
	s_and_saveexec_b32 s22, s18
	s_xor_b32 s18, exec_lo, s22
	s_cbranch_execz .LBB2_3705
; %bb.3272:                             ;   in Loop: Header=BB2_3084 Depth=3
	v_cmp_eq_u16_sdwa s23, v9, v103 src0_sel:BYTE_1 src1_sel:DWORD
	s_mov_b32 s17, -1
	s_and_saveexec_b32 s22, s23
; %bb.3273:                             ;   in Loop: Header=BB2_3084 Depth=3
	s_xor_b32 s17, exec_lo, -1
; %bb.3274:                             ;   in Loop: Header=BB2_3084 Depth=3
	s_or_b32 exec_lo, exec_lo, s22
	s_and_b32 s17, s17, exec_lo
	s_or_saveexec_b32 s18, s18
	v_mov_b32_e32 v90, 0x7f800001
	s_xor_b32 exec_lo, exec_lo, s18
	s_cbranch_execnz .LBB2_3706
.LBB2_3275:                             ;   in Loop: Header=BB2_3084 Depth=3
	s_or_b32 exec_lo, exec_lo, s18
	s_and_saveexec_b32 s18, s17
.LBB2_3276:                             ;   in Loop: Header=BB2_3084 Depth=3
	v_mov_b32_e32 v90, v8
.LBB2_3277:                             ;   in Loop: Header=BB2_3084 Depth=3
	s_or_b32 exec_lo, exec_lo, s18
	v_max_f32_e32 v90, v90, v90
	v_max_f32_e32 v89, v89, v89
	s_mov_b32 s17, 0
	v_max_f32_e32 v90, v89, v90
.LBB2_3278:                             ;   in Loop: Header=BB2_3084 Depth=3
	s_and_b32 vcc_lo, exec_lo, s17
	s_cbranch_vccz .LBB2_3292
; %bb.3279:                             ;   in Loop: Header=BB2_3084 Depth=3
	v_cmp_gt_i16_sdwa s18, v13, v102 src0_sel:BYTE_1 src1_sel:DWORD
	s_mov_b32 s17, 0
	s_and_saveexec_b32 s22, s18
	s_xor_b32 s18, exec_lo, s22
	s_cbranch_execz .LBB2_3707
; %bb.3280:                             ;   in Loop: Header=BB2_3084 Depth=3
	v_cmp_eq_u16_sdwa s23, v13, v103 src0_sel:BYTE_1 src1_sel:DWORD
	s_mov_b32 s17, -1
	s_and_saveexec_b32 s22, s23
; %bb.3281:                             ;   in Loop: Header=BB2_3084 Depth=3
	s_xor_b32 s17, exec_lo, -1
; %bb.3282:                             ;   in Loop: Header=BB2_3084 Depth=3
	s_or_b32 exec_lo, exec_lo, s22
	s_and_b32 s17, s17, exec_lo
	s_or_saveexec_b32 s18, s18
	v_mov_b32_e32 v89, 0x7f800001
	s_xor_b32 exec_lo, exec_lo, s18
	s_cbranch_execnz .LBB2_3708
.LBB2_3283:                             ;   in Loop: Header=BB2_3084 Depth=3
	s_or_b32 exec_lo, exec_lo, s18
	s_and_saveexec_b32 s18, s17
	s_cbranch_execz .LBB2_3285
.LBB2_3284:                             ;   in Loop: Header=BB2_3084 Depth=3
	v_and_b32_sdwa v89, v112, v13 dst_sel:DWORD dst_unused:UNUSED_PAD src0_sel:DWORD src1_sel:BYTE_1
	v_and_b32_e32 v90, 7, v89
	v_bfe_u32 v93, v89, 3, 4
	v_ffbh_u32_e32 v91, v90
	v_cmp_eq_u32_e32 vcc_lo, 0, v93
	v_min_u32_e32 v91, 32, v91
	v_subrev_nc_u32_e32 v92, 28, v91
	v_sub_nc_u32_e32 v91, 29, v91
	v_lshlrev_b32_e32 v89, v92, v89
	v_lshlrev_b32_e32 v92, 16, v13
	v_cndmask_b32_e32 v91, v93, v91, vcc_lo
	v_and_b32_e32 v89, 7, v89
	v_lshl_add_u32 v91, v91, 23, 0x3b800000
	v_cndmask_b32_e32 v89, v90, v89, vcc_lo
	v_and_b32_e32 v90, 0x80000000, v92
	v_lshlrev_b32_e32 v89, 20, v89
	v_or3_b32 v89, v90, v91, v89
.LBB2_3285:                             ;   in Loop: Header=BB2_3084 Depth=3
	s_or_b32 exec_lo, exec_lo, s18
	v_cmp_gt_i16_sdwa s18, v9, v102 src0_sel:BYTE_1 src1_sel:DWORD
	s_mov_b32 s17, 0
	s_and_saveexec_b32 s22, s18
	s_xor_b32 s18, exec_lo, s22
	s_cbranch_execz .LBB2_3709
; %bb.3286:                             ;   in Loop: Header=BB2_3084 Depth=3
	v_cmp_eq_u16_sdwa s23, v9, v103 src0_sel:BYTE_1 src1_sel:DWORD
	s_mov_b32 s17, -1
	s_and_saveexec_b32 s22, s23
; %bb.3287:                             ;   in Loop: Header=BB2_3084 Depth=3
	s_xor_b32 s17, exec_lo, -1
; %bb.3288:                             ;   in Loop: Header=BB2_3084 Depth=3
	s_or_b32 exec_lo, exec_lo, s22
	s_and_b32 s17, s17, exec_lo
	s_or_saveexec_b32 s18, s18
	v_mov_b32_e32 v90, 0x7f800001
	s_xor_b32 exec_lo, exec_lo, s18
	s_cbranch_execnz .LBB2_3710
.LBB2_3289:                             ;   in Loop: Header=BB2_3084 Depth=3
	s_or_b32 exec_lo, exec_lo, s18
	s_and_saveexec_b32 s18, s17
.LBB2_3290:                             ;   in Loop: Header=BB2_3084 Depth=3
	v_mov_b32_e32 v90, v8
.LBB2_3291:                             ;   in Loop: Header=BB2_3084 Depth=3
	s_or_b32 exec_lo, exec_lo, s18
	v_max_f32_e32 v8, v90, v90
	v_max_f32_e32 v89, v89, v89
	v_min_f32_e32 v90, v89, v8
.LBB2_3292:                             ;   in Loop: Header=BB2_3084 Depth=3
	v_and_b32_e32 v8, 0x7f800000, v90
	v_mov_b32_e32 v89, 0x8000
	s_mov_b32 s18, exec_lo
	v_cmpx_ne_u32_e32 0x7f800000, v8
	s_cbranch_execz .LBB2_3300
; %bb.3293:                             ;   in Loop: Header=BB2_3084 Depth=3
	v_mov_b32_e32 v89, 0
	s_mov_b32 s22, exec_lo
	v_cmpx_ne_u32_e32 0, v90
	s_cbranch_execz .LBB2_3299
; %bb.3294:                             ;   in Loop: Header=BB2_3084 Depth=3
	v_bfe_u32 v8, v90, 23, 8
	v_and_b32_e32 v89, 0x7fffff, v90
	v_sub_nc_u32_e32 v91, 0x78, v8
	v_cmp_gt_u32_e32 vcc_lo, 0x79, v8
	v_or_b32_e32 v92, 0x800000, v89
	v_cndmask_b32_e32 v91, 0, v91, vcc_lo
	v_cmp_eq_u32_e32 vcc_lo, 0, v8
	v_add_nc_u32_e32 v8, 0xffffff89, v8
	v_cndmask_b32_e64 v91, v91, 0x77, vcc_lo
	v_cndmask_b32_e32 v89, v92, v89, vcc_lo
	v_cndmask_b32_e64 v8, v8, 0xffffff8a, vcc_lo
	v_lshl_add_u32 v92, 0x100000, v91, -1
	v_lshrrev_b32_e32 v93, v91, v89
	v_lshlrev_b32_e64 v95, v91, 0x80000
	v_add_nc_u32_e32 v91, v91, v8
	v_and_b32_e32 v89, v92, v89
	v_bfe_u32 v94, v93, 20, 1
	v_cmp_eq_u32_e64 s17, v89, v95
	v_add_nc_u32_e32 v92, -1, v94
	v_cndmask_b32_e64 v89, 0, v92, s17
	v_lshrrev_b32_e32 v92, 23, v93
	s_mov_b32 s17, exec_lo
	v_add_nc_u32_e32 v89, v89, v93
	v_xor_b32_e32 v92, 1, v92
	v_and_b32_e32 v8, 0xfffff, v89
	v_add_nc_u32_e32 v89, v8, v93
                                        ; implicit-def: $vgpr8
	v_cmpx_ne_u32_e64 v91, v92
	s_xor_b32 s17, exec_lo, s17
; %bb.3295:                             ;   in Loop: Header=BB2_3084 Depth=3
	v_cmp_lt_u32_e32 vcc_lo, 0xffffff, v89
	v_sub_nc_u32_e32 v8, v91, v92
	v_cndmask_b32_e64 v91, 0, 1, vcc_lo
	v_add_co_ci_u32_e64 v8, null, 0, v8, vcc_lo
	v_lshrrev_b32_e32 v89, v91, v89
; %bb.3296:                             ;   in Loop: Header=BB2_3084 Depth=3
	s_andn2_saveexec_b32 s17, s17
; %bb.3297:                             ;   in Loop: Header=BB2_3084 Depth=3
	v_bfe_u32 v8, v89, 23, 1
; %bb.3298:                             ;   in Loop: Header=BB2_3084 Depth=3
	s_or_b32 exec_lo, exec_lo, s17
	v_lshrrev_b32_e32 v89, 20, v89
	v_min_i32_e32 v91, 15, v8
	v_cmp_gt_i32_e32 vcc_lo, 16, v8
	v_and_b32_sdwa v90, v90, v103 dst_sel:DWORD dst_unused:UNUSED_PAD src0_sel:BYTE_3 src1_sel:DWORD
	v_lshlrev_b32_e32 v91, 3, v91
	v_cndmask_b32_e32 v89, 7, v89, vcc_lo
	v_and_b32_e32 v91, 0xf8, v91
	v_and_b32_e32 v92, 7, v89
	v_or_b32_e32 v8, v8, v89
	v_or3_b32 v90, v90, v91, v92
	v_cmp_ne_u32_e32 vcc_lo, 0, v8
	v_lshlrev_b32_e32 v89, 8, v90
	v_cndmask_b32_e32 v89, 0, v89, vcc_lo
.LBB2_3299:                             ;   in Loop: Header=BB2_3084 Depth=3
	s_or_b32 exec_lo, exec_lo, s22
.LBB2_3300:                             ;   in Loop: Header=BB2_3084 Depth=3
	s_or_b32 exec_lo, exec_lo, s18
	v_bfe_u32 v8, v9, 16, 3
	v_bfe_u32 v92, v9, 19, 4
	v_lshlrev_b32_e32 v93, 8, v9
	s_mov_b32 s18, -1
	v_ffbh_u32_e32 v90, v8
	v_cmp_eq_u32_e32 vcc_lo, 0, v92
	v_min_u32_e32 v90, 32, v90
	v_subrev_nc_u32_e32 v91, 28, v90
	v_sub_nc_u32_e32 v90, 29, v90
	v_lshlrev_b32_sdwa v91, v91, v9 dst_sel:DWORD dst_unused:UNUSED_PAD src0_sel:DWORD src1_sel:WORD_1
	v_cndmask_b32_e32 v90, v92, v90, vcc_lo
	v_and_b32_e32 v91, 7, v91
	v_lshl_add_u32 v92, v90, 23, 0x3b800000
	v_and_b32_sdwa v90, v13, v114 dst_sel:DWORD dst_unused:UNUSED_PAD src0_sel:WORD_1 src1_sel:DWORD
	v_cndmask_b32_e32 v8, v8, v91, vcc_lo
	v_and_b32_e32 v91, 0x80000000, v93
	v_cmp_lt_i16_e64 s17, 0x7f, v90
	s_and_b32 vcc_lo, exec_lo, s75
	v_lshlrev_b32_e32 v8, 20, v8
	v_or3_b32 v8, v91, v92, v8
                                        ; implicit-def: $vgpr91
	s_cbranch_vccz .LBB2_3314
; %bb.3301:                             ;   in Loop: Header=BB2_3084 Depth=3
	s_mov_b32 s18, 0
	s_and_saveexec_b32 s22, s17
	s_xor_b32 s17, exec_lo, s22
	s_cbranch_execz .LBB2_3711
; %bb.3302:                             ;   in Loop: Header=BB2_3084 Depth=3
	s_mov_b32 s18, -1
	s_mov_b32 s22, exec_lo
	v_cmpx_eq_u16_e32 0x80, v90
; %bb.3303:                             ;   in Loop: Header=BB2_3084 Depth=3
	s_xor_b32 s18, exec_lo, -1
; %bb.3304:                             ;   in Loop: Header=BB2_3084 Depth=3
	s_or_b32 exec_lo, exec_lo, s22
	s_and_b32 s18, s18, exec_lo
	s_or_saveexec_b32 s17, s17
	v_mov_b32_e32 v91, 0x7f800001
	s_xor_b32 exec_lo, exec_lo, s17
	s_cbranch_execnz .LBB2_3712
.LBB2_3305:                             ;   in Loop: Header=BB2_3084 Depth=3
	s_or_b32 exec_lo, exec_lo, s17
	s_and_saveexec_b32 s17, s18
	s_cbranch_execz .LBB2_3307
.LBB2_3306:                             ;   in Loop: Header=BB2_3084 Depth=3
	v_bfe_u32 v91, v13, 16, 3
	v_bfe_u32 v94, v13, 19, 4
	v_lshlrev_b32_sdwa v95, v113, v13 dst_sel:DWORD dst_unused:UNUSED_PAD src0_sel:DWORD src1_sel:WORD_1
	v_ffbh_u32_e32 v92, v91
	v_cmp_eq_u32_e32 vcc_lo, 0, v94
	v_min_u32_e32 v92, 32, v92
	v_subrev_nc_u32_e32 v93, 28, v92
	v_sub_nc_u32_e32 v92, 29, v92
	v_lshlrev_b32_sdwa v93, v93, v13 dst_sel:DWORD dst_unused:UNUSED_PAD src0_sel:DWORD src1_sel:WORD_1
	v_cndmask_b32_e32 v92, v94, v92, vcc_lo
	v_and_b32_e32 v93, 7, v93
	v_lshl_add_u32 v92, v92, 23, 0x3b800000
	v_cndmask_b32_e32 v91, v91, v93, vcc_lo
	v_and_b32_e32 v93, 0x80000000, v95
	v_lshlrev_b32_e32 v91, 20, v91
	v_or3_b32 v91, v93, v92, v91
.LBB2_3307:                             ;   in Loop: Header=BB2_3084 Depth=3
	s_or_b32 exec_lo, exec_lo, s17
	v_and_b32_sdwa v93, v9, v114 dst_sel:DWORD dst_unused:UNUSED_PAD src0_sel:WORD_1 src1_sel:DWORD
	s_mov_b32 s17, 0
	s_mov_b32 s18, exec_lo
	v_cmpx_lt_i16_e32 0x7f, v93
	s_xor_b32 s18, exec_lo, s18
	s_cbranch_execz .LBB2_3713
; %bb.3308:                             ;   in Loop: Header=BB2_3084 Depth=3
	s_mov_b32 s17, -1
	s_mov_b32 s22, exec_lo
	v_cmpx_eq_u16_e32 0x80, v93
; %bb.3309:                             ;   in Loop: Header=BB2_3084 Depth=3
	s_xor_b32 s17, exec_lo, -1
; %bb.3310:                             ;   in Loop: Header=BB2_3084 Depth=3
	s_or_b32 exec_lo, exec_lo, s22
	s_and_b32 s17, s17, exec_lo
                                        ; implicit-def: $vgpr93
	s_or_saveexec_b32 s18, s18
	v_mov_b32_e32 v92, 0x7f800001
	s_xor_b32 exec_lo, exec_lo, s18
	s_cbranch_execnz .LBB2_3714
.LBB2_3311:                             ;   in Loop: Header=BB2_3084 Depth=3
	s_or_b32 exec_lo, exec_lo, s18
	s_and_saveexec_b32 s18, s17
.LBB2_3312:                             ;   in Loop: Header=BB2_3084 Depth=3
	v_mov_b32_e32 v92, v8
.LBB2_3313:                             ;   in Loop: Header=BB2_3084 Depth=3
	s_or_b32 exec_lo, exec_lo, s18
	v_max_f32_e32 v92, v92, v92
	v_max_f32_e32 v91, v91, v91
	s_mov_b32 s18, 0
	v_max_f32_e32 v91, v91, v92
.LBB2_3314:                             ;   in Loop: Header=BB2_3084 Depth=3
	s_and_b32 vcc_lo, exec_lo, s18
	s_cbranch_vccz .LBB2_3328
; %bb.3315:                             ;   in Loop: Header=BB2_3084 Depth=3
	s_mov_b32 s17, 0
	s_mov_b32 s18, exec_lo
	v_cmpx_lt_i16_e32 0x7f, v90
	s_xor_b32 s18, exec_lo, s18
	s_cbranch_execz .LBB2_3715
; %bb.3316:                             ;   in Loop: Header=BB2_3084 Depth=3
	s_mov_b32 s17, -1
	s_mov_b32 s22, exec_lo
	v_cmpx_eq_u16_e32 0x80, v90
; %bb.3317:                             ;   in Loop: Header=BB2_3084 Depth=3
	s_xor_b32 s17, exec_lo, -1
; %bb.3318:                             ;   in Loop: Header=BB2_3084 Depth=3
	s_or_b32 exec_lo, exec_lo, s22
	s_and_b32 s17, s17, exec_lo
                                        ; implicit-def: $vgpr90
	s_or_saveexec_b32 s18, s18
	v_mov_b32_e32 v91, 0x7f800001
	s_xor_b32 exec_lo, exec_lo, s18
	s_cbranch_execnz .LBB2_3716
.LBB2_3319:                             ;   in Loop: Header=BB2_3084 Depth=3
	s_or_b32 exec_lo, exec_lo, s18
	s_and_saveexec_b32 s18, s17
	s_cbranch_execz .LBB2_3321
.LBB2_3320:                             ;   in Loop: Header=BB2_3084 Depth=3
	v_bfe_u32 v90, v13, 16, 3
	v_bfe_u32 v93, v13, 19, 4
	v_lshlrev_b32_sdwa v94, v113, v13 dst_sel:DWORD dst_unused:UNUSED_PAD src0_sel:DWORD src1_sel:WORD_1
	v_ffbh_u32_e32 v91, v90
	v_cmp_eq_u32_e32 vcc_lo, 0, v93
	v_min_u32_e32 v91, 32, v91
	v_subrev_nc_u32_e32 v92, 28, v91
	v_sub_nc_u32_e32 v91, 29, v91
	v_lshlrev_b32_sdwa v92, v92, v13 dst_sel:DWORD dst_unused:UNUSED_PAD src0_sel:DWORD src1_sel:WORD_1
	v_cndmask_b32_e32 v91, v93, v91, vcc_lo
	v_and_b32_e32 v92, 7, v92
	v_lshl_add_u32 v91, v91, 23, 0x3b800000
	v_cndmask_b32_e32 v90, v90, v92, vcc_lo
	v_and_b32_e32 v92, 0x80000000, v94
	v_lshlrev_b32_e32 v90, 20, v90
	v_or3_b32 v91, v92, v91, v90
.LBB2_3321:                             ;   in Loop: Header=BB2_3084 Depth=3
	s_or_b32 exec_lo, exec_lo, s18
	v_and_b32_sdwa v92, v9, v114 dst_sel:DWORD dst_unused:UNUSED_PAD src0_sel:WORD_1 src1_sel:DWORD
	s_mov_b32 s17, 0
	s_mov_b32 s18, exec_lo
	v_cmpx_lt_i16_e32 0x7f, v92
	s_xor_b32 s18, exec_lo, s18
	s_cbranch_execz .LBB2_3717
; %bb.3322:                             ;   in Loop: Header=BB2_3084 Depth=3
	s_mov_b32 s17, -1
	s_mov_b32 s22, exec_lo
	v_cmpx_eq_u16_e32 0x80, v92
; %bb.3323:                             ;   in Loop: Header=BB2_3084 Depth=3
	s_xor_b32 s17, exec_lo, -1
; %bb.3324:                             ;   in Loop: Header=BB2_3084 Depth=3
	s_or_b32 exec_lo, exec_lo, s22
	s_and_b32 s17, s17, exec_lo
                                        ; implicit-def: $vgpr92
	s_or_saveexec_b32 s18, s18
	v_mov_b32_e32 v90, 0x7f800001
	s_xor_b32 exec_lo, exec_lo, s18
	s_cbranch_execnz .LBB2_3718
.LBB2_3325:                             ;   in Loop: Header=BB2_3084 Depth=3
	s_or_b32 exec_lo, exec_lo, s18
	s_and_saveexec_b32 s18, s17
.LBB2_3326:                             ;   in Loop: Header=BB2_3084 Depth=3
	v_mov_b32_e32 v90, v8
.LBB2_3327:                             ;   in Loop: Header=BB2_3084 Depth=3
	s_or_b32 exec_lo, exec_lo, s18
	v_max_f32_e32 v8, v90, v90
	v_max_f32_e32 v90, v91, v91
	v_min_f32_e32 v91, v90, v8
.LBB2_3328:                             ;   in Loop: Header=BB2_3084 Depth=3
	v_and_b32_e32 v8, 0x7f800000, v91
	v_mov_b32_e32 v90, 0x80
	s_mov_b32 s18, exec_lo
	v_cmpx_ne_u32_e32 0x7f800000, v8
	s_cbranch_execz .LBB2_3336
; %bb.3329:                             ;   in Loop: Header=BB2_3084 Depth=3
	v_mov_b32_e32 v90, 0
	s_mov_b32 s22, exec_lo
	v_cmpx_ne_u32_e32 0, v91
	s_cbranch_execz .LBB2_3335
; %bb.3330:                             ;   in Loop: Header=BB2_3084 Depth=3
	v_bfe_u32 v8, v91, 23, 8
	v_and_b32_e32 v90, 0x7fffff, v91
	v_sub_nc_u32_e32 v92, 0x78, v8
	v_cmp_gt_u32_e32 vcc_lo, 0x79, v8
	v_or_b32_e32 v93, 0x800000, v90
	v_cndmask_b32_e32 v92, 0, v92, vcc_lo
	v_cmp_eq_u32_e32 vcc_lo, 0, v8
	v_add_nc_u32_e32 v8, 0xffffff89, v8
	v_cndmask_b32_e64 v92, v92, 0x77, vcc_lo
	v_cndmask_b32_e32 v90, v93, v90, vcc_lo
	v_cndmask_b32_e64 v8, v8, 0xffffff8a, vcc_lo
	v_lshl_add_u32 v93, 0x100000, v92, -1
	v_lshrrev_b32_e32 v94, v92, v90
	v_lshlrev_b32_e64 v104, v92, 0x80000
	v_add_nc_u32_e32 v92, v92, v8
	v_and_b32_e32 v90, v93, v90
	v_bfe_u32 v95, v94, 20, 1
	v_cmp_eq_u32_e64 s17, v90, v104
	v_add_nc_u32_e32 v93, -1, v95
	v_cndmask_b32_e64 v90, 0, v93, s17
	v_lshrrev_b32_e32 v93, 23, v94
	s_mov_b32 s17, exec_lo
	v_add_nc_u32_e32 v90, v90, v94
	v_xor_b32_e32 v93, 1, v93
	v_and_b32_e32 v8, 0xfffff, v90
	v_add_nc_u32_e32 v90, v8, v94
                                        ; implicit-def: $vgpr8
	v_cmpx_ne_u32_e64 v92, v93
	s_xor_b32 s17, exec_lo, s17
; %bb.3331:                             ;   in Loop: Header=BB2_3084 Depth=3
	v_cmp_lt_u32_e32 vcc_lo, 0xffffff, v90
	v_sub_nc_u32_e32 v8, v92, v93
	v_cndmask_b32_e64 v92, 0, 1, vcc_lo
	v_add_co_ci_u32_e64 v8, null, 0, v8, vcc_lo
	v_lshrrev_b32_e32 v90, v92, v90
; %bb.3332:                             ;   in Loop: Header=BB2_3084 Depth=3
	s_andn2_saveexec_b32 s17, s17
; %bb.3333:                             ;   in Loop: Header=BB2_3084 Depth=3
	v_bfe_u32 v8, v90, 23, 1
; %bb.3334:                             ;   in Loop: Header=BB2_3084 Depth=3
	s_or_b32 exec_lo, exec_lo, s17
	v_lshrrev_b32_e32 v90, 20, v90
	v_min_i32_e32 v92, 15, v8
	v_cmp_gt_i32_e32 vcc_lo, 16, v8
	v_and_b32_sdwa v91, v91, v103 dst_sel:DWORD dst_unused:UNUSED_PAD src0_sel:BYTE_3 src1_sel:DWORD
	v_lshlrev_b32_e32 v92, 3, v92
	v_cndmask_b32_e32 v90, 7, v90, vcc_lo
	v_and_b32_e32 v92, 0xf8, v92
	v_and_b32_e32 v93, 7, v90
	v_or_b32_e32 v8, v8, v90
	v_or3_b32 v90, v92, v91, v93
	v_cmp_ne_u32_e32 vcc_lo, 0, v8
	v_cndmask_b32_e32 v90, 0, v90, vcc_lo
.LBB2_3335:                             ;   in Loop: Header=BB2_3084 Depth=3
	s_or_b32 exec_lo, exec_lo, s22
.LBB2_3336:                             ;   in Loop: Header=BB2_3084 Depth=3
	s_or_b32 exec_lo, exec_lo, s18
	v_bfe_u32 v8, v9, 24, 3
	v_bfe_u32 v93, v9, 27, 4
	v_cmp_gt_i16_sdwa s18, v13, v102 src0_sel:BYTE_3 src1_sel:DWORD
	s_mov_b32 s17, -1
	v_ffbh_u32_e32 v91, v8
	v_cmp_eq_u32_e32 vcc_lo, 0, v93
	v_min_u32_e32 v91, 32, v91
	v_subrev_nc_u32_e32 v92, 28, v91
	v_sub_nc_u32_e32 v91, 29, v91
	v_lshlrev_b32_sdwa v92, v92, v9 dst_sel:DWORD dst_unused:UNUSED_PAD src0_sel:DWORD src1_sel:BYTE_3
	v_cndmask_b32_e32 v91, v93, v91, vcc_lo
	v_and_b32_e32 v92, 7, v92
	v_lshl_add_u32 v91, v91, 23, 0x3b800000
	v_cndmask_b32_e32 v8, v8, v92, vcc_lo
	v_and_b32_e32 v92, 0x80000000, v9
	s_and_b32 vcc_lo, exec_lo, s75
	v_lshlrev_b32_e32 v8, 20, v8
	v_or3_b32 v8, v92, v91, v8
                                        ; implicit-def: $vgpr91
	s_cbranch_vccz .LBB2_3350
; %bb.3337:                             ;   in Loop: Header=BB2_3084 Depth=3
	s_mov_b32 s17, 0
	s_and_saveexec_b32 s22, s18
	s_xor_b32 s18, exec_lo, s22
	s_cbranch_execz .LBB2_3719
; %bb.3338:                             ;   in Loop: Header=BB2_3084 Depth=3
	v_cmp_eq_u16_sdwa s23, v13, v103 src0_sel:BYTE_3 src1_sel:DWORD
	s_mov_b32 s17, -1
	s_and_saveexec_b32 s22, s23
; %bb.3339:                             ;   in Loop: Header=BB2_3084 Depth=3
	s_xor_b32 s17, exec_lo, -1
; %bb.3340:                             ;   in Loop: Header=BB2_3084 Depth=3
	s_or_b32 exec_lo, exec_lo, s22
	s_and_b32 s17, s17, exec_lo
	s_or_saveexec_b32 s18, s18
	v_mov_b32_e32 v91, 0x7f800001
	s_xor_b32 exec_lo, exec_lo, s18
	s_cbranch_execnz .LBB2_3720
.LBB2_3341:                             ;   in Loop: Header=BB2_3084 Depth=3
	s_or_b32 exec_lo, exec_lo, s18
	s_and_saveexec_b32 s18, s17
	s_cbranch_execz .LBB2_3343
.LBB2_3342:                             ;   in Loop: Header=BB2_3084 Depth=3
	v_bfe_u32 v91, v13, 24, 3
	v_bfe_u32 v94, v13, 27, 4
	v_ffbh_u32_e32 v92, v91
	v_cmp_eq_u32_e32 vcc_lo, 0, v94
	v_min_u32_e32 v92, 32, v92
	v_subrev_nc_u32_e32 v93, 28, v92
	v_sub_nc_u32_e32 v92, 29, v92
	v_lshlrev_b32_sdwa v93, v93, v13 dst_sel:DWORD dst_unused:UNUSED_PAD src0_sel:DWORD src1_sel:BYTE_3
	v_cndmask_b32_e32 v92, v94, v92, vcc_lo
	v_and_b32_e32 v93, 7, v93
	v_lshl_add_u32 v92, v92, 23, 0x3b800000
	v_cndmask_b32_e32 v91, v91, v93, vcc_lo
	v_and_b32_e32 v93, 0x80000000, v13
	v_lshlrev_b32_e32 v91, 20, v91
	v_or3_b32 v91, v93, v92, v91
.LBB2_3343:                             ;   in Loop: Header=BB2_3084 Depth=3
	s_or_b32 exec_lo, exec_lo, s18
	v_cmp_gt_i16_sdwa s18, v9, v102 src0_sel:BYTE_3 src1_sel:DWORD
	s_mov_b32 s17, 0
	s_and_saveexec_b32 s22, s18
	s_xor_b32 s18, exec_lo, s22
	s_cbranch_execz .LBB2_3721
; %bb.3344:                             ;   in Loop: Header=BB2_3084 Depth=3
	v_cmp_eq_u16_sdwa s23, v9, v103 src0_sel:BYTE_3 src1_sel:DWORD
	s_mov_b32 s17, -1
	s_and_saveexec_b32 s22, s23
; %bb.3345:                             ;   in Loop: Header=BB2_3084 Depth=3
	s_xor_b32 s17, exec_lo, -1
; %bb.3346:                             ;   in Loop: Header=BB2_3084 Depth=3
	s_or_b32 exec_lo, exec_lo, s22
	s_and_b32 s17, s17, exec_lo
	s_or_saveexec_b32 s18, s18
	v_mov_b32_e32 v92, 0x7f800001
	s_xor_b32 exec_lo, exec_lo, s18
	s_cbranch_execnz .LBB2_3722
.LBB2_3347:                             ;   in Loop: Header=BB2_3084 Depth=3
	s_or_b32 exec_lo, exec_lo, s18
	s_and_saveexec_b32 s18, s17
.LBB2_3348:                             ;   in Loop: Header=BB2_3084 Depth=3
	v_mov_b32_e32 v92, v8
.LBB2_3349:                             ;   in Loop: Header=BB2_3084 Depth=3
	s_or_b32 exec_lo, exec_lo, s18
	v_max_f32_e32 v92, v92, v92
	v_max_f32_e32 v91, v91, v91
	s_mov_b32 s17, 0
	v_max_f32_e32 v91, v91, v92
.LBB2_3350:                             ;   in Loop: Header=BB2_3084 Depth=3
	s_and_b32 vcc_lo, exec_lo, s17
	s_cbranch_vccz .LBB2_3364
; %bb.3351:                             ;   in Loop: Header=BB2_3084 Depth=3
	v_cmp_gt_i16_sdwa s18, v13, v102 src0_sel:BYTE_3 src1_sel:DWORD
	s_mov_b32 s17, 0
	s_and_saveexec_b32 s22, s18
	s_xor_b32 s18, exec_lo, s22
	s_cbranch_execz .LBB2_3723
; %bb.3352:                             ;   in Loop: Header=BB2_3084 Depth=3
	v_cmp_eq_u16_sdwa s23, v13, v103 src0_sel:BYTE_3 src1_sel:DWORD
	s_mov_b32 s17, -1
	s_and_saveexec_b32 s22, s23
; %bb.3353:                             ;   in Loop: Header=BB2_3084 Depth=3
	s_xor_b32 s17, exec_lo, -1
; %bb.3354:                             ;   in Loop: Header=BB2_3084 Depth=3
	s_or_b32 exec_lo, exec_lo, s22
	s_and_b32 s17, s17, exec_lo
	s_or_saveexec_b32 s18, s18
	v_mov_b32_e32 v91, 0x7f800001
	s_xor_b32 exec_lo, exec_lo, s18
	s_cbranch_execnz .LBB2_3724
.LBB2_3355:                             ;   in Loop: Header=BB2_3084 Depth=3
	s_or_b32 exec_lo, exec_lo, s18
	s_and_saveexec_b32 s18, s17
	s_cbranch_execz .LBB2_3357
.LBB2_3356:                             ;   in Loop: Header=BB2_3084 Depth=3
	v_bfe_u32 v91, v13, 24, 3
	v_bfe_u32 v94, v13, 27, 4
	v_ffbh_u32_e32 v92, v91
	v_cmp_eq_u32_e32 vcc_lo, 0, v94
	v_min_u32_e32 v92, 32, v92
	v_subrev_nc_u32_e32 v93, 28, v92
	v_sub_nc_u32_e32 v92, 29, v92
	v_lshlrev_b32_sdwa v93, v93, v13 dst_sel:DWORD dst_unused:UNUSED_PAD src0_sel:DWORD src1_sel:BYTE_3
	v_cndmask_b32_e32 v92, v94, v92, vcc_lo
	v_and_b32_e32 v13, 0x80000000, v13
	v_and_b32_e32 v93, 7, v93
	v_lshl_add_u32 v92, v92, 23, 0x3b800000
	v_cndmask_b32_e32 v91, v91, v93, vcc_lo
	v_lshlrev_b32_e32 v91, 20, v91
	v_or3_b32 v91, v13, v92, v91
.LBB2_3357:                             ;   in Loop: Header=BB2_3084 Depth=3
	s_or_b32 exec_lo, exec_lo, s18
	v_cmp_gt_i16_sdwa s18, v9, v102 src0_sel:BYTE_3 src1_sel:DWORD
	s_mov_b32 s17, 0
	s_and_saveexec_b32 s22, s18
	s_xor_b32 s18, exec_lo, s22
	s_cbranch_execz .LBB2_3725
; %bb.3358:                             ;   in Loop: Header=BB2_3084 Depth=3
	v_cmp_eq_u16_sdwa s23, v9, v103 src0_sel:BYTE_3 src1_sel:DWORD
	s_mov_b32 s17, -1
	s_and_saveexec_b32 s22, s23
; %bb.3359:                             ;   in Loop: Header=BB2_3084 Depth=3
	s_xor_b32 s17, exec_lo, -1
; %bb.3360:                             ;   in Loop: Header=BB2_3084 Depth=3
	s_or_b32 exec_lo, exec_lo, s22
	s_and_b32 s17, s17, exec_lo
	s_or_saveexec_b32 s18, s18
	v_mov_b32_e32 v13, 0x7f800001
	s_xor_b32 exec_lo, exec_lo, s18
	s_cbranch_execnz .LBB2_3726
.LBB2_3361:                             ;   in Loop: Header=BB2_3084 Depth=3
	s_or_b32 exec_lo, exec_lo, s18
	s_and_saveexec_b32 s18, s17
.LBB2_3362:                             ;   in Loop: Header=BB2_3084 Depth=3
	v_mov_b32_e32 v13, v8
.LBB2_3363:                             ;   in Loop: Header=BB2_3084 Depth=3
	s_or_b32 exec_lo, exec_lo, s18
	v_max_f32_e32 v8, v13, v13
	v_max_f32_e32 v9, v91, v91
	v_min_f32_e32 v91, v9, v8
.LBB2_3364:                             ;   in Loop: Header=BB2_3084 Depth=3
	v_and_b32_e32 v8, 0x7f800000, v91
	v_mov_b32_e32 v13, 0x8000
	s_mov_b32 s18, exec_lo
	v_cmpx_ne_u32_e32 0x7f800000, v8
	s_cbranch_execz .LBB2_3372
; %bb.3365:                             ;   in Loop: Header=BB2_3084 Depth=3
	v_mov_b32_e32 v13, 0
	s_mov_b32 s22, exec_lo
	v_cmpx_ne_u32_e32 0, v91
	s_cbranch_execz .LBB2_3371
; %bb.3366:                             ;   in Loop: Header=BB2_3084 Depth=3
	v_bfe_u32 v8, v91, 23, 8
	v_and_b32_e32 v9, 0x7fffff, v91
	v_sub_nc_u32_e32 v13, 0x78, v8
	v_cmp_gt_u32_e32 vcc_lo, 0x79, v8
	v_or_b32_e32 v92, 0x800000, v9
	v_cndmask_b32_e32 v13, 0, v13, vcc_lo
	v_cmp_eq_u32_e32 vcc_lo, 0, v8
	v_add_nc_u32_e32 v8, 0xffffff89, v8
	v_cndmask_b32_e64 v13, v13, 0x77, vcc_lo
	v_cndmask_b32_e32 v9, v92, v9, vcc_lo
	v_cndmask_b32_e64 v8, v8, 0xffffff8a, vcc_lo
	v_lshl_add_u32 v92, 0x100000, v13, -1
	v_lshrrev_b32_e32 v93, v13, v9
	v_lshlrev_b32_e64 v95, v13, 0x80000
	v_add_nc_u32_e32 v13, v13, v8
	v_and_b32_e32 v9, v92, v9
	v_bfe_u32 v94, v93, 20, 1
	v_cmp_eq_u32_e64 s17, v9, v95
	v_add_nc_u32_e32 v92, -1, v94
	v_cndmask_b32_e64 v9, 0, v92, s17
	v_lshrrev_b32_e32 v92, 23, v93
	s_mov_b32 s17, exec_lo
	v_add_nc_u32_e32 v9, v9, v93
	v_xor_b32_e32 v92, 1, v92
	v_and_b32_e32 v8, 0xfffff, v9
	v_add_nc_u32_e32 v9, v8, v93
                                        ; implicit-def: $vgpr8
	v_cmpx_ne_u32_e64 v13, v92
	s_xor_b32 s17, exec_lo, s17
; %bb.3367:                             ;   in Loop: Header=BB2_3084 Depth=3
	v_cmp_lt_u32_e32 vcc_lo, 0xffffff, v9
	v_sub_nc_u32_e32 v8, v13, v92
	v_cndmask_b32_e64 v13, 0, 1, vcc_lo
	v_add_co_ci_u32_e64 v8, null, 0, v8, vcc_lo
	v_lshrrev_b32_e32 v9, v13, v9
; %bb.3368:                             ;   in Loop: Header=BB2_3084 Depth=3
	s_andn2_saveexec_b32 s17, s17
; %bb.3369:                             ;   in Loop: Header=BB2_3084 Depth=3
	v_bfe_u32 v8, v9, 23, 1
; %bb.3370:                             ;   in Loop: Header=BB2_3084 Depth=3
	s_or_b32 exec_lo, exec_lo, s17
	v_lshrrev_b32_e32 v9, 20, v9
	v_min_i32_e32 v13, 15, v8
	v_cmp_gt_i32_e32 vcc_lo, 16, v8
	v_and_b32_sdwa v91, v91, v103 dst_sel:DWORD dst_unused:UNUSED_PAD src0_sel:BYTE_3 src1_sel:DWORD
	v_lshlrev_b32_e32 v13, 3, v13
	v_cndmask_b32_e32 v9, 7, v9, vcc_lo
	v_and_b32_e32 v13, 0xf8, v13
	v_and_b32_e32 v92, 7, v9
	v_or_b32_e32 v8, v8, v9
	v_or3_b32 v13, v91, v13, v92
	v_cmp_ne_u32_e32 vcc_lo, 0, v8
	v_lshlrev_b32_e32 v9, 8, v13
	v_cndmask_b32_e32 v13, 0, v9, vcc_lo
.LBB2_3371:                             ;   in Loop: Header=BB2_3084 Depth=3
	s_or_b32 exec_lo, exec_lo, s22
.LBB2_3372:                             ;   in Loop: Header=BB2_3084 Depth=3
	s_or_b32 exec_lo, exec_lo, s18
	v_and_b32_e32 v8, 7, v10
	v_bfe_u32 v92, v10, 3, 4
	v_lshlrev_b32_e32 v93, 24, v10
	v_cmp_gt_i16_sdwa s18, v14, v102 src0_sel:BYTE_0 src1_sel:DWORD
	s_mov_b32 s17, -1
	v_ffbh_u32_e32 v9, v8
	v_cmp_eq_u32_e32 vcc_lo, 0, v92
	v_min_u32_e32 v9, 32, v9
	v_subrev_nc_u32_e32 v91, 28, v9
	v_sub_nc_u32_e32 v9, 29, v9
	v_lshlrev_b32_e32 v91, v91, v10
	v_cndmask_b32_e32 v9, v92, v9, vcc_lo
	v_and_b32_e32 v91, 7, v91
	v_lshl_add_u32 v9, v9, 23, 0x3b800000
	v_cndmask_b32_e32 v8, v8, v91, vcc_lo
	v_and_b32_e32 v91, 0x80000000, v93
	s_and_b32 vcc_lo, exec_lo, s75
	v_lshlrev_b32_e32 v8, 20, v8
	v_or3_b32 v8, v91, v9, v8
                                        ; implicit-def: $vgpr9
	s_cbranch_vccz .LBB2_3386
; %bb.3373:                             ;   in Loop: Header=BB2_3084 Depth=3
	s_mov_b32 s17, 0
	s_and_saveexec_b32 s22, s18
	s_xor_b32 s18, exec_lo, s22
	s_cbranch_execz .LBB2_3727
; %bb.3374:                             ;   in Loop: Header=BB2_3084 Depth=3
	v_cmp_eq_u16_sdwa s23, v14, v103 src0_sel:BYTE_0 src1_sel:DWORD
	s_mov_b32 s17, -1
	s_and_saveexec_b32 s22, s23
; %bb.3375:                             ;   in Loop: Header=BB2_3084 Depth=3
	s_xor_b32 s17, exec_lo, -1
; %bb.3376:                             ;   in Loop: Header=BB2_3084 Depth=3
	s_or_b32 exec_lo, exec_lo, s22
	s_and_b32 s17, s17, exec_lo
	s_or_saveexec_b32 s18, s18
	v_mov_b32_e32 v9, 0x7f800001
	s_xor_b32 exec_lo, exec_lo, s18
	s_cbranch_execnz .LBB2_3728
.LBB2_3377:                             ;   in Loop: Header=BB2_3084 Depth=3
	s_or_b32 exec_lo, exec_lo, s18
	s_and_saveexec_b32 s18, s17
	s_cbranch_execz .LBB2_3379
.LBB2_3378:                             ;   in Loop: Header=BB2_3084 Depth=3
	v_and_b32_e32 v9, 7, v14
	v_bfe_u32 v93, v14, 3, 4
	v_lshlrev_b32_e32 v94, 24, v14
	v_ffbh_u32_e32 v91, v9
	v_cmp_eq_u32_e32 vcc_lo, 0, v93
	v_min_u32_e32 v91, 32, v91
	v_subrev_nc_u32_e32 v92, 28, v91
	v_sub_nc_u32_e32 v91, 29, v91
	v_lshlrev_b32_e32 v92, v92, v14
	v_cndmask_b32_e32 v91, v93, v91, vcc_lo
	v_and_b32_e32 v92, 7, v92
	v_lshl_add_u32 v91, v91, 23, 0x3b800000
	v_cndmask_b32_e32 v9, v9, v92, vcc_lo
	v_and_b32_e32 v92, 0x80000000, v94
	v_lshlrev_b32_e32 v9, 20, v9
	v_or3_b32 v9, v92, v91, v9
.LBB2_3379:                             ;   in Loop: Header=BB2_3084 Depth=3
	s_or_b32 exec_lo, exec_lo, s18
	v_cmp_gt_i16_sdwa s18, v10, v102 src0_sel:BYTE_0 src1_sel:DWORD
	s_mov_b32 s17, 0
	s_and_saveexec_b32 s22, s18
	s_xor_b32 s18, exec_lo, s22
	s_cbranch_execz .LBB2_3729
; %bb.3380:                             ;   in Loop: Header=BB2_3084 Depth=3
	v_cmp_eq_u16_sdwa s23, v10, v103 src0_sel:BYTE_0 src1_sel:DWORD
	s_mov_b32 s17, -1
	s_and_saveexec_b32 s22, s23
; %bb.3381:                             ;   in Loop: Header=BB2_3084 Depth=3
	s_xor_b32 s17, exec_lo, -1
; %bb.3382:                             ;   in Loop: Header=BB2_3084 Depth=3
	s_or_b32 exec_lo, exec_lo, s22
	s_and_b32 s17, s17, exec_lo
	s_or_saveexec_b32 s18, s18
	v_mov_b32_e32 v91, 0x7f800001
	s_xor_b32 exec_lo, exec_lo, s18
	s_cbranch_execnz .LBB2_3730
.LBB2_3383:                             ;   in Loop: Header=BB2_3084 Depth=3
	s_or_b32 exec_lo, exec_lo, s18
	s_and_saveexec_b32 s18, s17
.LBB2_3384:                             ;   in Loop: Header=BB2_3084 Depth=3
	v_mov_b32_e32 v91, v8
.LBB2_3385:                             ;   in Loop: Header=BB2_3084 Depth=3
	s_or_b32 exec_lo, exec_lo, s18
	v_max_f32_e32 v91, v91, v91
	v_max_f32_e32 v9, v9, v9
	s_mov_b32 s17, 0
	v_max_f32_e32 v9, v9, v91
.LBB2_3386:                             ;   in Loop: Header=BB2_3084 Depth=3
	s_and_b32 vcc_lo, exec_lo, s17
	s_cbranch_vccz .LBB2_3400
; %bb.3387:                             ;   in Loop: Header=BB2_3084 Depth=3
	v_cmp_gt_i16_sdwa s18, v14, v102 src0_sel:BYTE_0 src1_sel:DWORD
	s_mov_b32 s17, 0
	s_and_saveexec_b32 s22, s18
	s_xor_b32 s18, exec_lo, s22
	s_cbranch_execz .LBB2_3731
; %bb.3388:                             ;   in Loop: Header=BB2_3084 Depth=3
	v_cmp_eq_u16_sdwa s23, v14, v103 src0_sel:BYTE_0 src1_sel:DWORD
	s_mov_b32 s17, -1
	s_and_saveexec_b32 s22, s23
; %bb.3389:                             ;   in Loop: Header=BB2_3084 Depth=3
	s_xor_b32 s17, exec_lo, -1
; %bb.3390:                             ;   in Loop: Header=BB2_3084 Depth=3
	s_or_b32 exec_lo, exec_lo, s22
	s_and_b32 s17, s17, exec_lo
	s_or_saveexec_b32 s18, s18
	v_mov_b32_e32 v9, 0x7f800001
	s_xor_b32 exec_lo, exec_lo, s18
	s_cbranch_execnz .LBB2_3732
.LBB2_3391:                             ;   in Loop: Header=BB2_3084 Depth=3
	s_or_b32 exec_lo, exec_lo, s18
	s_and_saveexec_b32 s18, s17
	s_cbranch_execz .LBB2_3393
.LBB2_3392:                             ;   in Loop: Header=BB2_3084 Depth=3
	v_and_b32_e32 v9, 7, v14
	v_bfe_u32 v93, v14, 3, 4
	v_lshlrev_b32_e32 v94, 24, v14
	v_ffbh_u32_e32 v91, v9
	v_cmp_eq_u32_e32 vcc_lo, 0, v93
	v_min_u32_e32 v91, 32, v91
	v_subrev_nc_u32_e32 v92, 28, v91
	v_sub_nc_u32_e32 v91, 29, v91
	v_lshlrev_b32_e32 v92, v92, v14
	v_cndmask_b32_e32 v91, v93, v91, vcc_lo
	v_and_b32_e32 v92, 7, v92
	v_lshl_add_u32 v91, v91, 23, 0x3b800000
	v_cndmask_b32_e32 v9, v9, v92, vcc_lo
	v_and_b32_e32 v92, 0x80000000, v94
	v_lshlrev_b32_e32 v9, 20, v9
	v_or3_b32 v9, v92, v91, v9
.LBB2_3393:                             ;   in Loop: Header=BB2_3084 Depth=3
	s_or_b32 exec_lo, exec_lo, s18
	v_cmp_gt_i16_sdwa s18, v10, v102 src0_sel:BYTE_0 src1_sel:DWORD
	s_mov_b32 s17, 0
	s_and_saveexec_b32 s22, s18
	s_xor_b32 s18, exec_lo, s22
	s_cbranch_execz .LBB2_3733
; %bb.3394:                             ;   in Loop: Header=BB2_3084 Depth=3
	v_cmp_eq_u16_sdwa s23, v10, v103 src0_sel:BYTE_0 src1_sel:DWORD
	s_mov_b32 s17, -1
	s_and_saveexec_b32 s22, s23
; %bb.3395:                             ;   in Loop: Header=BB2_3084 Depth=3
	s_xor_b32 s17, exec_lo, -1
; %bb.3396:                             ;   in Loop: Header=BB2_3084 Depth=3
	s_or_b32 exec_lo, exec_lo, s22
	s_and_b32 s17, s17, exec_lo
	s_or_saveexec_b32 s18, s18
	v_mov_b32_e32 v91, 0x7f800001
	s_xor_b32 exec_lo, exec_lo, s18
	s_cbranch_execnz .LBB2_3734
.LBB2_3397:                             ;   in Loop: Header=BB2_3084 Depth=3
	s_or_b32 exec_lo, exec_lo, s18
	s_and_saveexec_b32 s18, s17
.LBB2_3398:                             ;   in Loop: Header=BB2_3084 Depth=3
	v_mov_b32_e32 v91, v8
.LBB2_3399:                             ;   in Loop: Header=BB2_3084 Depth=3
	s_or_b32 exec_lo, exec_lo, s18
	v_max_f32_e32 v8, v91, v91
	v_max_f32_e32 v9, v9, v9
	v_min_f32_e32 v9, v9, v8
.LBB2_3400:                             ;   in Loop: Header=BB2_3084 Depth=3
	v_and_b32_e32 v8, 0x7f800000, v9
	v_mov_b32_e32 v91, 0x80
	s_mov_b32 s18, exec_lo
	v_cmpx_ne_u32_e32 0x7f800000, v8
	s_cbranch_execz .LBB2_3408
; %bb.3401:                             ;   in Loop: Header=BB2_3084 Depth=3
	v_mov_b32_e32 v91, 0
	s_mov_b32 s22, exec_lo
	v_cmpx_ne_u32_e32 0, v9
	s_cbranch_execz .LBB2_3407
; %bb.3402:                             ;   in Loop: Header=BB2_3084 Depth=3
	v_bfe_u32 v8, v9, 23, 8
	v_and_b32_e32 v91, 0x7fffff, v9
	v_sub_nc_u32_e32 v92, 0x78, v8
	v_cmp_gt_u32_e32 vcc_lo, 0x79, v8
	v_or_b32_e32 v93, 0x800000, v91
	v_cndmask_b32_e32 v92, 0, v92, vcc_lo
	v_cmp_eq_u32_e32 vcc_lo, 0, v8
	v_add_nc_u32_e32 v8, 0xffffff89, v8
	v_cndmask_b32_e64 v92, v92, 0x77, vcc_lo
	v_cndmask_b32_e32 v91, v93, v91, vcc_lo
	v_cndmask_b32_e64 v8, v8, 0xffffff8a, vcc_lo
	v_lshl_add_u32 v93, 0x100000, v92, -1
	v_lshrrev_b32_e32 v94, v92, v91
	v_lshlrev_b32_e64 v104, v92, 0x80000
	v_add_nc_u32_e32 v92, v92, v8
	v_and_b32_e32 v91, v93, v91
	v_bfe_u32 v95, v94, 20, 1
	v_cmp_eq_u32_e64 s17, v91, v104
	v_add_nc_u32_e32 v93, -1, v95
	v_cndmask_b32_e64 v91, 0, v93, s17
	v_lshrrev_b32_e32 v93, 23, v94
	s_mov_b32 s17, exec_lo
	v_add_nc_u32_e32 v91, v91, v94
	v_xor_b32_e32 v93, 1, v93
	v_and_b32_e32 v8, 0xfffff, v91
	v_add_nc_u32_e32 v91, v8, v94
                                        ; implicit-def: $vgpr8
	v_cmpx_ne_u32_e64 v92, v93
	s_xor_b32 s17, exec_lo, s17
; %bb.3403:                             ;   in Loop: Header=BB2_3084 Depth=3
	v_cmp_lt_u32_e32 vcc_lo, 0xffffff, v91
	v_sub_nc_u32_e32 v8, v92, v93
	v_cndmask_b32_e64 v92, 0, 1, vcc_lo
	v_add_co_ci_u32_e64 v8, null, 0, v8, vcc_lo
	v_lshrrev_b32_e32 v91, v92, v91
; %bb.3404:                             ;   in Loop: Header=BB2_3084 Depth=3
	s_andn2_saveexec_b32 s17, s17
; %bb.3405:                             ;   in Loop: Header=BB2_3084 Depth=3
	v_bfe_u32 v8, v91, 23, 1
; %bb.3406:                             ;   in Loop: Header=BB2_3084 Depth=3
	s_or_b32 exec_lo, exec_lo, s17
	v_lshrrev_b32_e32 v91, 20, v91
	v_min_i32_e32 v92, 15, v8
	v_cmp_gt_i32_e32 vcc_lo, 16, v8
	v_and_b32_sdwa v9, v9, v103 dst_sel:DWORD dst_unused:UNUSED_PAD src0_sel:BYTE_3 src1_sel:DWORD
	v_lshlrev_b32_e32 v92, 3, v92
	v_cndmask_b32_e32 v91, 7, v91, vcc_lo
	v_and_b32_e32 v92, 0xf8, v92
	v_and_b32_e32 v93, 7, v91
	v_or_b32_e32 v8, v8, v91
	v_or3_b32 v9, v92, v9, v93
	v_cmp_ne_u32_e32 vcc_lo, 0, v8
	v_cndmask_b32_e32 v91, 0, v9, vcc_lo
.LBB2_3407:                             ;   in Loop: Header=BB2_3084 Depth=3
	s_or_b32 exec_lo, exec_lo, s22
.LBB2_3408:                             ;   in Loop: Header=BB2_3084 Depth=3
	s_or_b32 exec_lo, exec_lo, s18
	v_and_b32_sdwa v8, v112, v10 dst_sel:DWORD dst_unused:UNUSED_PAD src0_sel:DWORD src1_sel:BYTE_1
	v_cmp_gt_i16_sdwa s18, v14, v102 src0_sel:BYTE_1 src1_sel:DWORD
	s_mov_b32 s17, -1
	v_and_b32_e32 v9, 7, v8
	v_bfe_u32 v94, v8, 3, 4
	v_ffbh_u32_e32 v92, v9
	v_cmp_eq_u32_e32 vcc_lo, 0, v94
	v_min_u32_e32 v92, 32, v92
	v_subrev_nc_u32_e32 v93, 28, v92
	v_sub_nc_u32_e32 v92, 29, v92
	v_lshlrev_b32_e32 v8, v93, v8
	v_lshlrev_b32_sdwa v93, v113, v10 dst_sel:DWORD dst_unused:UNUSED_PAD src0_sel:DWORD src1_sel:BYTE_1
	v_cndmask_b32_e32 v92, v94, v92, vcc_lo
	v_and_b32_e32 v8, 7, v8
	v_lshl_add_u32 v92, v92, 23, 0x3b800000
	v_cndmask_b32_e32 v8, v9, v8, vcc_lo
	v_and_b32_e32 v9, 0x80000000, v93
	s_and_b32 vcc_lo, exec_lo, s75
	v_lshlrev_b32_e32 v8, 20, v8
	v_or3_b32 v8, v9, v92, v8
                                        ; implicit-def: $vgpr9
	s_cbranch_vccz .LBB2_3422
; %bb.3409:                             ;   in Loop: Header=BB2_3084 Depth=3
	s_mov_b32 s17, 0
	s_and_saveexec_b32 s22, s18
	s_xor_b32 s18, exec_lo, s22
	s_cbranch_execz .LBB2_3735
; %bb.3410:                             ;   in Loop: Header=BB2_3084 Depth=3
	v_cmp_eq_u16_sdwa s23, v14, v103 src0_sel:BYTE_1 src1_sel:DWORD
	s_mov_b32 s17, -1
	s_and_saveexec_b32 s22, s23
; %bb.3411:                             ;   in Loop: Header=BB2_3084 Depth=3
	s_xor_b32 s17, exec_lo, -1
; %bb.3412:                             ;   in Loop: Header=BB2_3084 Depth=3
	s_or_b32 exec_lo, exec_lo, s22
	s_and_b32 s17, s17, exec_lo
	s_or_saveexec_b32 s18, s18
	v_mov_b32_e32 v9, 0x7f800001
	s_xor_b32 exec_lo, exec_lo, s18
	s_cbranch_execnz .LBB2_3736
.LBB2_3413:                             ;   in Loop: Header=BB2_3084 Depth=3
	s_or_b32 exec_lo, exec_lo, s18
	s_and_saveexec_b32 s18, s17
	s_cbranch_execz .LBB2_3415
.LBB2_3414:                             ;   in Loop: Header=BB2_3084 Depth=3
	v_and_b32_sdwa v9, v112, v14 dst_sel:DWORD dst_unused:UNUSED_PAD src0_sel:DWORD src1_sel:BYTE_1
	v_and_b32_e32 v92, 7, v9
	v_bfe_u32 v95, v9, 3, 4
	v_ffbh_u32_e32 v93, v92
	v_cmp_eq_u32_e32 vcc_lo, 0, v95
	v_min_u32_e32 v93, 32, v93
	v_subrev_nc_u32_e32 v94, 28, v93
	v_sub_nc_u32_e32 v93, 29, v93
	v_lshlrev_b32_e32 v9, v94, v9
	v_lshlrev_b32_e32 v94, 16, v14
	v_cndmask_b32_e32 v93, v95, v93, vcc_lo
	v_and_b32_e32 v9, 7, v9
	v_lshl_add_u32 v93, v93, 23, 0x3b800000
	v_cndmask_b32_e32 v9, v92, v9, vcc_lo
	v_and_b32_e32 v92, 0x80000000, v94
	v_lshlrev_b32_e32 v9, 20, v9
	v_or3_b32 v9, v92, v93, v9
.LBB2_3415:                             ;   in Loop: Header=BB2_3084 Depth=3
	s_or_b32 exec_lo, exec_lo, s18
	v_cmp_gt_i16_sdwa s18, v10, v102 src0_sel:BYTE_1 src1_sel:DWORD
	s_mov_b32 s17, 0
	s_and_saveexec_b32 s22, s18
	s_xor_b32 s18, exec_lo, s22
	s_cbranch_execz .LBB2_3737
; %bb.3416:                             ;   in Loop: Header=BB2_3084 Depth=3
	v_cmp_eq_u16_sdwa s23, v10, v103 src0_sel:BYTE_1 src1_sel:DWORD
	s_mov_b32 s17, -1
	s_and_saveexec_b32 s22, s23
; %bb.3417:                             ;   in Loop: Header=BB2_3084 Depth=3
	s_xor_b32 s17, exec_lo, -1
; %bb.3418:                             ;   in Loop: Header=BB2_3084 Depth=3
	s_or_b32 exec_lo, exec_lo, s22
	s_and_b32 s17, s17, exec_lo
	s_or_saveexec_b32 s18, s18
	v_mov_b32_e32 v92, 0x7f800001
	s_xor_b32 exec_lo, exec_lo, s18
	s_cbranch_execnz .LBB2_3738
.LBB2_3419:                             ;   in Loop: Header=BB2_3084 Depth=3
	s_or_b32 exec_lo, exec_lo, s18
	s_and_saveexec_b32 s18, s17
.LBB2_3420:                             ;   in Loop: Header=BB2_3084 Depth=3
	v_mov_b32_e32 v92, v8
.LBB2_3421:                             ;   in Loop: Header=BB2_3084 Depth=3
	s_or_b32 exec_lo, exec_lo, s18
	v_max_f32_e32 v92, v92, v92
	v_max_f32_e32 v9, v9, v9
	s_mov_b32 s17, 0
	v_max_f32_e32 v9, v9, v92
.LBB2_3422:                             ;   in Loop: Header=BB2_3084 Depth=3
	s_and_b32 vcc_lo, exec_lo, s17
	s_cbranch_vccz .LBB2_3436
; %bb.3423:                             ;   in Loop: Header=BB2_3084 Depth=3
	v_cmp_gt_i16_sdwa s18, v14, v102 src0_sel:BYTE_1 src1_sel:DWORD
	s_mov_b32 s17, 0
	s_and_saveexec_b32 s22, s18
	s_xor_b32 s18, exec_lo, s22
	s_cbranch_execz .LBB2_3739
; %bb.3424:                             ;   in Loop: Header=BB2_3084 Depth=3
	v_cmp_eq_u16_sdwa s23, v14, v103 src0_sel:BYTE_1 src1_sel:DWORD
	s_mov_b32 s17, -1
	s_and_saveexec_b32 s22, s23
; %bb.3425:                             ;   in Loop: Header=BB2_3084 Depth=3
	s_xor_b32 s17, exec_lo, -1
; %bb.3426:                             ;   in Loop: Header=BB2_3084 Depth=3
	s_or_b32 exec_lo, exec_lo, s22
	s_and_b32 s17, s17, exec_lo
	s_or_saveexec_b32 s18, s18
	v_mov_b32_e32 v9, 0x7f800001
	s_xor_b32 exec_lo, exec_lo, s18
	s_cbranch_execnz .LBB2_3740
.LBB2_3427:                             ;   in Loop: Header=BB2_3084 Depth=3
	s_or_b32 exec_lo, exec_lo, s18
	s_and_saveexec_b32 s18, s17
	s_cbranch_execz .LBB2_3429
.LBB2_3428:                             ;   in Loop: Header=BB2_3084 Depth=3
	v_and_b32_sdwa v9, v112, v14 dst_sel:DWORD dst_unused:UNUSED_PAD src0_sel:DWORD src1_sel:BYTE_1
	v_and_b32_e32 v92, 7, v9
	v_bfe_u32 v95, v9, 3, 4
	v_ffbh_u32_e32 v93, v92
	v_cmp_eq_u32_e32 vcc_lo, 0, v95
	v_min_u32_e32 v93, 32, v93
	v_subrev_nc_u32_e32 v94, 28, v93
	v_sub_nc_u32_e32 v93, 29, v93
	v_lshlrev_b32_e32 v9, v94, v9
	v_lshlrev_b32_e32 v94, 16, v14
	v_cndmask_b32_e32 v93, v95, v93, vcc_lo
	v_and_b32_e32 v9, 7, v9
	v_lshl_add_u32 v93, v93, 23, 0x3b800000
	v_cndmask_b32_e32 v9, v92, v9, vcc_lo
	v_and_b32_e32 v92, 0x80000000, v94
	v_lshlrev_b32_e32 v9, 20, v9
	v_or3_b32 v9, v92, v93, v9
.LBB2_3429:                             ;   in Loop: Header=BB2_3084 Depth=3
	s_or_b32 exec_lo, exec_lo, s18
	v_cmp_gt_i16_sdwa s18, v10, v102 src0_sel:BYTE_1 src1_sel:DWORD
	s_mov_b32 s17, 0
	s_and_saveexec_b32 s22, s18
	s_xor_b32 s18, exec_lo, s22
	s_cbranch_execz .LBB2_3741
; %bb.3430:                             ;   in Loop: Header=BB2_3084 Depth=3
	v_cmp_eq_u16_sdwa s23, v10, v103 src0_sel:BYTE_1 src1_sel:DWORD
	s_mov_b32 s17, -1
	s_and_saveexec_b32 s22, s23
; %bb.3431:                             ;   in Loop: Header=BB2_3084 Depth=3
	s_xor_b32 s17, exec_lo, -1
; %bb.3432:                             ;   in Loop: Header=BB2_3084 Depth=3
	s_or_b32 exec_lo, exec_lo, s22
	s_and_b32 s17, s17, exec_lo
	s_or_saveexec_b32 s18, s18
	v_mov_b32_e32 v92, 0x7f800001
	s_xor_b32 exec_lo, exec_lo, s18
	s_cbranch_execnz .LBB2_3742
.LBB2_3433:                             ;   in Loop: Header=BB2_3084 Depth=3
	s_or_b32 exec_lo, exec_lo, s18
	s_and_saveexec_b32 s18, s17
.LBB2_3434:                             ;   in Loop: Header=BB2_3084 Depth=3
	v_mov_b32_e32 v92, v8
.LBB2_3435:                             ;   in Loop: Header=BB2_3084 Depth=3
	s_or_b32 exec_lo, exec_lo, s18
	v_max_f32_e32 v8, v92, v92
	v_max_f32_e32 v9, v9, v9
	v_min_f32_e32 v9, v9, v8
.LBB2_3436:                             ;   in Loop: Header=BB2_3084 Depth=3
	v_and_b32_e32 v8, 0x7f800000, v9
	v_mov_b32_e32 v92, 0x8000
	s_mov_b32 s18, exec_lo
	v_cmpx_ne_u32_e32 0x7f800000, v8
	s_cbranch_execz .LBB2_3444
; %bb.3437:                             ;   in Loop: Header=BB2_3084 Depth=3
	v_mov_b32_e32 v92, 0
	s_mov_b32 s22, exec_lo
	v_cmpx_ne_u32_e32 0, v9
	s_cbranch_execz .LBB2_3443
; %bb.3438:                             ;   in Loop: Header=BB2_3084 Depth=3
	v_bfe_u32 v8, v9, 23, 8
	v_and_b32_e32 v92, 0x7fffff, v9
	v_sub_nc_u32_e32 v93, 0x78, v8
	v_cmp_gt_u32_e32 vcc_lo, 0x79, v8
	v_or_b32_e32 v94, 0x800000, v92
	v_cndmask_b32_e32 v93, 0, v93, vcc_lo
	v_cmp_eq_u32_e32 vcc_lo, 0, v8
	v_add_nc_u32_e32 v8, 0xffffff89, v8
	v_cndmask_b32_e64 v93, v93, 0x77, vcc_lo
	v_cndmask_b32_e32 v92, v94, v92, vcc_lo
	v_cndmask_b32_e64 v8, v8, 0xffffff8a, vcc_lo
	v_lshl_add_u32 v94, 0x100000, v93, -1
	v_lshrrev_b32_e32 v95, v93, v92
	v_lshlrev_b32_e64 v105, v93, 0x80000
	v_add_nc_u32_e32 v93, v93, v8
	v_and_b32_e32 v92, v94, v92
	v_bfe_u32 v104, v95, 20, 1
	v_cmp_eq_u32_e64 s17, v92, v105
	v_add_nc_u32_e32 v94, -1, v104
	v_cndmask_b32_e64 v92, 0, v94, s17
	v_lshrrev_b32_e32 v94, 23, v95
	s_mov_b32 s17, exec_lo
	v_add_nc_u32_e32 v92, v92, v95
	v_xor_b32_e32 v94, 1, v94
	v_and_b32_e32 v8, 0xfffff, v92
	v_add_nc_u32_e32 v92, v8, v95
                                        ; implicit-def: $vgpr8
	v_cmpx_ne_u32_e64 v93, v94
	s_xor_b32 s17, exec_lo, s17
; %bb.3439:                             ;   in Loop: Header=BB2_3084 Depth=3
	v_cmp_lt_u32_e32 vcc_lo, 0xffffff, v92
	v_sub_nc_u32_e32 v8, v93, v94
	v_cndmask_b32_e64 v93, 0, 1, vcc_lo
	v_add_co_ci_u32_e64 v8, null, 0, v8, vcc_lo
	v_lshrrev_b32_e32 v92, v93, v92
; %bb.3440:                             ;   in Loop: Header=BB2_3084 Depth=3
	s_andn2_saveexec_b32 s17, s17
; %bb.3441:                             ;   in Loop: Header=BB2_3084 Depth=3
	v_bfe_u32 v8, v92, 23, 1
; %bb.3442:                             ;   in Loop: Header=BB2_3084 Depth=3
	s_or_b32 exec_lo, exec_lo, s17
	v_lshrrev_b32_e32 v92, 20, v92
	v_min_i32_e32 v93, 15, v8
	v_cmp_gt_i32_e32 vcc_lo, 16, v8
	v_and_b32_sdwa v9, v9, v103 dst_sel:DWORD dst_unused:UNUSED_PAD src0_sel:BYTE_3 src1_sel:DWORD
	v_lshlrev_b32_e32 v93, 3, v93
	v_cndmask_b32_e32 v92, 7, v92, vcc_lo
	v_and_b32_e32 v93, 0xf8, v93
	v_and_b32_e32 v94, 7, v92
	v_or_b32_e32 v8, v8, v92
	v_or3_b32 v9, v9, v93, v94
	v_cmp_ne_u32_e32 vcc_lo, 0, v8
	v_lshlrev_b32_e32 v9, 8, v9
	v_cndmask_b32_e32 v92, 0, v9, vcc_lo
.LBB2_3443:                             ;   in Loop: Header=BB2_3084 Depth=3
	s_or_b32 exec_lo, exec_lo, s22
.LBB2_3444:                             ;   in Loop: Header=BB2_3084 Depth=3
	s_or_b32 exec_lo, exec_lo, s18
	v_bfe_u32 v8, v10, 16, 3
	v_bfe_u32 v94, v10, 19, 4
	v_lshlrev_b32_e32 v95, 8, v10
	s_mov_b32 s18, -1
	v_ffbh_u32_e32 v9, v8
	v_cmp_eq_u32_e32 vcc_lo, 0, v94
	v_min_u32_e32 v9, 32, v9
	v_subrev_nc_u32_e32 v93, 28, v9
	v_sub_nc_u32_e32 v9, 29, v9
	v_lshlrev_b32_sdwa v93, v93, v10 dst_sel:DWORD dst_unused:UNUSED_PAD src0_sel:DWORD src1_sel:WORD_1
	v_cndmask_b32_e32 v9, v94, v9, vcc_lo
	v_and_b32_e32 v93, 7, v93
	v_lshl_add_u32 v94, v9, 23, 0x3b800000
	v_and_b32_sdwa v9, v14, v114 dst_sel:DWORD dst_unused:UNUSED_PAD src0_sel:WORD_1 src1_sel:DWORD
	v_cndmask_b32_e32 v8, v8, v93, vcc_lo
	v_and_b32_e32 v93, 0x80000000, v95
	v_cmp_lt_i16_e64 s17, 0x7f, v9
	s_and_b32 vcc_lo, exec_lo, s75
	v_lshlrev_b32_e32 v8, 20, v8
	v_or3_b32 v8, v93, v94, v8
                                        ; implicit-def: $vgpr94
	s_cbranch_vccz .LBB2_3458
; %bb.3445:                             ;   in Loop: Header=BB2_3084 Depth=3
	s_mov_b32 s18, 0
	s_and_saveexec_b32 s22, s17
	s_xor_b32 s17, exec_lo, s22
	s_cbranch_execz .LBB2_3743
; %bb.3446:                             ;   in Loop: Header=BB2_3084 Depth=3
	s_mov_b32 s18, -1
	s_mov_b32 s22, exec_lo
	v_cmpx_eq_u16_e32 0x80, v9
; %bb.3447:                             ;   in Loop: Header=BB2_3084 Depth=3
	s_xor_b32 s18, exec_lo, -1
; %bb.3448:                             ;   in Loop: Header=BB2_3084 Depth=3
	s_or_b32 exec_lo, exec_lo, s22
	s_and_b32 s18, s18, exec_lo
	s_or_saveexec_b32 s17, s17
	v_mov_b32_e32 v93, 0x7f800001
	s_xor_b32 exec_lo, exec_lo, s17
	s_cbranch_execnz .LBB2_3744
.LBB2_3449:                             ;   in Loop: Header=BB2_3084 Depth=3
	s_or_b32 exec_lo, exec_lo, s17
	s_and_saveexec_b32 s17, s18
	s_cbranch_execz .LBB2_3451
.LBB2_3450:                             ;   in Loop: Header=BB2_3084 Depth=3
	v_bfe_u32 v93, v14, 16, 3
	v_bfe_u32 v104, v14, 19, 4
	v_lshlrev_b32_sdwa v105, v113, v14 dst_sel:DWORD dst_unused:UNUSED_PAD src0_sel:DWORD src1_sel:WORD_1
	v_ffbh_u32_e32 v94, v93
	v_cmp_eq_u32_e32 vcc_lo, 0, v104
	v_min_u32_e32 v94, 32, v94
	v_subrev_nc_u32_e32 v95, 28, v94
	v_sub_nc_u32_e32 v94, 29, v94
	v_lshlrev_b32_sdwa v95, v95, v14 dst_sel:DWORD dst_unused:UNUSED_PAD src0_sel:DWORD src1_sel:WORD_1
	v_cndmask_b32_e32 v94, v104, v94, vcc_lo
	v_and_b32_e32 v95, 7, v95
	v_lshl_add_u32 v94, v94, 23, 0x3b800000
	v_cndmask_b32_e32 v93, v93, v95, vcc_lo
	v_and_b32_e32 v95, 0x80000000, v105
	v_lshlrev_b32_e32 v93, 20, v93
	v_or3_b32 v93, v95, v94, v93
.LBB2_3451:                             ;   in Loop: Header=BB2_3084 Depth=3
	s_or_b32 exec_lo, exec_lo, s17
	v_and_b32_sdwa v95, v10, v114 dst_sel:DWORD dst_unused:UNUSED_PAD src0_sel:WORD_1 src1_sel:DWORD
	s_mov_b32 s17, 0
	s_mov_b32 s18, exec_lo
	v_cmpx_lt_i16_e32 0x7f, v95
	s_xor_b32 s18, exec_lo, s18
	s_cbranch_execz .LBB2_3745
; %bb.3452:                             ;   in Loop: Header=BB2_3084 Depth=3
	s_mov_b32 s17, -1
	s_mov_b32 s22, exec_lo
	v_cmpx_eq_u16_e32 0x80, v95
; %bb.3453:                             ;   in Loop: Header=BB2_3084 Depth=3
	s_xor_b32 s17, exec_lo, -1
; %bb.3454:                             ;   in Loop: Header=BB2_3084 Depth=3
	s_or_b32 exec_lo, exec_lo, s22
	s_and_b32 s17, s17, exec_lo
                                        ; implicit-def: $vgpr95
	s_or_saveexec_b32 s18, s18
	v_mov_b32_e32 v94, 0x7f800001
	s_xor_b32 exec_lo, exec_lo, s18
	s_cbranch_execnz .LBB2_3746
.LBB2_3455:                             ;   in Loop: Header=BB2_3084 Depth=3
	s_or_b32 exec_lo, exec_lo, s18
	s_and_saveexec_b32 s18, s17
.LBB2_3456:                             ;   in Loop: Header=BB2_3084 Depth=3
	v_mov_b32_e32 v94, v8
.LBB2_3457:                             ;   in Loop: Header=BB2_3084 Depth=3
	s_or_b32 exec_lo, exec_lo, s18
	v_max_f32_e32 v94, v94, v94
	v_max_f32_e32 v93, v93, v93
	s_mov_b32 s18, 0
	v_max_f32_e32 v94, v93, v94
.LBB2_3458:                             ;   in Loop: Header=BB2_3084 Depth=3
	s_and_b32 vcc_lo, exec_lo, s18
	s_cbranch_vccz .LBB2_3472
; %bb.3459:                             ;   in Loop: Header=BB2_3084 Depth=3
	s_mov_b32 s17, 0
	s_mov_b32 s18, exec_lo
	v_cmpx_lt_i16_e32 0x7f, v9
	s_xor_b32 s18, exec_lo, s18
	s_cbranch_execz .LBB2_3747
; %bb.3460:                             ;   in Loop: Header=BB2_3084 Depth=3
	s_mov_b32 s17, -1
	s_mov_b32 s22, exec_lo
	v_cmpx_eq_u16_e32 0x80, v9
; %bb.3461:                             ;   in Loop: Header=BB2_3084 Depth=3
	s_xor_b32 s17, exec_lo, -1
; %bb.3462:                             ;   in Loop: Header=BB2_3084 Depth=3
	s_or_b32 exec_lo, exec_lo, s22
	s_and_b32 s17, s17, exec_lo
                                        ; implicit-def: $vgpr9
	s_or_saveexec_b32 s18, s18
	v_mov_b32_e32 v93, 0x7f800001
	s_xor_b32 exec_lo, exec_lo, s18
	s_cbranch_execnz .LBB2_3748
.LBB2_3463:                             ;   in Loop: Header=BB2_3084 Depth=3
	s_or_b32 exec_lo, exec_lo, s18
	s_and_saveexec_b32 s18, s17
	s_cbranch_execz .LBB2_3465
.LBB2_3464:                             ;   in Loop: Header=BB2_3084 Depth=3
	v_bfe_u32 v9, v14, 16, 3
	v_bfe_u32 v95, v14, 19, 4
	v_lshlrev_b32_sdwa v104, v113, v14 dst_sel:DWORD dst_unused:UNUSED_PAD src0_sel:DWORD src1_sel:WORD_1
	v_ffbh_u32_e32 v93, v9
	v_cmp_eq_u32_e32 vcc_lo, 0, v95
	v_min_u32_e32 v93, 32, v93
	v_subrev_nc_u32_e32 v94, 28, v93
	v_sub_nc_u32_e32 v93, 29, v93
	v_lshlrev_b32_sdwa v94, v94, v14 dst_sel:DWORD dst_unused:UNUSED_PAD src0_sel:DWORD src1_sel:WORD_1
	v_cndmask_b32_e32 v93, v95, v93, vcc_lo
	v_and_b32_e32 v94, 7, v94
	v_lshl_add_u32 v93, v93, 23, 0x3b800000
	v_cndmask_b32_e32 v9, v9, v94, vcc_lo
	v_and_b32_e32 v94, 0x80000000, v104
	v_lshlrev_b32_e32 v9, 20, v9
	v_or3_b32 v93, v94, v93, v9
.LBB2_3465:                             ;   in Loop: Header=BB2_3084 Depth=3
	s_or_b32 exec_lo, exec_lo, s18
	v_and_b32_sdwa v94, v10, v114 dst_sel:DWORD dst_unused:UNUSED_PAD src0_sel:WORD_1 src1_sel:DWORD
	s_mov_b32 s17, 0
	s_mov_b32 s18, exec_lo
	v_cmpx_lt_i16_e32 0x7f, v94
	s_xor_b32 s18, exec_lo, s18
	s_cbranch_execz .LBB2_3749
; %bb.3466:                             ;   in Loop: Header=BB2_3084 Depth=3
	s_mov_b32 s17, -1
	s_mov_b32 s22, exec_lo
	v_cmpx_eq_u16_e32 0x80, v94
; %bb.3467:                             ;   in Loop: Header=BB2_3084 Depth=3
	s_xor_b32 s17, exec_lo, -1
; %bb.3468:                             ;   in Loop: Header=BB2_3084 Depth=3
	s_or_b32 exec_lo, exec_lo, s22
	s_and_b32 s17, s17, exec_lo
                                        ; implicit-def: $vgpr94
	s_or_saveexec_b32 s18, s18
	v_mov_b32_e32 v9, 0x7f800001
	s_xor_b32 exec_lo, exec_lo, s18
	s_cbranch_execnz .LBB2_3750
.LBB2_3469:                             ;   in Loop: Header=BB2_3084 Depth=3
	s_or_b32 exec_lo, exec_lo, s18
	s_and_saveexec_b32 s18, s17
.LBB2_3470:                             ;   in Loop: Header=BB2_3084 Depth=3
	v_mov_b32_e32 v9, v8
.LBB2_3471:                             ;   in Loop: Header=BB2_3084 Depth=3
	s_or_b32 exec_lo, exec_lo, s18
	v_max_f32_e32 v8, v9, v9
	v_max_f32_e32 v9, v93, v93
	v_min_f32_e32 v94, v9, v8
.LBB2_3472:                             ;   in Loop: Header=BB2_3084 Depth=3
	v_and_b32_e32 v8, 0x7f800000, v94
	v_mov_b32_e32 v93, 0x80
	s_mov_b32 s18, exec_lo
	v_cmpx_ne_u32_e32 0x7f800000, v8
	s_cbranch_execz .LBB2_3480
; %bb.3473:                             ;   in Loop: Header=BB2_3084 Depth=3
	v_mov_b32_e32 v93, 0
	s_mov_b32 s22, exec_lo
	v_cmpx_ne_u32_e32 0, v94
	s_cbranch_execz .LBB2_3479
; %bb.3474:                             ;   in Loop: Header=BB2_3084 Depth=3
	v_bfe_u32 v8, v94, 23, 8
	v_and_b32_e32 v9, 0x7fffff, v94
	v_sub_nc_u32_e32 v93, 0x78, v8
	v_cmp_gt_u32_e32 vcc_lo, 0x79, v8
	v_or_b32_e32 v95, 0x800000, v9
	v_cndmask_b32_e32 v93, 0, v93, vcc_lo
	v_cmp_eq_u32_e32 vcc_lo, 0, v8
	v_add_nc_u32_e32 v8, 0xffffff89, v8
	v_cndmask_b32_e64 v93, v93, 0x77, vcc_lo
	v_cndmask_b32_e32 v9, v95, v9, vcc_lo
	v_cndmask_b32_e64 v8, v8, 0xffffff8a, vcc_lo
	v_lshl_add_u32 v95, 0x100000, v93, -1
	v_lshrrev_b32_e32 v104, v93, v9
	v_lshlrev_b32_e64 v106, v93, 0x80000
	v_add_nc_u32_e32 v93, v93, v8
	v_and_b32_e32 v9, v95, v9
	v_bfe_u32 v105, v104, 20, 1
	v_cmp_eq_u32_e64 s17, v9, v106
	v_add_nc_u32_e32 v95, -1, v105
	v_cndmask_b32_e64 v9, 0, v95, s17
	v_lshrrev_b32_e32 v95, 23, v104
	s_mov_b32 s17, exec_lo
	v_add_nc_u32_e32 v9, v9, v104
	v_xor_b32_e32 v95, 1, v95
	v_and_b32_e32 v8, 0xfffff, v9
	v_add_nc_u32_e32 v9, v8, v104
                                        ; implicit-def: $vgpr8
	v_cmpx_ne_u32_e64 v93, v95
	s_xor_b32 s17, exec_lo, s17
; %bb.3475:                             ;   in Loop: Header=BB2_3084 Depth=3
	v_cmp_lt_u32_e32 vcc_lo, 0xffffff, v9
	v_sub_nc_u32_e32 v8, v93, v95
	v_cndmask_b32_e64 v93, 0, 1, vcc_lo
	v_add_co_ci_u32_e64 v8, null, 0, v8, vcc_lo
	v_lshrrev_b32_e32 v9, v93, v9
; %bb.3476:                             ;   in Loop: Header=BB2_3084 Depth=3
	s_andn2_saveexec_b32 s17, s17
; %bb.3477:                             ;   in Loop: Header=BB2_3084 Depth=3
	v_bfe_u32 v8, v9, 23, 1
; %bb.3478:                             ;   in Loop: Header=BB2_3084 Depth=3
	s_or_b32 exec_lo, exec_lo, s17
	v_lshrrev_b32_e32 v9, 20, v9
	v_min_i32_e32 v93, 15, v8
	v_cmp_gt_i32_e32 vcc_lo, 16, v8
	v_and_b32_sdwa v94, v94, v103 dst_sel:DWORD dst_unused:UNUSED_PAD src0_sel:BYTE_3 src1_sel:DWORD
	v_lshlrev_b32_e32 v93, 3, v93
	v_cndmask_b32_e32 v9, 7, v9, vcc_lo
	v_and_b32_e32 v93, 0xf8, v93
	v_and_b32_e32 v95, 7, v9
	v_or_b32_e32 v8, v8, v9
	v_or3_b32 v9, v93, v94, v95
	v_cmp_ne_u32_e32 vcc_lo, 0, v8
	v_cndmask_b32_e32 v93, 0, v9, vcc_lo
.LBB2_3479:                             ;   in Loop: Header=BB2_3084 Depth=3
	s_or_b32 exec_lo, exec_lo, s22
.LBB2_3480:                             ;   in Loop: Header=BB2_3084 Depth=3
	s_or_b32 exec_lo, exec_lo, s18
	v_bfe_u32 v8, v10, 24, 3
	v_bfe_u32 v95, v10, 27, 4
	v_cmp_gt_i16_sdwa s18, v14, v102 src0_sel:BYTE_3 src1_sel:DWORD
	s_mov_b32 s17, -1
	v_ffbh_u32_e32 v9, v8
	v_cmp_eq_u32_e32 vcc_lo, 0, v95
	v_min_u32_e32 v9, 32, v9
	v_subrev_nc_u32_e32 v94, 28, v9
	v_sub_nc_u32_e32 v9, 29, v9
	v_lshlrev_b32_sdwa v94, v94, v10 dst_sel:DWORD dst_unused:UNUSED_PAD src0_sel:DWORD src1_sel:BYTE_3
	v_cndmask_b32_e32 v9, v95, v9, vcc_lo
	v_and_b32_e32 v94, 7, v94
	v_lshl_add_u32 v9, v9, 23, 0x3b800000
	v_cndmask_b32_e32 v8, v8, v94, vcc_lo
	v_and_b32_e32 v94, 0x80000000, v10
	s_and_b32 vcc_lo, exec_lo, s75
	v_lshlrev_b32_e32 v8, 20, v8
	v_or3_b32 v8, v94, v9, v8
                                        ; implicit-def: $vgpr9
	s_cbranch_vccz .LBB2_3494
; %bb.3481:                             ;   in Loop: Header=BB2_3084 Depth=3
	s_mov_b32 s17, 0
	s_and_saveexec_b32 s22, s18
	s_xor_b32 s18, exec_lo, s22
	s_cbranch_execz .LBB2_3751
; %bb.3482:                             ;   in Loop: Header=BB2_3084 Depth=3
	v_cmp_eq_u16_sdwa s23, v14, v103 src0_sel:BYTE_3 src1_sel:DWORD
	s_mov_b32 s17, -1
	s_and_saveexec_b32 s22, s23
; %bb.3483:                             ;   in Loop: Header=BB2_3084 Depth=3
	s_xor_b32 s17, exec_lo, -1
; %bb.3484:                             ;   in Loop: Header=BB2_3084 Depth=3
	s_or_b32 exec_lo, exec_lo, s22
	s_and_b32 s17, s17, exec_lo
	s_or_saveexec_b32 s18, s18
	v_mov_b32_e32 v9, 0x7f800001
	s_xor_b32 exec_lo, exec_lo, s18
	s_cbranch_execnz .LBB2_3752
.LBB2_3485:                             ;   in Loop: Header=BB2_3084 Depth=3
	s_or_b32 exec_lo, exec_lo, s18
	s_and_saveexec_b32 s18, s17
	s_cbranch_execz .LBB2_3487
.LBB2_3486:                             ;   in Loop: Header=BB2_3084 Depth=3
	v_bfe_u32 v9, v14, 24, 3
	v_bfe_u32 v104, v14, 27, 4
	v_ffbh_u32_e32 v94, v9
	v_cmp_eq_u32_e32 vcc_lo, 0, v104
	v_min_u32_e32 v94, 32, v94
	v_subrev_nc_u32_e32 v95, 28, v94
	v_sub_nc_u32_e32 v94, 29, v94
	v_lshlrev_b32_sdwa v95, v95, v14 dst_sel:DWORD dst_unused:UNUSED_PAD src0_sel:DWORD src1_sel:BYTE_3
	v_cndmask_b32_e32 v94, v104, v94, vcc_lo
	v_and_b32_e32 v95, 7, v95
	v_lshl_add_u32 v94, v94, 23, 0x3b800000
	v_cndmask_b32_e32 v9, v9, v95, vcc_lo
	v_and_b32_e32 v95, 0x80000000, v14
	v_lshlrev_b32_e32 v9, 20, v9
	v_or3_b32 v9, v95, v94, v9
.LBB2_3487:                             ;   in Loop: Header=BB2_3084 Depth=3
	s_or_b32 exec_lo, exec_lo, s18
	v_cmp_gt_i16_sdwa s18, v10, v102 src0_sel:BYTE_3 src1_sel:DWORD
	s_mov_b32 s17, 0
	s_and_saveexec_b32 s22, s18
	s_xor_b32 s18, exec_lo, s22
	s_cbranch_execz .LBB2_3753
; %bb.3488:                             ;   in Loop: Header=BB2_3084 Depth=3
	v_cmp_eq_u16_sdwa s23, v10, v103 src0_sel:BYTE_3 src1_sel:DWORD
	s_mov_b32 s17, -1
	s_and_saveexec_b32 s22, s23
; %bb.3489:                             ;   in Loop: Header=BB2_3084 Depth=3
	s_xor_b32 s17, exec_lo, -1
; %bb.3490:                             ;   in Loop: Header=BB2_3084 Depth=3
	s_or_b32 exec_lo, exec_lo, s22
	s_and_b32 s17, s17, exec_lo
	s_or_saveexec_b32 s18, s18
	v_mov_b32_e32 v94, 0x7f800001
	s_xor_b32 exec_lo, exec_lo, s18
	s_cbranch_execnz .LBB2_3754
.LBB2_3491:                             ;   in Loop: Header=BB2_3084 Depth=3
	s_or_b32 exec_lo, exec_lo, s18
	s_and_saveexec_b32 s18, s17
.LBB2_3492:                             ;   in Loop: Header=BB2_3084 Depth=3
	v_mov_b32_e32 v94, v8
.LBB2_3493:                             ;   in Loop: Header=BB2_3084 Depth=3
	s_or_b32 exec_lo, exec_lo, s18
	v_max_f32_e32 v94, v94, v94
	v_max_f32_e32 v9, v9, v9
	s_mov_b32 s17, 0
	v_max_f32_e32 v9, v9, v94
.LBB2_3494:                             ;   in Loop: Header=BB2_3084 Depth=3
	s_and_b32 vcc_lo, exec_lo, s17
	s_cbranch_vccz .LBB2_3508
; %bb.3495:                             ;   in Loop: Header=BB2_3084 Depth=3
	v_cmp_gt_i16_sdwa s18, v14, v102 src0_sel:BYTE_3 src1_sel:DWORD
	s_mov_b32 s17, 0
	s_and_saveexec_b32 s22, s18
	s_xor_b32 s18, exec_lo, s22
	s_cbranch_execz .LBB2_3755
; %bb.3496:                             ;   in Loop: Header=BB2_3084 Depth=3
	v_cmp_eq_u16_sdwa s23, v14, v103 src0_sel:BYTE_3 src1_sel:DWORD
	s_mov_b32 s17, -1
	s_and_saveexec_b32 s22, s23
; %bb.3497:                             ;   in Loop: Header=BB2_3084 Depth=3
	s_xor_b32 s17, exec_lo, -1
; %bb.3498:                             ;   in Loop: Header=BB2_3084 Depth=3
	s_or_b32 exec_lo, exec_lo, s22
	s_and_b32 s17, s17, exec_lo
	s_or_saveexec_b32 s18, s18
	v_mov_b32_e32 v9, 0x7f800001
	s_xor_b32 exec_lo, exec_lo, s18
	s_cbranch_execnz .LBB2_3756
.LBB2_3499:                             ;   in Loop: Header=BB2_3084 Depth=3
	s_or_b32 exec_lo, exec_lo, s18
	s_and_saveexec_b32 s18, s17
	s_cbranch_execz .LBB2_3501
.LBB2_3500:                             ;   in Loop: Header=BB2_3084 Depth=3
	v_bfe_u32 v9, v14, 24, 3
	v_bfe_u32 v104, v14, 27, 4
	v_ffbh_u32_e32 v94, v9
	v_cmp_eq_u32_e32 vcc_lo, 0, v104
	v_min_u32_e32 v94, 32, v94
	v_subrev_nc_u32_e32 v95, 28, v94
	v_sub_nc_u32_e32 v94, 29, v94
	v_lshlrev_b32_sdwa v95, v95, v14 dst_sel:DWORD dst_unused:UNUSED_PAD src0_sel:DWORD src1_sel:BYTE_3
	v_cndmask_b32_e32 v94, v104, v94, vcc_lo
	v_and_b32_e32 v14, 0x80000000, v14
	v_and_b32_e32 v95, 7, v95
	v_lshl_add_u32 v94, v94, 23, 0x3b800000
	v_cndmask_b32_e32 v9, v9, v95, vcc_lo
	v_lshlrev_b32_e32 v9, 20, v9
	v_or3_b32 v9, v14, v94, v9
.LBB2_3501:                             ;   in Loop: Header=BB2_3084 Depth=3
	s_or_b32 exec_lo, exec_lo, s18
	v_cmp_gt_i16_sdwa s18, v10, v102 src0_sel:BYTE_3 src1_sel:DWORD
	s_mov_b32 s17, 0
	s_and_saveexec_b32 s22, s18
	s_xor_b32 s18, exec_lo, s22
	s_cbranch_execz .LBB2_3757
; %bb.3502:                             ;   in Loop: Header=BB2_3084 Depth=3
	v_cmp_eq_u16_sdwa s23, v10, v103 src0_sel:BYTE_3 src1_sel:DWORD
	s_mov_b32 s17, -1
	s_and_saveexec_b32 s22, s23
; %bb.3503:                             ;   in Loop: Header=BB2_3084 Depth=3
	s_xor_b32 s17, exec_lo, -1
; %bb.3504:                             ;   in Loop: Header=BB2_3084 Depth=3
	s_or_b32 exec_lo, exec_lo, s22
	s_and_b32 s17, s17, exec_lo
	s_or_saveexec_b32 s18, s18
	v_mov_b32_e32 v14, 0x7f800001
	s_xor_b32 exec_lo, exec_lo, s18
	s_cbranch_execnz .LBB2_3758
.LBB2_3505:                             ;   in Loop: Header=BB2_3084 Depth=3
	s_or_b32 exec_lo, exec_lo, s18
	s_and_saveexec_b32 s18, s17
.LBB2_3506:                             ;   in Loop: Header=BB2_3084 Depth=3
	v_mov_b32_e32 v14, v8
.LBB2_3507:                             ;   in Loop: Header=BB2_3084 Depth=3
	s_or_b32 exec_lo, exec_lo, s18
	v_max_f32_e32 v8, v14, v14
	v_max_f32_e32 v9, v9, v9
	v_min_f32_e32 v9, v9, v8
.LBB2_3508:                             ;   in Loop: Header=BB2_3084 Depth=3
	v_and_b32_e32 v8, 0x7f800000, v9
	v_mov_b32_e32 v14, 0x8000
	s_mov_b32 s18, exec_lo
	v_cmpx_ne_u32_e32 0x7f800000, v8
	s_cbranch_execz .LBB2_3516
; %bb.3509:                             ;   in Loop: Header=BB2_3084 Depth=3
	v_mov_b32_e32 v14, 0
	s_mov_b32 s22, exec_lo
	v_cmpx_ne_u32_e32 0, v9
	s_cbranch_execz .LBB2_3515
; %bb.3510:                             ;   in Loop: Header=BB2_3084 Depth=3
	v_bfe_u32 v8, v9, 23, 8
	v_and_b32_e32 v10, 0x7fffff, v9
	v_sub_nc_u32_e32 v14, 0x78, v8
	v_cmp_gt_u32_e32 vcc_lo, 0x79, v8
	v_or_b32_e32 v94, 0x800000, v10
	v_cndmask_b32_e32 v14, 0, v14, vcc_lo
	v_cmp_eq_u32_e32 vcc_lo, 0, v8
	v_add_nc_u32_e32 v8, 0xffffff89, v8
	v_cndmask_b32_e64 v14, v14, 0x77, vcc_lo
	v_cndmask_b32_e32 v10, v94, v10, vcc_lo
	v_cndmask_b32_e64 v8, v8, 0xffffff8a, vcc_lo
	v_lshl_add_u32 v94, 0x100000, v14, -1
	v_lshrrev_b32_e32 v95, v14, v10
	v_lshlrev_b32_e64 v105, v14, 0x80000
	v_add_nc_u32_e32 v14, v14, v8
	v_and_b32_e32 v10, v94, v10
	v_bfe_u32 v104, v95, 20, 1
	v_cmp_eq_u32_e64 s17, v10, v105
	v_add_nc_u32_e32 v94, -1, v104
	v_cndmask_b32_e64 v10, 0, v94, s17
	v_lshrrev_b32_e32 v94, 23, v95
	s_mov_b32 s17, exec_lo
	v_add_nc_u32_e32 v10, v10, v95
	v_xor_b32_e32 v94, 1, v94
	v_and_b32_e32 v8, 0xfffff, v10
	v_add_nc_u32_e32 v10, v8, v95
                                        ; implicit-def: $vgpr8
	v_cmpx_ne_u32_e64 v14, v94
	s_xor_b32 s17, exec_lo, s17
; %bb.3511:                             ;   in Loop: Header=BB2_3084 Depth=3
	v_cmp_lt_u32_e32 vcc_lo, 0xffffff, v10
	v_sub_nc_u32_e32 v8, v14, v94
	v_cndmask_b32_e64 v14, 0, 1, vcc_lo
	v_add_co_ci_u32_e64 v8, null, 0, v8, vcc_lo
	v_lshrrev_b32_e32 v10, v14, v10
; %bb.3512:                             ;   in Loop: Header=BB2_3084 Depth=3
	s_andn2_saveexec_b32 s17, s17
; %bb.3513:                             ;   in Loop: Header=BB2_3084 Depth=3
	v_bfe_u32 v8, v10, 23, 1
; %bb.3514:                             ;   in Loop: Header=BB2_3084 Depth=3
	s_or_b32 exec_lo, exec_lo, s17
	v_lshrrev_b32_e32 v10, 20, v10
	v_min_i32_e32 v14, 15, v8
	v_cmp_gt_i32_e32 vcc_lo, 16, v8
	v_and_b32_sdwa v9, v9, v103 dst_sel:DWORD dst_unused:UNUSED_PAD src0_sel:BYTE_3 src1_sel:DWORD
	v_lshlrev_b32_e32 v14, 3, v14
	v_cndmask_b32_e32 v10, 7, v10, vcc_lo
	v_and_b32_e32 v14, 0xf8, v14
	v_and_b32_e32 v94, 7, v10
	v_or_b32_e32 v8, v8, v10
	v_or3_b32 v9, v9, v14, v94
	v_cmp_ne_u32_e32 vcc_lo, 0, v8
	v_lshlrev_b32_e32 v9, 8, v9
	v_cndmask_b32_e32 v14, 0, v9, vcc_lo
.LBB2_3515:                             ;   in Loop: Header=BB2_3084 Depth=3
	s_or_b32 exec_lo, exec_lo, s22
.LBB2_3516:                             ;   in Loop: Header=BB2_3084 Depth=3
	s_or_b32 exec_lo, exec_lo, s18
	v_and_b32_e32 v8, 7, v11
	v_bfe_u32 v94, v11, 3, 4
	v_lshlrev_b32_e32 v95, 24, v11
	v_cmp_gt_i16_sdwa s18, v15, v102 src0_sel:BYTE_0 src1_sel:DWORD
	s_mov_b32 s17, -1
	v_ffbh_u32_e32 v9, v8
	v_cmp_eq_u32_e32 vcc_lo, 0, v94
	v_min_u32_e32 v9, 32, v9
	v_subrev_nc_u32_e32 v10, 28, v9
	v_sub_nc_u32_e32 v9, 29, v9
	v_lshlrev_b32_e32 v10, v10, v11
	v_cndmask_b32_e32 v9, v94, v9, vcc_lo
	v_and_b32_e32 v10, 7, v10
	v_lshl_add_u32 v9, v9, 23, 0x3b800000
	v_cndmask_b32_e32 v8, v8, v10, vcc_lo
	v_and_b32_e32 v10, 0x80000000, v95
	s_and_b32 vcc_lo, exec_lo, s75
	v_lshlrev_b32_e32 v8, 20, v8
	v_or3_b32 v8, v10, v9, v8
                                        ; implicit-def: $vgpr9
	s_cbranch_vccz .LBB2_3530
; %bb.3517:                             ;   in Loop: Header=BB2_3084 Depth=3
	s_mov_b32 s17, 0
	s_and_saveexec_b32 s22, s18
	s_xor_b32 s18, exec_lo, s22
	s_cbranch_execz .LBB2_3759
; %bb.3518:                             ;   in Loop: Header=BB2_3084 Depth=3
	v_cmp_eq_u16_sdwa s23, v15, v103 src0_sel:BYTE_0 src1_sel:DWORD
	s_mov_b32 s17, -1
	s_and_saveexec_b32 s22, s23
; %bb.3519:                             ;   in Loop: Header=BB2_3084 Depth=3
	s_xor_b32 s17, exec_lo, -1
; %bb.3520:                             ;   in Loop: Header=BB2_3084 Depth=3
	s_or_b32 exec_lo, exec_lo, s22
	s_and_b32 s17, s17, exec_lo
	s_or_saveexec_b32 s18, s18
	v_mov_b32_e32 v9, 0x7f800001
	s_xor_b32 exec_lo, exec_lo, s18
	s_cbranch_execnz .LBB2_3760
.LBB2_3521:                             ;   in Loop: Header=BB2_3084 Depth=3
	s_or_b32 exec_lo, exec_lo, s18
	s_and_saveexec_b32 s18, s17
	s_cbranch_execz .LBB2_3523
.LBB2_3522:                             ;   in Loop: Header=BB2_3084 Depth=3
	v_and_b32_e32 v9, 7, v15
	v_bfe_u32 v95, v15, 3, 4
	v_lshlrev_b32_e32 v104, 24, v15
	v_ffbh_u32_e32 v10, v9
	v_cmp_eq_u32_e32 vcc_lo, 0, v95
	v_min_u32_e32 v10, 32, v10
	v_subrev_nc_u32_e32 v94, 28, v10
	v_sub_nc_u32_e32 v10, 29, v10
	v_lshlrev_b32_e32 v94, v94, v15
	v_cndmask_b32_e32 v10, v95, v10, vcc_lo
	v_and_b32_e32 v94, 7, v94
	v_lshl_add_u32 v10, v10, 23, 0x3b800000
	v_cndmask_b32_e32 v9, v9, v94, vcc_lo
	v_and_b32_e32 v94, 0x80000000, v104
	v_lshlrev_b32_e32 v9, 20, v9
	v_or3_b32 v9, v94, v10, v9
.LBB2_3523:                             ;   in Loop: Header=BB2_3084 Depth=3
	s_or_b32 exec_lo, exec_lo, s18
	v_cmp_gt_i16_sdwa s18, v11, v102 src0_sel:BYTE_0 src1_sel:DWORD
	s_mov_b32 s17, 0
	s_and_saveexec_b32 s22, s18
	s_xor_b32 s18, exec_lo, s22
	s_cbranch_execz .LBB2_3761
; %bb.3524:                             ;   in Loop: Header=BB2_3084 Depth=3
	v_cmp_eq_u16_sdwa s23, v11, v103 src0_sel:BYTE_0 src1_sel:DWORD
	s_mov_b32 s17, -1
	s_and_saveexec_b32 s22, s23
; %bb.3525:                             ;   in Loop: Header=BB2_3084 Depth=3
	s_xor_b32 s17, exec_lo, -1
; %bb.3526:                             ;   in Loop: Header=BB2_3084 Depth=3
	s_or_b32 exec_lo, exec_lo, s22
	s_and_b32 s17, s17, exec_lo
	s_or_saveexec_b32 s18, s18
	v_mov_b32_e32 v10, 0x7f800001
	s_xor_b32 exec_lo, exec_lo, s18
	s_cbranch_execnz .LBB2_3762
.LBB2_3527:                             ;   in Loop: Header=BB2_3084 Depth=3
	s_or_b32 exec_lo, exec_lo, s18
	s_and_saveexec_b32 s18, s17
.LBB2_3528:                             ;   in Loop: Header=BB2_3084 Depth=3
	v_mov_b32_e32 v10, v8
.LBB2_3529:                             ;   in Loop: Header=BB2_3084 Depth=3
	s_or_b32 exec_lo, exec_lo, s18
	v_max_f32_e32 v10, v10, v10
	v_max_f32_e32 v9, v9, v9
	s_mov_b32 s17, 0
	v_max_f32_e32 v9, v9, v10
.LBB2_3530:                             ;   in Loop: Header=BB2_3084 Depth=3
	s_and_b32 vcc_lo, exec_lo, s17
	s_cbranch_vccz .LBB2_3544
; %bb.3531:                             ;   in Loop: Header=BB2_3084 Depth=3
	v_cmp_gt_i16_sdwa s18, v15, v102 src0_sel:BYTE_0 src1_sel:DWORD
	s_mov_b32 s17, 0
	s_and_saveexec_b32 s22, s18
	s_xor_b32 s18, exec_lo, s22
	s_cbranch_execz .LBB2_3763
; %bb.3532:                             ;   in Loop: Header=BB2_3084 Depth=3
	v_cmp_eq_u16_sdwa s23, v15, v103 src0_sel:BYTE_0 src1_sel:DWORD
	s_mov_b32 s17, -1
	s_and_saveexec_b32 s22, s23
; %bb.3533:                             ;   in Loop: Header=BB2_3084 Depth=3
	s_xor_b32 s17, exec_lo, -1
; %bb.3534:                             ;   in Loop: Header=BB2_3084 Depth=3
	s_or_b32 exec_lo, exec_lo, s22
	s_and_b32 s17, s17, exec_lo
	s_or_saveexec_b32 s18, s18
	v_mov_b32_e32 v9, 0x7f800001
	s_xor_b32 exec_lo, exec_lo, s18
	s_cbranch_execnz .LBB2_3764
.LBB2_3535:                             ;   in Loop: Header=BB2_3084 Depth=3
	s_or_b32 exec_lo, exec_lo, s18
	s_and_saveexec_b32 s18, s17
	s_cbranch_execz .LBB2_3537
.LBB2_3536:                             ;   in Loop: Header=BB2_3084 Depth=3
	v_and_b32_e32 v9, 7, v15
	v_bfe_u32 v95, v15, 3, 4
	v_lshlrev_b32_e32 v104, 24, v15
	v_ffbh_u32_e32 v10, v9
	v_cmp_eq_u32_e32 vcc_lo, 0, v95
	v_min_u32_e32 v10, 32, v10
	v_subrev_nc_u32_e32 v94, 28, v10
	v_sub_nc_u32_e32 v10, 29, v10
	v_lshlrev_b32_e32 v94, v94, v15
	v_cndmask_b32_e32 v10, v95, v10, vcc_lo
	v_and_b32_e32 v94, 7, v94
	v_lshl_add_u32 v10, v10, 23, 0x3b800000
	v_cndmask_b32_e32 v9, v9, v94, vcc_lo
	v_and_b32_e32 v94, 0x80000000, v104
	v_lshlrev_b32_e32 v9, 20, v9
	v_or3_b32 v9, v94, v10, v9
.LBB2_3537:                             ;   in Loop: Header=BB2_3084 Depth=3
	s_or_b32 exec_lo, exec_lo, s18
	v_cmp_gt_i16_sdwa s18, v11, v102 src0_sel:BYTE_0 src1_sel:DWORD
	s_mov_b32 s17, 0
	s_and_saveexec_b32 s22, s18
	s_xor_b32 s18, exec_lo, s22
	s_cbranch_execz .LBB2_3765
; %bb.3538:                             ;   in Loop: Header=BB2_3084 Depth=3
	v_cmp_eq_u16_sdwa s23, v11, v103 src0_sel:BYTE_0 src1_sel:DWORD
	s_mov_b32 s17, -1
	s_and_saveexec_b32 s22, s23
; %bb.3539:                             ;   in Loop: Header=BB2_3084 Depth=3
	s_xor_b32 s17, exec_lo, -1
; %bb.3540:                             ;   in Loop: Header=BB2_3084 Depth=3
	s_or_b32 exec_lo, exec_lo, s22
	s_and_b32 s17, s17, exec_lo
	s_or_saveexec_b32 s18, s18
	v_mov_b32_e32 v10, 0x7f800001
	s_xor_b32 exec_lo, exec_lo, s18
	s_cbranch_execnz .LBB2_3766
.LBB2_3541:                             ;   in Loop: Header=BB2_3084 Depth=3
	s_or_b32 exec_lo, exec_lo, s18
	s_and_saveexec_b32 s18, s17
.LBB2_3542:                             ;   in Loop: Header=BB2_3084 Depth=3
	v_mov_b32_e32 v10, v8
.LBB2_3543:                             ;   in Loop: Header=BB2_3084 Depth=3
	s_or_b32 exec_lo, exec_lo, s18
	v_max_f32_e32 v8, v10, v10
	v_max_f32_e32 v9, v9, v9
	v_min_f32_e32 v9, v9, v8
.LBB2_3544:                             ;   in Loop: Header=BB2_3084 Depth=3
	v_and_b32_e32 v8, 0x7f800000, v9
	v_mov_b32_e32 v94, 0x80
	s_mov_b32 s18, exec_lo
	v_cmpx_ne_u32_e32 0x7f800000, v8
	s_cbranch_execz .LBB2_3552
; %bb.3545:                             ;   in Loop: Header=BB2_3084 Depth=3
	v_mov_b32_e32 v94, 0
	s_mov_b32 s22, exec_lo
	v_cmpx_ne_u32_e32 0, v9
	s_cbranch_execz .LBB2_3551
; %bb.3546:                             ;   in Loop: Header=BB2_3084 Depth=3
	v_bfe_u32 v8, v9, 23, 8
	v_and_b32_e32 v10, 0x7fffff, v9
	v_sub_nc_u32_e32 v94, 0x78, v8
	v_cmp_gt_u32_e32 vcc_lo, 0x79, v8
	v_or_b32_e32 v95, 0x800000, v10
	v_cndmask_b32_e32 v94, 0, v94, vcc_lo
	v_cmp_eq_u32_e32 vcc_lo, 0, v8
	v_add_nc_u32_e32 v8, 0xffffff89, v8
	v_cndmask_b32_e64 v94, v94, 0x77, vcc_lo
	v_cndmask_b32_e32 v10, v95, v10, vcc_lo
	v_cndmask_b32_e64 v8, v8, 0xffffff8a, vcc_lo
	v_lshl_add_u32 v95, 0x100000, v94, -1
	v_lshrrev_b32_e32 v104, v94, v10
	v_lshlrev_b32_e64 v106, v94, 0x80000
	v_add_nc_u32_e32 v94, v94, v8
	v_and_b32_e32 v10, v95, v10
	v_bfe_u32 v105, v104, 20, 1
	v_cmp_eq_u32_e64 s17, v10, v106
	v_add_nc_u32_e32 v95, -1, v105
	v_cndmask_b32_e64 v10, 0, v95, s17
	v_lshrrev_b32_e32 v95, 23, v104
	s_mov_b32 s17, exec_lo
	v_add_nc_u32_e32 v10, v10, v104
	v_xor_b32_e32 v95, 1, v95
	v_and_b32_e32 v8, 0xfffff, v10
	v_add_nc_u32_e32 v10, v8, v104
                                        ; implicit-def: $vgpr8
	v_cmpx_ne_u32_e64 v94, v95
	s_xor_b32 s17, exec_lo, s17
; %bb.3547:                             ;   in Loop: Header=BB2_3084 Depth=3
	v_cmp_lt_u32_e32 vcc_lo, 0xffffff, v10
	v_sub_nc_u32_e32 v8, v94, v95
	v_cndmask_b32_e64 v94, 0, 1, vcc_lo
	v_add_co_ci_u32_e64 v8, null, 0, v8, vcc_lo
	v_lshrrev_b32_e32 v10, v94, v10
; %bb.3548:                             ;   in Loop: Header=BB2_3084 Depth=3
	s_andn2_saveexec_b32 s17, s17
; %bb.3549:                             ;   in Loop: Header=BB2_3084 Depth=3
	v_bfe_u32 v8, v10, 23, 1
; %bb.3550:                             ;   in Loop: Header=BB2_3084 Depth=3
	s_or_b32 exec_lo, exec_lo, s17
	v_lshrrev_b32_e32 v10, 20, v10
	v_min_i32_e32 v94, 15, v8
	v_cmp_gt_i32_e32 vcc_lo, 16, v8
	v_and_b32_sdwa v9, v9, v103 dst_sel:DWORD dst_unused:UNUSED_PAD src0_sel:BYTE_3 src1_sel:DWORD
	v_lshlrev_b32_e32 v94, 3, v94
	v_cndmask_b32_e32 v10, 7, v10, vcc_lo
	v_and_b32_e32 v94, 0xf8, v94
	v_and_b32_e32 v95, 7, v10
	v_or_b32_e32 v8, v8, v10
	v_or3_b32 v9, v94, v9, v95
	v_cmp_ne_u32_e32 vcc_lo, 0, v8
	v_cndmask_b32_e32 v94, 0, v9, vcc_lo
.LBB2_3551:                             ;   in Loop: Header=BB2_3084 Depth=3
	s_or_b32 exec_lo, exec_lo, s22
.LBB2_3552:                             ;   in Loop: Header=BB2_3084 Depth=3
	s_or_b32 exec_lo, exec_lo, s18
	v_and_b32_sdwa v8, v112, v11 dst_sel:DWORD dst_unused:UNUSED_PAD src0_sel:DWORD src1_sel:BYTE_1
	v_cmp_gt_i16_sdwa s18, v15, v102 src0_sel:BYTE_1 src1_sel:DWORD
	s_mov_b32 s17, -1
	v_and_b32_e32 v9, 7, v8
	v_bfe_u32 v104, v8, 3, 4
	v_ffbh_u32_e32 v10, v9
	v_cmp_eq_u32_e32 vcc_lo, 0, v104
	v_min_u32_e32 v10, 32, v10
	v_subrev_nc_u32_e32 v95, 28, v10
	v_sub_nc_u32_e32 v10, 29, v10
	v_lshlrev_b32_e32 v8, v95, v8
	v_lshlrev_b32_sdwa v95, v113, v11 dst_sel:DWORD dst_unused:UNUSED_PAD src0_sel:DWORD src1_sel:BYTE_1
	v_cndmask_b32_e32 v10, v104, v10, vcc_lo
	v_and_b32_e32 v8, 7, v8
	v_lshl_add_u32 v10, v10, 23, 0x3b800000
	v_cndmask_b32_e32 v8, v9, v8, vcc_lo
	v_and_b32_e32 v9, 0x80000000, v95
	s_and_b32 vcc_lo, exec_lo, s75
	v_lshlrev_b32_e32 v8, 20, v8
	v_or3_b32 v8, v9, v10, v8
                                        ; implicit-def: $vgpr9
	s_cbranch_vccz .LBB2_3566
; %bb.3553:                             ;   in Loop: Header=BB2_3084 Depth=3
	s_mov_b32 s17, 0
	s_and_saveexec_b32 s22, s18
	s_xor_b32 s18, exec_lo, s22
	s_cbranch_execz .LBB2_3767
; %bb.3554:                             ;   in Loop: Header=BB2_3084 Depth=3
	v_cmp_eq_u16_sdwa s23, v15, v103 src0_sel:BYTE_1 src1_sel:DWORD
	s_mov_b32 s17, -1
	s_and_saveexec_b32 s22, s23
; %bb.3555:                             ;   in Loop: Header=BB2_3084 Depth=3
	s_xor_b32 s17, exec_lo, -1
; %bb.3556:                             ;   in Loop: Header=BB2_3084 Depth=3
	s_or_b32 exec_lo, exec_lo, s22
	s_and_b32 s17, s17, exec_lo
	s_or_saveexec_b32 s18, s18
	v_mov_b32_e32 v9, 0x7f800001
	s_xor_b32 exec_lo, exec_lo, s18
	s_cbranch_execnz .LBB2_3768
.LBB2_3557:                             ;   in Loop: Header=BB2_3084 Depth=3
	s_or_b32 exec_lo, exec_lo, s18
	s_and_saveexec_b32 s18, s17
	s_cbranch_execz .LBB2_3559
.LBB2_3558:                             ;   in Loop: Header=BB2_3084 Depth=3
	v_and_b32_sdwa v9, v112, v15 dst_sel:DWORD dst_unused:UNUSED_PAD src0_sel:DWORD src1_sel:BYTE_1
	v_and_b32_e32 v10, 7, v9
	v_bfe_u32 v105, v9, 3, 4
	v_ffbh_u32_e32 v95, v10
	v_cmp_eq_u32_e32 vcc_lo, 0, v105
	v_min_u32_e32 v95, 32, v95
	v_subrev_nc_u32_e32 v104, 28, v95
	v_sub_nc_u32_e32 v95, 29, v95
	v_lshlrev_b32_e32 v9, v104, v9
	v_lshlrev_b32_e32 v104, 16, v15
	v_cndmask_b32_e32 v95, v105, v95, vcc_lo
	v_and_b32_e32 v9, 7, v9
	v_lshl_add_u32 v95, v95, 23, 0x3b800000
	v_cndmask_b32_e32 v9, v10, v9, vcc_lo
	v_and_b32_e32 v10, 0x80000000, v104
	v_lshlrev_b32_e32 v9, 20, v9
	v_or3_b32 v9, v10, v95, v9
.LBB2_3559:                             ;   in Loop: Header=BB2_3084 Depth=3
	s_or_b32 exec_lo, exec_lo, s18
	v_cmp_gt_i16_sdwa s18, v11, v102 src0_sel:BYTE_1 src1_sel:DWORD
	s_mov_b32 s17, 0
	s_and_saveexec_b32 s22, s18
	s_xor_b32 s18, exec_lo, s22
	s_cbranch_execz .LBB2_3769
; %bb.3560:                             ;   in Loop: Header=BB2_3084 Depth=3
	v_cmp_eq_u16_sdwa s23, v11, v103 src0_sel:BYTE_1 src1_sel:DWORD
	s_mov_b32 s17, -1
	s_and_saveexec_b32 s22, s23
; %bb.3561:                             ;   in Loop: Header=BB2_3084 Depth=3
	s_xor_b32 s17, exec_lo, -1
; %bb.3562:                             ;   in Loop: Header=BB2_3084 Depth=3
	s_or_b32 exec_lo, exec_lo, s22
	s_and_b32 s17, s17, exec_lo
	s_or_saveexec_b32 s18, s18
	v_mov_b32_e32 v10, 0x7f800001
	s_xor_b32 exec_lo, exec_lo, s18
	s_cbranch_execnz .LBB2_3770
.LBB2_3563:                             ;   in Loop: Header=BB2_3084 Depth=3
	s_or_b32 exec_lo, exec_lo, s18
	s_and_saveexec_b32 s18, s17
.LBB2_3564:                             ;   in Loop: Header=BB2_3084 Depth=3
	v_mov_b32_e32 v10, v8
.LBB2_3565:                             ;   in Loop: Header=BB2_3084 Depth=3
	s_or_b32 exec_lo, exec_lo, s18
	v_max_f32_e32 v10, v10, v10
	v_max_f32_e32 v9, v9, v9
	s_mov_b32 s17, 0
	v_max_f32_e32 v9, v9, v10
.LBB2_3566:                             ;   in Loop: Header=BB2_3084 Depth=3
	s_and_b32 vcc_lo, exec_lo, s17
	s_cbranch_vccz .LBB2_3580
; %bb.3567:                             ;   in Loop: Header=BB2_3084 Depth=3
	v_cmp_gt_i16_sdwa s18, v15, v102 src0_sel:BYTE_1 src1_sel:DWORD
	s_mov_b32 s17, 0
	s_and_saveexec_b32 s22, s18
	s_xor_b32 s18, exec_lo, s22
	s_cbranch_execz .LBB2_3771
; %bb.3568:                             ;   in Loop: Header=BB2_3084 Depth=3
	v_cmp_eq_u16_sdwa s23, v15, v103 src0_sel:BYTE_1 src1_sel:DWORD
	s_mov_b32 s17, -1
	s_and_saveexec_b32 s22, s23
; %bb.3569:                             ;   in Loop: Header=BB2_3084 Depth=3
	s_xor_b32 s17, exec_lo, -1
; %bb.3570:                             ;   in Loop: Header=BB2_3084 Depth=3
	s_or_b32 exec_lo, exec_lo, s22
	s_and_b32 s17, s17, exec_lo
	s_or_saveexec_b32 s18, s18
	v_mov_b32_e32 v9, 0x7f800001
	s_xor_b32 exec_lo, exec_lo, s18
	s_cbranch_execnz .LBB2_3772
.LBB2_3571:                             ;   in Loop: Header=BB2_3084 Depth=3
	s_or_b32 exec_lo, exec_lo, s18
	s_and_saveexec_b32 s18, s17
	s_cbranch_execz .LBB2_3573
.LBB2_3572:                             ;   in Loop: Header=BB2_3084 Depth=3
	v_and_b32_sdwa v9, v112, v15 dst_sel:DWORD dst_unused:UNUSED_PAD src0_sel:DWORD src1_sel:BYTE_1
	v_and_b32_e32 v10, 7, v9
	v_bfe_u32 v105, v9, 3, 4
	v_ffbh_u32_e32 v95, v10
	v_cmp_eq_u32_e32 vcc_lo, 0, v105
	v_min_u32_e32 v95, 32, v95
	v_subrev_nc_u32_e32 v104, 28, v95
	v_sub_nc_u32_e32 v95, 29, v95
	v_lshlrev_b32_e32 v9, v104, v9
	v_lshlrev_b32_e32 v104, 16, v15
	v_cndmask_b32_e32 v95, v105, v95, vcc_lo
	v_and_b32_e32 v9, 7, v9
	v_lshl_add_u32 v95, v95, 23, 0x3b800000
	v_cndmask_b32_e32 v9, v10, v9, vcc_lo
	v_and_b32_e32 v10, 0x80000000, v104
	v_lshlrev_b32_e32 v9, 20, v9
	v_or3_b32 v9, v10, v95, v9
.LBB2_3573:                             ;   in Loop: Header=BB2_3084 Depth=3
	s_or_b32 exec_lo, exec_lo, s18
	v_cmp_gt_i16_sdwa s18, v11, v102 src0_sel:BYTE_1 src1_sel:DWORD
	s_mov_b32 s17, 0
	s_and_saveexec_b32 s22, s18
	s_xor_b32 s18, exec_lo, s22
	s_cbranch_execz .LBB2_3773
; %bb.3574:                             ;   in Loop: Header=BB2_3084 Depth=3
	v_cmp_eq_u16_sdwa s23, v11, v103 src0_sel:BYTE_1 src1_sel:DWORD
	s_mov_b32 s17, -1
	s_and_saveexec_b32 s22, s23
; %bb.3575:                             ;   in Loop: Header=BB2_3084 Depth=3
	s_xor_b32 s17, exec_lo, -1
; %bb.3576:                             ;   in Loop: Header=BB2_3084 Depth=3
	s_or_b32 exec_lo, exec_lo, s22
	s_and_b32 s17, s17, exec_lo
	s_or_saveexec_b32 s18, s18
	v_mov_b32_e32 v10, 0x7f800001
	s_xor_b32 exec_lo, exec_lo, s18
	s_cbranch_execnz .LBB2_3774
.LBB2_3577:                             ;   in Loop: Header=BB2_3084 Depth=3
	s_or_b32 exec_lo, exec_lo, s18
	s_and_saveexec_b32 s18, s17
.LBB2_3578:                             ;   in Loop: Header=BB2_3084 Depth=3
	v_mov_b32_e32 v10, v8
.LBB2_3579:                             ;   in Loop: Header=BB2_3084 Depth=3
	s_or_b32 exec_lo, exec_lo, s18
	v_max_f32_e32 v8, v10, v10
	v_max_f32_e32 v9, v9, v9
	v_min_f32_e32 v9, v9, v8
.LBB2_3580:                             ;   in Loop: Header=BB2_3084 Depth=3
	v_and_b32_e32 v8, 0x7f800000, v9
	v_mov_b32_e32 v95, 0x8000
	s_mov_b32 s18, exec_lo
	v_cmpx_ne_u32_e32 0x7f800000, v8
	s_cbranch_execz .LBB2_3588
; %bb.3581:                             ;   in Loop: Header=BB2_3084 Depth=3
	v_mov_b32_e32 v95, 0
	s_mov_b32 s22, exec_lo
	v_cmpx_ne_u32_e32 0, v9
	s_cbranch_execz .LBB2_3587
; %bb.3582:                             ;   in Loop: Header=BB2_3084 Depth=3
	v_bfe_u32 v8, v9, 23, 8
	v_and_b32_e32 v10, 0x7fffff, v9
	v_sub_nc_u32_e32 v95, 0x78, v8
	v_cmp_gt_u32_e32 vcc_lo, 0x79, v8
	v_or_b32_e32 v104, 0x800000, v10
	v_cndmask_b32_e32 v95, 0, v95, vcc_lo
	v_cmp_eq_u32_e32 vcc_lo, 0, v8
	v_add_nc_u32_e32 v8, 0xffffff89, v8
	v_cndmask_b32_e64 v95, v95, 0x77, vcc_lo
	v_cndmask_b32_e32 v10, v104, v10, vcc_lo
	v_cndmask_b32_e64 v8, v8, 0xffffff8a, vcc_lo
	v_lshl_add_u32 v104, 0x100000, v95, -1
	v_lshrrev_b32_e32 v105, v95, v10
	v_lshlrev_b32_e64 v107, v95, 0x80000
	v_add_nc_u32_e32 v95, v95, v8
	v_and_b32_e32 v10, v104, v10
	v_bfe_u32 v106, v105, 20, 1
	v_cmp_eq_u32_e64 s17, v10, v107
	v_add_nc_u32_e32 v104, -1, v106
	v_cndmask_b32_e64 v10, 0, v104, s17
	v_lshrrev_b32_e32 v104, 23, v105
	s_mov_b32 s17, exec_lo
	v_add_nc_u32_e32 v10, v10, v105
	v_xor_b32_e32 v104, 1, v104
	v_and_b32_e32 v8, 0xfffff, v10
	v_add_nc_u32_e32 v10, v8, v105
                                        ; implicit-def: $vgpr8
	v_cmpx_ne_u32_e64 v95, v104
	s_xor_b32 s17, exec_lo, s17
; %bb.3583:                             ;   in Loop: Header=BB2_3084 Depth=3
	v_cmp_lt_u32_e32 vcc_lo, 0xffffff, v10
	v_sub_nc_u32_e32 v8, v95, v104
	v_cndmask_b32_e64 v95, 0, 1, vcc_lo
	v_add_co_ci_u32_e64 v8, null, 0, v8, vcc_lo
	v_lshrrev_b32_e32 v10, v95, v10
; %bb.3584:                             ;   in Loop: Header=BB2_3084 Depth=3
	s_andn2_saveexec_b32 s17, s17
; %bb.3585:                             ;   in Loop: Header=BB2_3084 Depth=3
	v_bfe_u32 v8, v10, 23, 1
; %bb.3586:                             ;   in Loop: Header=BB2_3084 Depth=3
	s_or_b32 exec_lo, exec_lo, s17
	v_lshrrev_b32_e32 v10, 20, v10
	v_min_i32_e32 v95, 15, v8
	v_cmp_gt_i32_e32 vcc_lo, 16, v8
	v_and_b32_sdwa v9, v9, v103 dst_sel:DWORD dst_unused:UNUSED_PAD src0_sel:BYTE_3 src1_sel:DWORD
	v_lshlrev_b32_e32 v95, 3, v95
	v_cndmask_b32_e32 v10, 7, v10, vcc_lo
	v_and_b32_e32 v95, 0xf8, v95
	v_and_b32_e32 v104, 7, v10
	v_or_b32_e32 v8, v8, v10
	v_or3_b32 v9, v9, v95, v104
	v_cmp_ne_u32_e32 vcc_lo, 0, v8
	v_lshlrev_b32_e32 v9, 8, v9
	v_cndmask_b32_e32 v95, 0, v9, vcc_lo
.LBB2_3587:                             ;   in Loop: Header=BB2_3084 Depth=3
	s_or_b32 exec_lo, exec_lo, s22
.LBB2_3588:                             ;   in Loop: Header=BB2_3084 Depth=3
	s_or_b32 exec_lo, exec_lo, s18
	v_bfe_u32 v8, v11, 16, 3
	v_bfe_u32 v104, v11, 19, 4
	v_lshlrev_b32_e32 v105, 8, v11
	s_mov_b32 s18, -1
	v_ffbh_u32_e32 v9, v8
	v_cmp_eq_u32_e32 vcc_lo, 0, v104
	v_min_u32_e32 v9, 32, v9
	v_subrev_nc_u32_e32 v10, 28, v9
	v_sub_nc_u32_e32 v9, 29, v9
	v_lshlrev_b32_sdwa v10, v10, v11 dst_sel:DWORD dst_unused:UNUSED_PAD src0_sel:DWORD src1_sel:WORD_1
	v_cndmask_b32_e32 v9, v104, v9, vcc_lo
	v_and_b32_e32 v10, 7, v10
	v_lshl_add_u32 v104, v9, 23, 0x3b800000
	v_and_b32_sdwa v9, v15, v114 dst_sel:DWORD dst_unused:UNUSED_PAD src0_sel:WORD_1 src1_sel:DWORD
	v_cndmask_b32_e32 v8, v8, v10, vcc_lo
	v_and_b32_e32 v10, 0x80000000, v105
	v_cmp_lt_i16_e64 s17, 0x7f, v9
	s_and_b32 vcc_lo, exec_lo, s75
	v_lshlrev_b32_e32 v8, 20, v8
	v_or3_b32 v8, v10, v104, v8
                                        ; implicit-def: $vgpr10
	s_cbranch_vccz .LBB2_3602
; %bb.3589:                             ;   in Loop: Header=BB2_3084 Depth=3
	s_mov_b32 s18, 0
	s_and_saveexec_b32 s22, s17
	s_xor_b32 s17, exec_lo, s22
	s_cbranch_execz .LBB2_3775
; %bb.3590:                             ;   in Loop: Header=BB2_3084 Depth=3
	s_mov_b32 s18, -1
	s_mov_b32 s22, exec_lo
	v_cmpx_eq_u16_e32 0x80, v9
; %bb.3591:                             ;   in Loop: Header=BB2_3084 Depth=3
	s_xor_b32 s18, exec_lo, -1
; %bb.3592:                             ;   in Loop: Header=BB2_3084 Depth=3
	s_or_b32 exec_lo, exec_lo, s22
	s_and_b32 s18, s18, exec_lo
	s_or_saveexec_b32 s17, s17
	v_mov_b32_e32 v10, 0x7f800001
	s_xor_b32 exec_lo, exec_lo, s17
	s_cbranch_execnz .LBB2_3776
.LBB2_3593:                             ;   in Loop: Header=BB2_3084 Depth=3
	s_or_b32 exec_lo, exec_lo, s17
	s_and_saveexec_b32 s17, s18
	s_cbranch_execz .LBB2_3595
.LBB2_3594:                             ;   in Loop: Header=BB2_3084 Depth=3
	v_bfe_u32 v10, v15, 16, 3
	v_bfe_u32 v106, v15, 19, 4
	v_lshlrev_b32_sdwa v107, v113, v15 dst_sel:DWORD dst_unused:UNUSED_PAD src0_sel:DWORD src1_sel:WORD_1
	v_ffbh_u32_e32 v104, v10
	v_cmp_eq_u32_e32 vcc_lo, 0, v106
	v_min_u32_e32 v104, 32, v104
	v_subrev_nc_u32_e32 v105, 28, v104
	v_sub_nc_u32_e32 v104, 29, v104
	v_lshlrev_b32_sdwa v105, v105, v15 dst_sel:DWORD dst_unused:UNUSED_PAD src0_sel:DWORD src1_sel:WORD_1
	v_cndmask_b32_e32 v104, v106, v104, vcc_lo
	v_and_b32_e32 v105, 7, v105
	v_lshl_add_u32 v104, v104, 23, 0x3b800000
	v_cndmask_b32_e32 v10, v10, v105, vcc_lo
	v_and_b32_e32 v105, 0x80000000, v107
	v_lshlrev_b32_e32 v10, 20, v10
	v_or3_b32 v10, v105, v104, v10
.LBB2_3595:                             ;   in Loop: Header=BB2_3084 Depth=3
	s_or_b32 exec_lo, exec_lo, s17
	v_and_b32_sdwa v105, v11, v114 dst_sel:DWORD dst_unused:UNUSED_PAD src0_sel:WORD_1 src1_sel:DWORD
	s_mov_b32 s17, 0
	s_mov_b32 s18, exec_lo
	v_cmpx_lt_i16_e32 0x7f, v105
	s_xor_b32 s18, exec_lo, s18
	s_cbranch_execz .LBB2_3777
; %bb.3596:                             ;   in Loop: Header=BB2_3084 Depth=3
	s_mov_b32 s17, -1
	s_mov_b32 s22, exec_lo
	v_cmpx_eq_u16_e32 0x80, v105
; %bb.3597:                             ;   in Loop: Header=BB2_3084 Depth=3
	s_xor_b32 s17, exec_lo, -1
; %bb.3598:                             ;   in Loop: Header=BB2_3084 Depth=3
	s_or_b32 exec_lo, exec_lo, s22
	s_and_b32 s17, s17, exec_lo
                                        ; implicit-def: $vgpr105
	s_or_saveexec_b32 s18, s18
	v_mov_b32_e32 v104, 0x7f800001
	s_xor_b32 exec_lo, exec_lo, s18
	s_cbranch_execnz .LBB2_3778
.LBB2_3599:                             ;   in Loop: Header=BB2_3084 Depth=3
	s_or_b32 exec_lo, exec_lo, s18
	s_and_saveexec_b32 s18, s17
.LBB2_3600:                             ;   in Loop: Header=BB2_3084 Depth=3
	v_mov_b32_e32 v104, v8
.LBB2_3601:                             ;   in Loop: Header=BB2_3084 Depth=3
	s_or_b32 exec_lo, exec_lo, s18
	v_max_f32_e32 v104, v104, v104
	v_max_f32_e32 v10, v10, v10
	s_mov_b32 s18, 0
	v_max_f32_e32 v10, v10, v104
.LBB2_3602:                             ;   in Loop: Header=BB2_3084 Depth=3
	s_and_b32 vcc_lo, exec_lo, s18
	s_cbranch_vccz .LBB2_3616
; %bb.3603:                             ;   in Loop: Header=BB2_3084 Depth=3
	s_mov_b32 s17, 0
	s_mov_b32 s18, exec_lo
	v_cmpx_lt_i16_e32 0x7f, v9
	s_xor_b32 s18, exec_lo, s18
	s_cbranch_execz .LBB2_3779
; %bb.3604:                             ;   in Loop: Header=BB2_3084 Depth=3
	s_mov_b32 s17, -1
	s_mov_b32 s22, exec_lo
	v_cmpx_eq_u16_e32 0x80, v9
; %bb.3605:                             ;   in Loop: Header=BB2_3084 Depth=3
	s_xor_b32 s17, exec_lo, -1
; %bb.3606:                             ;   in Loop: Header=BB2_3084 Depth=3
	s_or_b32 exec_lo, exec_lo, s22
	s_and_b32 s17, s17, exec_lo
                                        ; implicit-def: $vgpr9
	s_or_saveexec_b32 s18, s18
	v_mov_b32_e32 v10, 0x7f800001
	s_xor_b32 exec_lo, exec_lo, s18
	s_cbranch_execnz .LBB2_3780
.LBB2_3607:                             ;   in Loop: Header=BB2_3084 Depth=3
	s_or_b32 exec_lo, exec_lo, s18
	s_and_saveexec_b32 s18, s17
	s_cbranch_execz .LBB2_3609
.LBB2_3608:                             ;   in Loop: Header=BB2_3084 Depth=3
	v_bfe_u32 v9, v15, 16, 3
	v_bfe_u32 v105, v15, 19, 4
	v_lshlrev_b32_sdwa v106, v113, v15 dst_sel:DWORD dst_unused:UNUSED_PAD src0_sel:DWORD src1_sel:WORD_1
	v_ffbh_u32_e32 v10, v9
	v_cmp_eq_u32_e32 vcc_lo, 0, v105
	v_min_u32_e32 v10, 32, v10
	v_subrev_nc_u32_e32 v104, 28, v10
	v_sub_nc_u32_e32 v10, 29, v10
	v_lshlrev_b32_sdwa v104, v104, v15 dst_sel:DWORD dst_unused:UNUSED_PAD src0_sel:DWORD src1_sel:WORD_1
	v_cndmask_b32_e32 v10, v105, v10, vcc_lo
	v_and_b32_e32 v104, 7, v104
	v_lshl_add_u32 v10, v10, 23, 0x3b800000
	v_cndmask_b32_e32 v9, v9, v104, vcc_lo
	v_and_b32_e32 v104, 0x80000000, v106
	v_lshlrev_b32_e32 v9, 20, v9
	v_or3_b32 v10, v104, v10, v9
.LBB2_3609:                             ;   in Loop: Header=BB2_3084 Depth=3
	s_or_b32 exec_lo, exec_lo, s18
	v_and_b32_sdwa v104, v11, v114 dst_sel:DWORD dst_unused:UNUSED_PAD src0_sel:WORD_1 src1_sel:DWORD
	s_mov_b32 s17, 0
	s_mov_b32 s18, exec_lo
	v_cmpx_lt_i16_e32 0x7f, v104
	s_xor_b32 s18, exec_lo, s18
	s_cbranch_execz .LBB2_3781
; %bb.3610:                             ;   in Loop: Header=BB2_3084 Depth=3
	s_mov_b32 s17, -1
	s_mov_b32 s22, exec_lo
	v_cmpx_eq_u16_e32 0x80, v104
; %bb.3611:                             ;   in Loop: Header=BB2_3084 Depth=3
	s_xor_b32 s17, exec_lo, -1
; %bb.3612:                             ;   in Loop: Header=BB2_3084 Depth=3
	s_or_b32 exec_lo, exec_lo, s22
	s_and_b32 s17, s17, exec_lo
                                        ; implicit-def: $vgpr104
	s_or_saveexec_b32 s18, s18
	v_mov_b32_e32 v9, 0x7f800001
	s_xor_b32 exec_lo, exec_lo, s18
	s_cbranch_execnz .LBB2_3782
.LBB2_3613:                             ;   in Loop: Header=BB2_3084 Depth=3
	s_or_b32 exec_lo, exec_lo, s18
	s_and_saveexec_b32 s18, s17
.LBB2_3614:                             ;   in Loop: Header=BB2_3084 Depth=3
	v_mov_b32_e32 v9, v8
.LBB2_3615:                             ;   in Loop: Header=BB2_3084 Depth=3
	s_or_b32 exec_lo, exec_lo, s18
	v_max_f32_e32 v8, v9, v9
	v_max_f32_e32 v9, v10, v10
	v_min_f32_e32 v10, v9, v8
.LBB2_3616:                             ;   in Loop: Header=BB2_3084 Depth=3
	v_and_b32_e32 v8, 0x7f800000, v10
	v_mov_b32_e32 v104, 0x80
	s_mov_b32 s18, exec_lo
	v_cmpx_ne_u32_e32 0x7f800000, v8
	s_cbranch_execz .LBB2_3624
; %bb.3617:                             ;   in Loop: Header=BB2_3084 Depth=3
	v_mov_b32_e32 v104, 0
	s_mov_b32 s22, exec_lo
	v_cmpx_ne_u32_e32 0, v10
	s_cbranch_execz .LBB2_3623
; %bb.3618:                             ;   in Loop: Header=BB2_3084 Depth=3
	v_bfe_u32 v8, v10, 23, 8
	v_and_b32_e32 v9, 0x7fffff, v10
	v_sub_nc_u32_e32 v104, 0x78, v8
	v_cmp_gt_u32_e32 vcc_lo, 0x79, v8
	v_or_b32_e32 v105, 0x800000, v9
	v_cndmask_b32_e32 v104, 0, v104, vcc_lo
	v_cmp_eq_u32_e32 vcc_lo, 0, v8
	v_add_nc_u32_e32 v8, 0xffffff89, v8
	v_cndmask_b32_e64 v104, v104, 0x77, vcc_lo
	v_cndmask_b32_e32 v9, v105, v9, vcc_lo
	v_cndmask_b32_e64 v8, v8, 0xffffff8a, vcc_lo
	v_lshl_add_u32 v105, 0x100000, v104, -1
	v_lshrrev_b32_e32 v106, v104, v9
	v_lshlrev_b32_e64 v108, v104, 0x80000
	v_add_nc_u32_e32 v104, v104, v8
	v_and_b32_e32 v9, v105, v9
	v_bfe_u32 v107, v106, 20, 1
	v_cmp_eq_u32_e64 s17, v9, v108
	v_add_nc_u32_e32 v105, -1, v107
	v_cndmask_b32_e64 v9, 0, v105, s17
	v_lshrrev_b32_e32 v105, 23, v106
	s_mov_b32 s17, exec_lo
	v_add_nc_u32_e32 v9, v9, v106
	v_xor_b32_e32 v105, 1, v105
	v_and_b32_e32 v8, 0xfffff, v9
	v_add_nc_u32_e32 v9, v8, v106
                                        ; implicit-def: $vgpr8
	v_cmpx_ne_u32_e64 v104, v105
	s_xor_b32 s17, exec_lo, s17
; %bb.3619:                             ;   in Loop: Header=BB2_3084 Depth=3
	v_cmp_lt_u32_e32 vcc_lo, 0xffffff, v9
	v_sub_nc_u32_e32 v8, v104, v105
	v_cndmask_b32_e64 v104, 0, 1, vcc_lo
	v_add_co_ci_u32_e64 v8, null, 0, v8, vcc_lo
	v_lshrrev_b32_e32 v9, v104, v9
; %bb.3620:                             ;   in Loop: Header=BB2_3084 Depth=3
	s_andn2_saveexec_b32 s17, s17
; %bb.3621:                             ;   in Loop: Header=BB2_3084 Depth=3
	v_bfe_u32 v8, v9, 23, 1
; %bb.3622:                             ;   in Loop: Header=BB2_3084 Depth=3
	s_or_b32 exec_lo, exec_lo, s17
	v_lshrrev_b32_e32 v9, 20, v9
	v_min_i32_e32 v104, 15, v8
	v_cmp_gt_i32_e32 vcc_lo, 16, v8
	v_and_b32_sdwa v10, v10, v103 dst_sel:DWORD dst_unused:UNUSED_PAD src0_sel:BYTE_3 src1_sel:DWORD
	v_lshlrev_b32_e32 v104, 3, v104
	v_cndmask_b32_e32 v9, 7, v9, vcc_lo
	v_and_b32_e32 v104, 0xf8, v104
	v_and_b32_e32 v105, 7, v9
	v_or_b32_e32 v8, v8, v9
	v_or3_b32 v9, v104, v10, v105
	v_cmp_ne_u32_e32 vcc_lo, 0, v8
	v_cndmask_b32_e32 v104, 0, v9, vcc_lo
.LBB2_3623:                             ;   in Loop: Header=BB2_3084 Depth=3
	s_or_b32 exec_lo, exec_lo, s22
.LBB2_3624:                             ;   in Loop: Header=BB2_3084 Depth=3
	s_or_b32 exec_lo, exec_lo, s18
	v_bfe_u32 v8, v11, 24, 3
	v_bfe_u32 v105, v11, 27, 4
	v_cmp_gt_i16_sdwa s18, v15, v102 src0_sel:BYTE_3 src1_sel:DWORD
	s_mov_b32 s17, -1
	v_ffbh_u32_e32 v9, v8
	v_cmp_eq_u32_e32 vcc_lo, 0, v105
	v_min_u32_e32 v9, 32, v9
	v_subrev_nc_u32_e32 v10, 28, v9
	v_sub_nc_u32_e32 v9, 29, v9
	v_lshlrev_b32_sdwa v10, v10, v11 dst_sel:DWORD dst_unused:UNUSED_PAD src0_sel:DWORD src1_sel:BYTE_3
	v_cndmask_b32_e32 v9, v105, v9, vcc_lo
	v_and_b32_e32 v10, 7, v10
	v_lshl_add_u32 v9, v9, 23, 0x3b800000
	v_cndmask_b32_e32 v8, v8, v10, vcc_lo
	v_and_b32_e32 v10, 0x80000000, v11
	s_and_b32 vcc_lo, exec_lo, s75
	v_lshlrev_b32_e32 v8, 20, v8
	v_or3_b32 v105, v10, v9, v8
                                        ; implicit-def: $vgpr8
	s_cbranch_vccz .LBB2_3638
; %bb.3625:                             ;   in Loop: Header=BB2_3084 Depth=3
	s_mov_b32 s17, 0
	s_and_saveexec_b32 s22, s18
	s_xor_b32 s18, exec_lo, s22
	s_cbranch_execz .LBB2_3783
; %bb.3626:                             ;   in Loop: Header=BB2_3084 Depth=3
	v_cmp_eq_u16_sdwa s23, v15, v103 src0_sel:BYTE_3 src1_sel:DWORD
	s_mov_b32 s17, -1
	s_and_saveexec_b32 s22, s23
; %bb.3627:                             ;   in Loop: Header=BB2_3084 Depth=3
	s_xor_b32 s17, exec_lo, -1
; %bb.3628:                             ;   in Loop: Header=BB2_3084 Depth=3
	s_or_b32 exec_lo, exec_lo, s22
	s_and_b32 s17, s17, exec_lo
	s_or_saveexec_b32 s18, s18
	v_mov_b32_e32 v8, 0x7f800001
	s_xor_b32 exec_lo, exec_lo, s18
	s_cbranch_execnz .LBB2_3784
.LBB2_3629:                             ;   in Loop: Header=BB2_3084 Depth=3
	s_or_b32 exec_lo, exec_lo, s18
	s_and_saveexec_b32 s18, s17
	s_cbranch_execz .LBB2_3631
.LBB2_3630:                             ;   in Loop: Header=BB2_3084 Depth=3
	v_bfe_u32 v8, v15, 24, 3
	v_bfe_u32 v106, v15, 27, 4
	v_ffbh_u32_e32 v9, v8
	v_cmp_eq_u32_e32 vcc_lo, 0, v106
	v_min_u32_e32 v9, 32, v9
	v_subrev_nc_u32_e32 v10, 28, v9
	v_sub_nc_u32_e32 v9, 29, v9
	v_lshlrev_b32_sdwa v10, v10, v15 dst_sel:DWORD dst_unused:UNUSED_PAD src0_sel:DWORD src1_sel:BYTE_3
	v_cndmask_b32_e32 v9, v106, v9, vcc_lo
	v_and_b32_e32 v10, 7, v10
	v_lshl_add_u32 v9, v9, 23, 0x3b800000
	v_cndmask_b32_e32 v8, v8, v10, vcc_lo
	v_and_b32_e32 v10, 0x80000000, v15
	v_lshlrev_b32_e32 v8, 20, v8
	v_or3_b32 v8, v10, v9, v8
.LBB2_3631:                             ;   in Loop: Header=BB2_3084 Depth=3
	s_or_b32 exec_lo, exec_lo, s18
	v_cmp_gt_i16_sdwa s18, v11, v102 src0_sel:BYTE_3 src1_sel:DWORD
	s_mov_b32 s17, 0
	s_and_saveexec_b32 s22, s18
	s_xor_b32 s18, exec_lo, s22
	s_cbranch_execz .LBB2_3785
; %bb.3632:                             ;   in Loop: Header=BB2_3084 Depth=3
	v_cmp_eq_u16_sdwa s23, v11, v103 src0_sel:BYTE_3 src1_sel:DWORD
	s_mov_b32 s17, -1
	s_and_saveexec_b32 s22, s23
; %bb.3633:                             ;   in Loop: Header=BB2_3084 Depth=3
	s_xor_b32 s17, exec_lo, -1
; %bb.3634:                             ;   in Loop: Header=BB2_3084 Depth=3
	s_or_b32 exec_lo, exec_lo, s22
	s_and_b32 s17, s17, exec_lo
	s_or_saveexec_b32 s18, s18
	v_mov_b32_e32 v9, 0x7f800001
	s_xor_b32 exec_lo, exec_lo, s18
	s_cbranch_execnz .LBB2_3786
.LBB2_3635:                             ;   in Loop: Header=BB2_3084 Depth=3
	s_or_b32 exec_lo, exec_lo, s18
	s_and_saveexec_b32 s18, s17
.LBB2_3636:                             ;   in Loop: Header=BB2_3084 Depth=3
	v_mov_b32_e32 v9, v105
.LBB2_3637:                             ;   in Loop: Header=BB2_3084 Depth=3
	s_or_b32 exec_lo, exec_lo, s18
	v_max_f32_e32 v9, v9, v9
	v_max_f32_e32 v8, v8, v8
	s_mov_b32 s17, 0
	v_max_f32_e32 v8, v8, v9
.LBB2_3638:                             ;   in Loop: Header=BB2_3084 Depth=3
	s_and_b32 vcc_lo, exec_lo, s17
	s_cbranch_vccz .LBB2_3652
; %bb.3639:                             ;   in Loop: Header=BB2_3084 Depth=3
	v_cmp_gt_i16_sdwa s18, v15, v102 src0_sel:BYTE_3 src1_sel:DWORD
	s_mov_b32 s17, 0
	s_and_saveexec_b32 s22, s18
	s_xor_b32 s18, exec_lo, s22
	s_cbranch_execz .LBB2_3787
; %bb.3640:                             ;   in Loop: Header=BB2_3084 Depth=3
	v_cmp_eq_u16_sdwa s23, v15, v103 src0_sel:BYTE_3 src1_sel:DWORD
	s_mov_b32 s17, -1
	s_and_saveexec_b32 s22, s23
; %bb.3641:                             ;   in Loop: Header=BB2_3084 Depth=3
	s_xor_b32 s17, exec_lo, -1
; %bb.3642:                             ;   in Loop: Header=BB2_3084 Depth=3
	s_or_b32 exec_lo, exec_lo, s22
	s_and_b32 s17, s17, exec_lo
	s_or_saveexec_b32 s18, s18
	v_mov_b32_e32 v106, 0x7f800001
	s_xor_b32 exec_lo, exec_lo, s18
	s_cbranch_execnz .LBB2_3788
.LBB2_3643:                             ;   in Loop: Header=BB2_3084 Depth=3
	s_or_b32 exec_lo, exec_lo, s18
	s_and_saveexec_b32 s18, s17
	s_cbranch_execz .LBB2_3645
.LBB2_3644:                             ;   in Loop: Header=BB2_3084 Depth=3
	v_bfe_u32 v8, v15, 24, 3
	v_bfe_u32 v106, v15, 27, 4
	v_ffbh_u32_e32 v9, v8
	v_cmp_eq_u32_e32 vcc_lo, 0, v106
	v_min_u32_e32 v9, 32, v9
	v_subrev_nc_u32_e32 v10, 28, v9
	v_sub_nc_u32_e32 v9, 29, v9
	v_lshlrev_b32_sdwa v10, v10, v15 dst_sel:DWORD dst_unused:UNUSED_PAD src0_sel:DWORD src1_sel:BYTE_3
	v_cndmask_b32_e32 v9, v106, v9, vcc_lo
	v_and_b32_e32 v10, 7, v10
	v_lshl_add_u32 v9, v9, 23, 0x3b800000
	v_cndmask_b32_e32 v8, v8, v10, vcc_lo
	v_and_b32_e32 v10, 0x80000000, v15
	v_lshlrev_b32_e32 v8, 20, v8
	v_or3_b32 v106, v10, v9, v8
.LBB2_3645:                             ;   in Loop: Header=BB2_3084 Depth=3
	s_or_b32 exec_lo, exec_lo, s18
	v_cmp_gt_i16_sdwa s18, v11, v102 src0_sel:BYTE_3 src1_sel:DWORD
	s_mov_b32 s17, 0
	s_and_saveexec_b32 s22, s18
	s_xor_b32 s18, exec_lo, s22
	s_cbranch_execz .LBB2_3789
; %bb.3646:                             ;   in Loop: Header=BB2_3084 Depth=3
	v_cmp_eq_u16_sdwa s23, v11, v103 src0_sel:BYTE_3 src1_sel:DWORD
	s_mov_b32 s17, -1
	s_and_saveexec_b32 s22, s23
; %bb.3647:                             ;   in Loop: Header=BB2_3084 Depth=3
	s_xor_b32 s17, exec_lo, -1
; %bb.3648:                             ;   in Loop: Header=BB2_3084 Depth=3
	s_or_b32 exec_lo, exec_lo, s22
	s_and_b32 s17, s17, exec_lo
                                        ; implicit-def: $vgpr8_vgpr9_vgpr10_vgpr11
	s_or_saveexec_b32 s18, s18
	v_mov_b32_e32 v8, 0x7f800001
	s_xor_b32 exec_lo, exec_lo, s18
	s_cbranch_execnz .LBB2_3790
.LBB2_3649:                             ;   in Loop: Header=BB2_3084 Depth=3
	s_or_b32 exec_lo, exec_lo, s18
	s_and_saveexec_b32 s18, s17
.LBB2_3650:                             ;   in Loop: Header=BB2_3084 Depth=3
	v_mov_b32_e32 v8, v105
.LBB2_3651:                             ;   in Loop: Header=BB2_3084 Depth=3
	s_or_b32 exec_lo, exec_lo, s18
	v_max_f32_e32 v8, v8, v8
	v_max_f32_e32 v9, v106, v106
	v_min_f32_e32 v8, v9, v8
.LBB2_3652:                             ;   in Loop: Header=BB2_3084 Depth=3
	v_and_b32_e32 v9, 0x7f800000, v8
	v_cmp_ne_u32_e32 vcc_lo, 0x7f800000, v9
	v_mov_b32_e32 v9, 0x8000
	s_and_saveexec_b32 s18, vcc_lo
	s_cbranch_execz .LBB2_3660
; %bb.3653:                             ;   in Loop: Header=BB2_3084 Depth=3
	v_mov_b32_e32 v9, 0
	s_mov_b32 s22, exec_lo
	v_cmpx_ne_u32_e32 0, v8
	s_cbranch_execz .LBB2_3659
; %bb.3654:                             ;   in Loop: Header=BB2_3084 Depth=3
	v_bfe_u32 v9, v8, 23, 8
	v_and_b32_e32 v10, 0x7fffff, v8
	v_sub_nc_u32_e32 v11, 0x78, v9
	v_cmp_gt_u32_e32 vcc_lo, 0x79, v9
	v_or_b32_e32 v15, 0x800000, v10
	v_cndmask_b32_e32 v11, 0, v11, vcc_lo
	v_cmp_eq_u32_e32 vcc_lo, 0, v9
	v_add_nc_u32_e32 v9, 0xffffff89, v9
	v_cndmask_b32_e64 v11, v11, 0x77, vcc_lo
	v_cndmask_b32_e32 v10, v15, v10, vcc_lo
	v_cndmask_b32_e64 v9, v9, 0xffffff8a, vcc_lo
	v_lshl_add_u32 v15, 0x100000, v11, -1
	v_lshrrev_b32_e32 v105, v11, v10
	v_lshlrev_b32_e64 v107, v11, 0x80000
	v_add_nc_u32_e32 v11, v11, v9
	v_and_b32_e32 v10, v15, v10
	v_bfe_u32 v106, v105, 20, 1
	v_cmp_eq_u32_e64 s17, v10, v107
	v_add_nc_u32_e32 v15, -1, v106
	v_cndmask_b32_e64 v10, 0, v15, s17
	v_lshrrev_b32_e32 v15, 23, v105
	s_mov_b32 s17, exec_lo
	v_add_nc_u32_e32 v10, v10, v105
	v_xor_b32_e32 v15, 1, v15
	v_and_b32_e32 v9, 0xfffff, v10
	v_add_nc_u32_e32 v10, v9, v105
                                        ; implicit-def: $vgpr9
	v_cmpx_ne_u32_e64 v11, v15
	s_xor_b32 s17, exec_lo, s17
; %bb.3655:                             ;   in Loop: Header=BB2_3084 Depth=3
	v_cmp_lt_u32_e32 vcc_lo, 0xffffff, v10
	v_sub_nc_u32_e32 v9, v11, v15
	v_cndmask_b32_e64 v11, 0, 1, vcc_lo
	v_add_co_ci_u32_e64 v9, null, 0, v9, vcc_lo
	v_lshrrev_b32_e32 v10, v11, v10
; %bb.3656:                             ;   in Loop: Header=BB2_3084 Depth=3
	s_andn2_saveexec_b32 s17, s17
; %bb.3657:                             ;   in Loop: Header=BB2_3084 Depth=3
	v_bfe_u32 v9, v10, 23, 1
; %bb.3658:                             ;   in Loop: Header=BB2_3084 Depth=3
	s_or_b32 exec_lo, exec_lo, s17
	v_lshrrev_b32_e32 v10, 20, v10
	v_min_i32_e32 v11, 15, v9
	v_cmp_gt_i32_e32 vcc_lo, 16, v9
	v_and_b32_sdwa v8, v8, v103 dst_sel:DWORD dst_unused:UNUSED_PAD src0_sel:BYTE_3 src1_sel:DWORD
	v_lshlrev_b32_e32 v11, 3, v11
	v_cndmask_b32_e32 v10, 7, v10, vcc_lo
	v_and_b32_e32 v11, 0xf8, v11
	v_and_b32_e32 v15, 7, v10
	v_or_b32_e32 v9, v9, v10
	v_or3_b32 v8, v8, v11, v15
	v_cmp_ne_u32_e32 vcc_lo, 0, v9
	v_lshlrev_b32_e32 v8, 8, v8
	v_cndmask_b32_e32 v9, 0, v8, vcc_lo
.LBB2_3659:                             ;   in Loop: Header=BB2_3084 Depth=3
	s_or_b32 exec_lo, exec_lo, s22
.LBB2_3660:                             ;   in Loop: Header=BB2_3084 Depth=3
	s_or_b32 exec_lo, exec_lo, s18
	v_or_b32_sdwa v8, v13, v90 dst_sel:WORD_1 dst_unused:UNUSED_PAD src0_sel:DWORD src1_sel:DWORD
	v_or_b32_sdwa v10, v12, v79 dst_sel:WORD_1 dst_unused:UNUSED_PAD src0_sel:DWORD src1_sel:DWORD
	v_or_b32_sdwa v11, v14, v93 dst_sel:WORD_1 dst_unused:UNUSED_PAD src0_sel:DWORD src1_sel:DWORD
	v_or_b32_sdwa v12, v9, v104 dst_sel:WORD_1 dst_unused:UNUSED_PAD src0_sel:DWORD src1_sel:DWORD
	s_mov_b64 s[22:23], 0
	v_or3_b32 v9, v89, v88, v8
	v_or3_b32 v8, v78, v77, v10
	;; [unrolled: 1-line block ×4, first 2 shown]
	s_mov_b32 s76, -1
	.p2align	6
.LBB2_3661:                             ;   Parent Loop BB2_47 Depth=1
                                        ;     Parent Loop BB2_2295 Depth=2
                                        ;       Parent Loop BB2_3084 Depth=3
                                        ; =>      This Inner Loop Header: Depth=4
	s_cmp_eq_u32 s22, 1
	s_cselect_b32 vcc_lo, -1, 0
	s_cmp_eq_u32 s22, 0
	v_cndmask_b32_e32 v12, v73, v75, vcc_lo
	v_cndmask_b32_e32 v13, v74, v76, vcc_lo
	s_mov_b64 s[22:23], 1
	v_add_co_u32 v14, s17, 0x200, v12
	v_add_co_ci_u32_e64 v15, null, 0, v13, s17
	s_cselect_b32 s17, -1, 0
	v_cndmask_b32_e32 v75, v75, v14, vcc_lo
	v_cndmask_b32_e64 v73, v73, v14, s17
	v_cndmask_b32_e32 v76, v76, v15, vcc_lo
	v_cndmask_b32_e64 v74, v74, v15, s17
	s_and_b32 s18, exec_lo, s76
	s_mov_b32 s76, 0
	s_mov_b32 vcc_lo, s18
	global_store_dwordx4 v[12:13], v[8:11], off glc slc
	s_cbranch_vccnz .LBB2_3661
; %bb.3662:                             ;   in Loop: Header=BB2_3084 Depth=3
	v_add_co_u32 v70, vcc_lo, v70, v45
	v_sub_nc_u32_e32 v72, v72, v117
	v_add_co_ci_u32_e64 v71, null, v71, v46, vcc_lo
	v_add_co_u32 v80, vcc_lo, v80, v45
	v_add_co_ci_u32_e64 v81, null, v81, v46, vcc_lo
	v_add_co_u32 v73, vcc_lo, v73, v40
	v_add_co_ci_u32_e64 v74, null, v74, v42, vcc_lo
	v_cmp_gt_i32_e32 vcc_lo, 16, v72
	v_add_co_u32 v75, s17, v75, v40
	v_add_co_ci_u32_e64 v76, null, v76, v42, s17
	v_sub_nc_u32_e32 v63, v63, v87
	s_or_b32 s74, vcc_lo, s74
	s_andn2_b32 exec_lo, exec_lo, s74
	s_cbranch_execnz .LBB2_3084
	s_branch .LBB2_3791
.LBB2_3663:                             ;   in Loop: Header=BB2_3084 Depth=3
	s_or_saveexec_b32 s18, s18
	v_mov_b32_e32 v78, 0x7f800001
	s_xor_b32 exec_lo, exec_lo, s18
	s_cbranch_execz .LBB2_3089
.LBB2_3664:                             ;   in Loop: Header=BB2_3084 Depth=3
	v_cmp_ne_u16_sdwa s22, v12, v2 src0_sel:BYTE_0 src1_sel:DWORD
	v_mov_b32_e32 v78, 0
	s_andn2_b32 s17, s17, exec_lo
	s_and_b32 s22, s22, exec_lo
	s_or_b32 s17, s17, s22
	s_or_b32 exec_lo, exec_lo, s18
	s_and_saveexec_b32 s18, s17
	s_cbranch_execnz .LBB2_3090
	s_branch .LBB2_3091
.LBB2_3665:                             ;   in Loop: Header=BB2_3084 Depth=3
	s_or_saveexec_b32 s18, s18
	v_mov_b32_e32 v79, 0x7f800001
	s_xor_b32 exec_lo, exec_lo, s18
	s_cbranch_execz .LBB2_3095
.LBB2_3666:                             ;   in Loop: Header=BB2_3084 Depth=3
	v_cmp_ne_u16_sdwa s22, v8, v2 src0_sel:BYTE_0 src1_sel:DWORD
	v_mov_b32_e32 v79, 0
	s_andn2_b32 s17, s17, exec_lo
	s_and_b32 s22, s22, exec_lo
	s_or_b32 s17, s17, s22
	s_or_b32 exec_lo, exec_lo, s18
	s_and_saveexec_b32 s18, s17
	s_cbranch_execnz .LBB2_3096
	s_branch .LBB2_3097
.LBB2_3667:                             ;   in Loop: Header=BB2_3084 Depth=3
	s_or_saveexec_b32 s18, s18
	v_mov_b32_e32 v78, 0x7f800001
	s_xor_b32 exec_lo, exec_lo, s18
	s_cbranch_execz .LBB2_3103
.LBB2_3668:                             ;   in Loop: Header=BB2_3084 Depth=3
	v_cmp_ne_u16_sdwa s22, v12, v2 src0_sel:BYTE_0 src1_sel:DWORD
	v_mov_b32_e32 v78, 0
	s_andn2_b32 s17, s17, exec_lo
	s_and_b32 s22, s22, exec_lo
	s_or_b32 s17, s17, s22
	s_or_b32 exec_lo, exec_lo, s18
	s_and_saveexec_b32 s18, s17
	s_cbranch_execnz .LBB2_3104
	s_branch .LBB2_3105
.LBB2_3669:                             ;   in Loop: Header=BB2_3084 Depth=3
	s_or_saveexec_b32 s18, s18
	v_mov_b32_e32 v79, 0x7f800001
	s_xor_b32 exec_lo, exec_lo, s18
	s_cbranch_execz .LBB2_3109
.LBB2_3670:                             ;   in Loop: Header=BB2_3084 Depth=3
	v_cmp_ne_u16_sdwa s22, v8, v2 src0_sel:BYTE_0 src1_sel:DWORD
	v_mov_b32_e32 v79, 0
	s_andn2_b32 s17, s17, exec_lo
	s_and_b32 s22, s22, exec_lo
	s_or_b32 s17, s17, s22
	s_or_b32 exec_lo, exec_lo, s18
	s_and_saveexec_b32 s18, s17
	s_cbranch_execnz .LBB2_3110
	s_branch .LBB2_3111
.LBB2_3671:                             ;   in Loop: Header=BB2_3084 Depth=3
	s_or_saveexec_b32 s18, s18
	v_mov_b32_e32 v79, 0x7f800001
	s_xor_b32 exec_lo, exec_lo, s18
	s_cbranch_execz .LBB2_3125
.LBB2_3672:                             ;   in Loop: Header=BB2_3084 Depth=3
	v_cmp_ne_u16_sdwa s22, v12, v2 src0_sel:BYTE_1 src1_sel:DWORD
	v_mov_b32_e32 v79, 0
	s_andn2_b32 s17, s17, exec_lo
	s_and_b32 s22, s22, exec_lo
	s_or_b32 s17, s17, s22
	s_or_b32 exec_lo, exec_lo, s18
	s_and_saveexec_b32 s18, s17
	s_cbranch_execnz .LBB2_3126
	s_branch .LBB2_3127
.LBB2_3673:                             ;   in Loop: Header=BB2_3084 Depth=3
	s_or_saveexec_b32 s18, s18
	v_mov_b32_e32 v88, 0x7f800001
	s_xor_b32 exec_lo, exec_lo, s18
	s_cbranch_execz .LBB2_3131
.LBB2_3674:                             ;   in Loop: Header=BB2_3084 Depth=3
	v_cmp_ne_u16_sdwa s22, v8, v2 src0_sel:BYTE_1 src1_sel:DWORD
	v_mov_b32_e32 v88, 0
	s_andn2_b32 s17, s17, exec_lo
	s_and_b32 s22, s22, exec_lo
	s_or_b32 s17, s17, s22
	s_or_b32 exec_lo, exec_lo, s18
	s_and_saveexec_b32 s18, s17
	s_cbranch_execnz .LBB2_3132
	s_branch .LBB2_3133
.LBB2_3675:                             ;   in Loop: Header=BB2_3084 Depth=3
	s_or_saveexec_b32 s18, s18
	v_mov_b32_e32 v79, 0x7f800001
	s_xor_b32 exec_lo, exec_lo, s18
	s_cbranch_execz .LBB2_3139
.LBB2_3676:                             ;   in Loop: Header=BB2_3084 Depth=3
	v_cmp_ne_u16_sdwa s22, v12, v2 src0_sel:BYTE_1 src1_sel:DWORD
	v_mov_b32_e32 v79, 0
	s_andn2_b32 s17, s17, exec_lo
	s_and_b32 s22, s22, exec_lo
	s_or_b32 s17, s17, s22
	s_or_b32 exec_lo, exec_lo, s18
	s_and_saveexec_b32 s18, s17
	s_cbranch_execnz .LBB2_3140
	s_branch .LBB2_3141
.LBB2_3677:                             ;   in Loop: Header=BB2_3084 Depth=3
	s_or_saveexec_b32 s18, s18
	v_mov_b32_e32 v88, 0x7f800001
	s_xor_b32 exec_lo, exec_lo, s18
	s_cbranch_execz .LBB2_3145
.LBB2_3678:                             ;   in Loop: Header=BB2_3084 Depth=3
	v_cmp_ne_u16_sdwa s22, v8, v2 src0_sel:BYTE_1 src1_sel:DWORD
	v_mov_b32_e32 v88, 0
	s_andn2_b32 s17, s17, exec_lo
	s_and_b32 s22, s22, exec_lo
	s_or_b32 s17, s17, s22
	s_or_b32 exec_lo, exec_lo, s18
	s_and_saveexec_b32 s18, s17
	s_cbranch_execnz .LBB2_3146
	s_branch .LBB2_3147
.LBB2_3679:                             ;   in Loop: Header=BB2_3084 Depth=3
	s_or_saveexec_b32 s17, s17
	v_mov_b32_e32 v89, 0x7f800001
	s_xor_b32 exec_lo, exec_lo, s17
	s_cbranch_execz .LBB2_3161
.LBB2_3680:                             ;   in Loop: Header=BB2_3084 Depth=3
	v_cmp_ne_u16_e32 vcc_lo, 0, v88
	v_mov_b32_e32 v89, 0
	s_andn2_b32 s18, s18, exec_lo
	s_and_b32 s22, vcc_lo, exec_lo
	s_or_b32 s18, s18, s22
	s_or_b32 exec_lo, exec_lo, s17
	s_and_saveexec_b32 s17, s18
	s_cbranch_execnz .LBB2_3162
	s_branch .LBB2_3163
.LBB2_3681:                             ;   in Loop: Header=BB2_3084 Depth=3
	s_or_saveexec_b32 s18, s18
	v_mov_b32_e32 v90, 0x7f800001
	s_xor_b32 exec_lo, exec_lo, s18
	s_cbranch_execz .LBB2_3167
.LBB2_3682:                             ;   in Loop: Header=BB2_3084 Depth=3
	v_cmp_ne_u16_e32 vcc_lo, 0, v91
	v_mov_b32_e32 v90, 0
	s_andn2_b32 s17, s17, exec_lo
	s_and_b32 s22, vcc_lo, exec_lo
	s_or_b32 s17, s17, s22
	s_or_b32 exec_lo, exec_lo, s18
	s_and_saveexec_b32 s18, s17
	s_cbranch_execnz .LBB2_3168
	s_branch .LBB2_3169
.LBB2_3683:                             ;   in Loop: Header=BB2_3084 Depth=3
	s_or_saveexec_b32 s18, s18
	v_mov_b32_e32 v89, 0x7f800001
	s_xor_b32 exec_lo, exec_lo, s18
	s_cbranch_execz .LBB2_3175
.LBB2_3684:                             ;   in Loop: Header=BB2_3084 Depth=3
	v_cmp_ne_u16_e32 vcc_lo, 0, v88
	v_mov_b32_e32 v89, 0
	s_andn2_b32 s17, s17, exec_lo
	s_and_b32 s22, vcc_lo, exec_lo
	s_or_b32 s17, s17, s22
	s_or_b32 exec_lo, exec_lo, s18
	s_and_saveexec_b32 s18, s17
	s_cbranch_execnz .LBB2_3176
	s_branch .LBB2_3177
.LBB2_3685:                             ;   in Loop: Header=BB2_3084 Depth=3
	s_or_saveexec_b32 s18, s18
	v_mov_b32_e32 v88, 0x7f800001
	s_xor_b32 exec_lo, exec_lo, s18
	s_cbranch_execz .LBB2_3181
.LBB2_3686:                             ;   in Loop: Header=BB2_3084 Depth=3
	v_cmp_ne_u16_e32 vcc_lo, 0, v90
	v_mov_b32_e32 v88, 0
	s_andn2_b32 s17, s17, exec_lo
	s_and_b32 s22, vcc_lo, exec_lo
	s_or_b32 s17, s17, s22
	s_or_b32 exec_lo, exec_lo, s18
	s_and_saveexec_b32 s18, s17
	s_cbranch_execnz .LBB2_3182
	s_branch .LBB2_3183
.LBB2_3687:                             ;   in Loop: Header=BB2_3084 Depth=3
	s_or_saveexec_b32 s18, s18
	v_mov_b32_e32 v89, 0x7f800001
	s_xor_b32 exec_lo, exec_lo, s18
	s_cbranch_execz .LBB2_3197
.LBB2_3688:                             ;   in Loop: Header=BB2_3084 Depth=3
	v_cmp_ne_u16_sdwa s22, v12, v2 src0_sel:BYTE_3 src1_sel:DWORD
	v_mov_b32_e32 v89, 0
	s_andn2_b32 s17, s17, exec_lo
	s_and_b32 s22, s22, exec_lo
	s_or_b32 s17, s17, s22
	s_or_b32 exec_lo, exec_lo, s18
	s_and_saveexec_b32 s18, s17
	s_cbranch_execnz .LBB2_3198
	s_branch .LBB2_3199
.LBB2_3689:                             ;   in Loop: Header=BB2_3084 Depth=3
	s_or_saveexec_b32 s18, s18
	v_mov_b32_e32 v90, 0x7f800001
	s_xor_b32 exec_lo, exec_lo, s18
	s_cbranch_execz .LBB2_3203
.LBB2_3690:                             ;   in Loop: Header=BB2_3084 Depth=3
	v_cmp_ne_u16_sdwa s22, v8, v2 src0_sel:BYTE_3 src1_sel:DWORD
	v_mov_b32_e32 v90, 0
	s_andn2_b32 s17, s17, exec_lo
	s_and_b32 s22, s22, exec_lo
	s_or_b32 s17, s17, s22
	s_or_b32 exec_lo, exec_lo, s18
	s_and_saveexec_b32 s18, s17
	s_cbranch_execnz .LBB2_3204
	s_branch .LBB2_3205
.LBB2_3691:                             ;   in Loop: Header=BB2_3084 Depth=3
	s_or_saveexec_b32 s18, s18
	v_mov_b32_e32 v89, 0x7f800001
	s_xor_b32 exec_lo, exec_lo, s18
	s_cbranch_execz .LBB2_3211
.LBB2_3692:                             ;   in Loop: Header=BB2_3084 Depth=3
	v_cmp_ne_u16_sdwa s22, v12, v2 src0_sel:BYTE_3 src1_sel:DWORD
	v_mov_b32_e32 v89, 0
	s_andn2_b32 s17, s17, exec_lo
	s_and_b32 s22, s22, exec_lo
	s_or_b32 s17, s17, s22
	s_or_b32 exec_lo, exec_lo, s18
	s_and_saveexec_b32 s18, s17
	s_cbranch_execnz .LBB2_3212
	s_branch .LBB2_3213
.LBB2_3693:                             ;   in Loop: Header=BB2_3084 Depth=3
	s_or_saveexec_b32 s18, s18
	v_mov_b32_e32 v12, 0x7f800001
	s_xor_b32 exec_lo, exec_lo, s18
	s_cbranch_execz .LBB2_3217
.LBB2_3694:                             ;   in Loop: Header=BB2_3084 Depth=3
	v_cmp_ne_u16_sdwa s22, v8, v2 src0_sel:BYTE_3 src1_sel:DWORD
	v_mov_b32_e32 v12, 0
	s_andn2_b32 s17, s17, exec_lo
	s_and_b32 s22, s22, exec_lo
	s_or_b32 s17, s17, s22
	s_or_b32 exec_lo, exec_lo, s18
	s_and_saveexec_b32 s18, s17
	s_cbranch_execnz .LBB2_3218
	s_branch .LBB2_3219
.LBB2_3695:                             ;   in Loop: Header=BB2_3084 Depth=3
	s_or_saveexec_b32 s18, s18
	v_mov_b32_e32 v88, 0x7f800001
	s_xor_b32 exec_lo, exec_lo, s18
	s_cbranch_execz .LBB2_3233
.LBB2_3696:                             ;   in Loop: Header=BB2_3084 Depth=3
	v_cmp_ne_u16_sdwa s22, v13, v2 src0_sel:BYTE_0 src1_sel:DWORD
	v_mov_b32_e32 v88, 0
	s_andn2_b32 s17, s17, exec_lo
	s_and_b32 s22, s22, exec_lo
	s_or_b32 s17, s17, s22
	s_or_b32 exec_lo, exec_lo, s18
	s_and_saveexec_b32 s18, s17
	s_cbranch_execnz .LBB2_3234
	s_branch .LBB2_3235
.LBB2_3697:                             ;   in Loop: Header=BB2_3084 Depth=3
	s_or_saveexec_b32 s18, s18
	v_mov_b32_e32 v89, 0x7f800001
	s_xor_b32 exec_lo, exec_lo, s18
	s_cbranch_execz .LBB2_3239
.LBB2_3698:                             ;   in Loop: Header=BB2_3084 Depth=3
	v_cmp_ne_u16_sdwa s22, v9, v2 src0_sel:BYTE_0 src1_sel:DWORD
	v_mov_b32_e32 v89, 0
	s_andn2_b32 s17, s17, exec_lo
	s_and_b32 s22, s22, exec_lo
	s_or_b32 s17, s17, s22
	s_or_b32 exec_lo, exec_lo, s18
	s_and_saveexec_b32 s18, s17
	s_cbranch_execnz .LBB2_3240
	s_branch .LBB2_3241
.LBB2_3699:                             ;   in Loop: Header=BB2_3084 Depth=3
	s_or_saveexec_b32 s18, s18
	v_mov_b32_e32 v88, 0x7f800001
	s_xor_b32 exec_lo, exec_lo, s18
	s_cbranch_execz .LBB2_3247
.LBB2_3700:                             ;   in Loop: Header=BB2_3084 Depth=3
	v_cmp_ne_u16_sdwa s22, v13, v2 src0_sel:BYTE_0 src1_sel:DWORD
	v_mov_b32_e32 v88, 0
	s_andn2_b32 s17, s17, exec_lo
	s_and_b32 s22, s22, exec_lo
	s_or_b32 s17, s17, s22
	s_or_b32 exec_lo, exec_lo, s18
	s_and_saveexec_b32 s18, s17
	s_cbranch_execnz .LBB2_3248
	s_branch .LBB2_3249
.LBB2_3701:                             ;   in Loop: Header=BB2_3084 Depth=3
	s_or_saveexec_b32 s18, s18
	v_mov_b32_e32 v89, 0x7f800001
	s_xor_b32 exec_lo, exec_lo, s18
	s_cbranch_execz .LBB2_3253
.LBB2_3702:                             ;   in Loop: Header=BB2_3084 Depth=3
	v_cmp_ne_u16_sdwa s22, v9, v2 src0_sel:BYTE_0 src1_sel:DWORD
	v_mov_b32_e32 v89, 0
	s_andn2_b32 s17, s17, exec_lo
	s_and_b32 s22, s22, exec_lo
	s_or_b32 s17, s17, s22
	s_or_b32 exec_lo, exec_lo, s18
	s_and_saveexec_b32 s18, s17
	s_cbranch_execnz .LBB2_3254
	s_branch .LBB2_3255
.LBB2_3703:                             ;   in Loop: Header=BB2_3084 Depth=3
	s_or_saveexec_b32 s18, s18
	v_mov_b32_e32 v89, 0x7f800001
	s_xor_b32 exec_lo, exec_lo, s18
	s_cbranch_execz .LBB2_3269
.LBB2_3704:                             ;   in Loop: Header=BB2_3084 Depth=3
	v_cmp_ne_u16_sdwa s22, v13, v2 src0_sel:BYTE_1 src1_sel:DWORD
	v_mov_b32_e32 v89, 0
	s_andn2_b32 s17, s17, exec_lo
	s_and_b32 s22, s22, exec_lo
	s_or_b32 s17, s17, s22
	s_or_b32 exec_lo, exec_lo, s18
	s_and_saveexec_b32 s18, s17
	s_cbranch_execnz .LBB2_3270
	s_branch .LBB2_3271
.LBB2_3705:                             ;   in Loop: Header=BB2_3084 Depth=3
	s_or_saveexec_b32 s18, s18
	v_mov_b32_e32 v90, 0x7f800001
	s_xor_b32 exec_lo, exec_lo, s18
	s_cbranch_execz .LBB2_3275
.LBB2_3706:                             ;   in Loop: Header=BB2_3084 Depth=3
	v_cmp_ne_u16_sdwa s22, v9, v2 src0_sel:BYTE_1 src1_sel:DWORD
	v_mov_b32_e32 v90, 0
	s_andn2_b32 s17, s17, exec_lo
	s_and_b32 s22, s22, exec_lo
	s_or_b32 s17, s17, s22
	s_or_b32 exec_lo, exec_lo, s18
	s_and_saveexec_b32 s18, s17
	s_cbranch_execnz .LBB2_3276
	s_branch .LBB2_3277
.LBB2_3707:                             ;   in Loop: Header=BB2_3084 Depth=3
	s_or_saveexec_b32 s18, s18
	v_mov_b32_e32 v89, 0x7f800001
	s_xor_b32 exec_lo, exec_lo, s18
	s_cbranch_execz .LBB2_3283
.LBB2_3708:                             ;   in Loop: Header=BB2_3084 Depth=3
	v_cmp_ne_u16_sdwa s22, v13, v2 src0_sel:BYTE_1 src1_sel:DWORD
	v_mov_b32_e32 v89, 0
	s_andn2_b32 s17, s17, exec_lo
	s_and_b32 s22, s22, exec_lo
	s_or_b32 s17, s17, s22
	s_or_b32 exec_lo, exec_lo, s18
	s_and_saveexec_b32 s18, s17
	s_cbranch_execnz .LBB2_3284
	s_branch .LBB2_3285
.LBB2_3709:                             ;   in Loop: Header=BB2_3084 Depth=3
	s_or_saveexec_b32 s18, s18
	v_mov_b32_e32 v90, 0x7f800001
	s_xor_b32 exec_lo, exec_lo, s18
	s_cbranch_execz .LBB2_3289
.LBB2_3710:                             ;   in Loop: Header=BB2_3084 Depth=3
	v_cmp_ne_u16_sdwa s22, v9, v2 src0_sel:BYTE_1 src1_sel:DWORD
	v_mov_b32_e32 v90, 0
	s_andn2_b32 s17, s17, exec_lo
	s_and_b32 s22, s22, exec_lo
	s_or_b32 s17, s17, s22
	s_or_b32 exec_lo, exec_lo, s18
	s_and_saveexec_b32 s18, s17
	s_cbranch_execnz .LBB2_3290
	s_branch .LBB2_3291
.LBB2_3711:                             ;   in Loop: Header=BB2_3084 Depth=3
	s_or_saveexec_b32 s17, s17
	v_mov_b32_e32 v91, 0x7f800001
	s_xor_b32 exec_lo, exec_lo, s17
	s_cbranch_execz .LBB2_3305
.LBB2_3712:                             ;   in Loop: Header=BB2_3084 Depth=3
	v_cmp_ne_u16_e32 vcc_lo, 0, v90
	v_mov_b32_e32 v91, 0
	s_andn2_b32 s18, s18, exec_lo
	s_and_b32 s22, vcc_lo, exec_lo
	s_or_b32 s18, s18, s22
	s_or_b32 exec_lo, exec_lo, s17
	s_and_saveexec_b32 s17, s18
	s_cbranch_execnz .LBB2_3306
	s_branch .LBB2_3307
.LBB2_3713:                             ;   in Loop: Header=BB2_3084 Depth=3
	s_or_saveexec_b32 s18, s18
	v_mov_b32_e32 v92, 0x7f800001
	s_xor_b32 exec_lo, exec_lo, s18
	s_cbranch_execz .LBB2_3311
.LBB2_3714:                             ;   in Loop: Header=BB2_3084 Depth=3
	v_cmp_ne_u16_e32 vcc_lo, 0, v93
	v_mov_b32_e32 v92, 0
	s_andn2_b32 s17, s17, exec_lo
	s_and_b32 s22, vcc_lo, exec_lo
	s_or_b32 s17, s17, s22
	s_or_b32 exec_lo, exec_lo, s18
	s_and_saveexec_b32 s18, s17
	s_cbranch_execnz .LBB2_3312
	s_branch .LBB2_3313
.LBB2_3715:                             ;   in Loop: Header=BB2_3084 Depth=3
	s_or_saveexec_b32 s18, s18
	v_mov_b32_e32 v91, 0x7f800001
	s_xor_b32 exec_lo, exec_lo, s18
	s_cbranch_execz .LBB2_3319
.LBB2_3716:                             ;   in Loop: Header=BB2_3084 Depth=3
	v_cmp_ne_u16_e32 vcc_lo, 0, v90
	v_mov_b32_e32 v91, 0
	s_andn2_b32 s17, s17, exec_lo
	s_and_b32 s22, vcc_lo, exec_lo
	s_or_b32 s17, s17, s22
	s_or_b32 exec_lo, exec_lo, s18
	s_and_saveexec_b32 s18, s17
	s_cbranch_execnz .LBB2_3320
	s_branch .LBB2_3321
.LBB2_3717:                             ;   in Loop: Header=BB2_3084 Depth=3
	s_or_saveexec_b32 s18, s18
	v_mov_b32_e32 v90, 0x7f800001
	s_xor_b32 exec_lo, exec_lo, s18
	s_cbranch_execz .LBB2_3325
.LBB2_3718:                             ;   in Loop: Header=BB2_3084 Depth=3
	v_cmp_ne_u16_e32 vcc_lo, 0, v92
	v_mov_b32_e32 v90, 0
	s_andn2_b32 s17, s17, exec_lo
	s_and_b32 s22, vcc_lo, exec_lo
	s_or_b32 s17, s17, s22
	s_or_b32 exec_lo, exec_lo, s18
	s_and_saveexec_b32 s18, s17
	s_cbranch_execnz .LBB2_3326
	s_branch .LBB2_3327
.LBB2_3719:                             ;   in Loop: Header=BB2_3084 Depth=3
	s_or_saveexec_b32 s18, s18
	v_mov_b32_e32 v91, 0x7f800001
	s_xor_b32 exec_lo, exec_lo, s18
	s_cbranch_execz .LBB2_3341
.LBB2_3720:                             ;   in Loop: Header=BB2_3084 Depth=3
	v_cmp_ne_u16_sdwa s22, v13, v2 src0_sel:BYTE_3 src1_sel:DWORD
	v_mov_b32_e32 v91, 0
	s_andn2_b32 s17, s17, exec_lo
	s_and_b32 s22, s22, exec_lo
	s_or_b32 s17, s17, s22
	s_or_b32 exec_lo, exec_lo, s18
	s_and_saveexec_b32 s18, s17
	s_cbranch_execnz .LBB2_3342
	s_branch .LBB2_3343
.LBB2_3721:                             ;   in Loop: Header=BB2_3084 Depth=3
	s_or_saveexec_b32 s18, s18
	v_mov_b32_e32 v92, 0x7f800001
	s_xor_b32 exec_lo, exec_lo, s18
	s_cbranch_execz .LBB2_3347
.LBB2_3722:                             ;   in Loop: Header=BB2_3084 Depth=3
	v_cmp_ne_u16_sdwa s22, v9, v2 src0_sel:BYTE_3 src1_sel:DWORD
	v_mov_b32_e32 v92, 0
	s_andn2_b32 s17, s17, exec_lo
	s_and_b32 s22, s22, exec_lo
	s_or_b32 s17, s17, s22
	s_or_b32 exec_lo, exec_lo, s18
	s_and_saveexec_b32 s18, s17
	s_cbranch_execnz .LBB2_3348
	s_branch .LBB2_3349
.LBB2_3723:                             ;   in Loop: Header=BB2_3084 Depth=3
	s_or_saveexec_b32 s18, s18
	v_mov_b32_e32 v91, 0x7f800001
	s_xor_b32 exec_lo, exec_lo, s18
	s_cbranch_execz .LBB2_3355
.LBB2_3724:                             ;   in Loop: Header=BB2_3084 Depth=3
	v_cmp_ne_u16_sdwa s22, v13, v2 src0_sel:BYTE_3 src1_sel:DWORD
	v_mov_b32_e32 v91, 0
	s_andn2_b32 s17, s17, exec_lo
	s_and_b32 s22, s22, exec_lo
	s_or_b32 s17, s17, s22
	s_or_b32 exec_lo, exec_lo, s18
	s_and_saveexec_b32 s18, s17
	s_cbranch_execnz .LBB2_3356
	s_branch .LBB2_3357
.LBB2_3725:                             ;   in Loop: Header=BB2_3084 Depth=3
	s_or_saveexec_b32 s18, s18
	v_mov_b32_e32 v13, 0x7f800001
	s_xor_b32 exec_lo, exec_lo, s18
	s_cbranch_execz .LBB2_3361
.LBB2_3726:                             ;   in Loop: Header=BB2_3084 Depth=3
	v_cmp_ne_u16_sdwa s22, v9, v2 src0_sel:BYTE_3 src1_sel:DWORD
	v_mov_b32_e32 v13, 0
	s_andn2_b32 s17, s17, exec_lo
	s_and_b32 s22, s22, exec_lo
	s_or_b32 s17, s17, s22
	s_or_b32 exec_lo, exec_lo, s18
	s_and_saveexec_b32 s18, s17
	s_cbranch_execnz .LBB2_3362
	s_branch .LBB2_3363
.LBB2_3727:                             ;   in Loop: Header=BB2_3084 Depth=3
	s_or_saveexec_b32 s18, s18
	v_mov_b32_e32 v9, 0x7f800001
	s_xor_b32 exec_lo, exec_lo, s18
	s_cbranch_execz .LBB2_3377
.LBB2_3728:                             ;   in Loop: Header=BB2_3084 Depth=3
	v_cmp_ne_u16_sdwa s22, v14, v2 src0_sel:BYTE_0 src1_sel:DWORD
	v_mov_b32_e32 v9, 0
	s_andn2_b32 s17, s17, exec_lo
	s_and_b32 s22, s22, exec_lo
	s_or_b32 s17, s17, s22
	s_or_b32 exec_lo, exec_lo, s18
	s_and_saveexec_b32 s18, s17
	s_cbranch_execnz .LBB2_3378
	s_branch .LBB2_3379
.LBB2_3729:                             ;   in Loop: Header=BB2_3084 Depth=3
	s_or_saveexec_b32 s18, s18
	v_mov_b32_e32 v91, 0x7f800001
	s_xor_b32 exec_lo, exec_lo, s18
	s_cbranch_execz .LBB2_3383
.LBB2_3730:                             ;   in Loop: Header=BB2_3084 Depth=3
	v_cmp_ne_u16_sdwa s22, v10, v2 src0_sel:BYTE_0 src1_sel:DWORD
	v_mov_b32_e32 v91, 0
	s_andn2_b32 s17, s17, exec_lo
	s_and_b32 s22, s22, exec_lo
	s_or_b32 s17, s17, s22
	s_or_b32 exec_lo, exec_lo, s18
	s_and_saveexec_b32 s18, s17
	s_cbranch_execnz .LBB2_3384
	s_branch .LBB2_3385
.LBB2_3731:                             ;   in Loop: Header=BB2_3084 Depth=3
	s_or_saveexec_b32 s18, s18
	v_mov_b32_e32 v9, 0x7f800001
	s_xor_b32 exec_lo, exec_lo, s18
	s_cbranch_execz .LBB2_3391
.LBB2_3732:                             ;   in Loop: Header=BB2_3084 Depth=3
	v_cmp_ne_u16_sdwa s22, v14, v2 src0_sel:BYTE_0 src1_sel:DWORD
	v_mov_b32_e32 v9, 0
	s_andn2_b32 s17, s17, exec_lo
	s_and_b32 s22, s22, exec_lo
	s_or_b32 s17, s17, s22
	s_or_b32 exec_lo, exec_lo, s18
	s_and_saveexec_b32 s18, s17
	s_cbranch_execnz .LBB2_3392
	s_branch .LBB2_3393
.LBB2_3733:                             ;   in Loop: Header=BB2_3084 Depth=3
	s_or_saveexec_b32 s18, s18
	v_mov_b32_e32 v91, 0x7f800001
	s_xor_b32 exec_lo, exec_lo, s18
	s_cbranch_execz .LBB2_3397
.LBB2_3734:                             ;   in Loop: Header=BB2_3084 Depth=3
	v_cmp_ne_u16_sdwa s22, v10, v2 src0_sel:BYTE_0 src1_sel:DWORD
	v_mov_b32_e32 v91, 0
	s_andn2_b32 s17, s17, exec_lo
	s_and_b32 s22, s22, exec_lo
	s_or_b32 s17, s17, s22
	s_or_b32 exec_lo, exec_lo, s18
	s_and_saveexec_b32 s18, s17
	s_cbranch_execnz .LBB2_3398
	s_branch .LBB2_3399
.LBB2_3735:                             ;   in Loop: Header=BB2_3084 Depth=3
	s_or_saveexec_b32 s18, s18
	v_mov_b32_e32 v9, 0x7f800001
	s_xor_b32 exec_lo, exec_lo, s18
	s_cbranch_execz .LBB2_3413
.LBB2_3736:                             ;   in Loop: Header=BB2_3084 Depth=3
	v_cmp_ne_u16_sdwa s22, v14, v2 src0_sel:BYTE_1 src1_sel:DWORD
	v_mov_b32_e32 v9, 0
	s_andn2_b32 s17, s17, exec_lo
	s_and_b32 s22, s22, exec_lo
	s_or_b32 s17, s17, s22
	s_or_b32 exec_lo, exec_lo, s18
	s_and_saveexec_b32 s18, s17
	s_cbranch_execnz .LBB2_3414
	s_branch .LBB2_3415
.LBB2_3737:                             ;   in Loop: Header=BB2_3084 Depth=3
	s_or_saveexec_b32 s18, s18
	v_mov_b32_e32 v92, 0x7f800001
	s_xor_b32 exec_lo, exec_lo, s18
	s_cbranch_execz .LBB2_3419
.LBB2_3738:                             ;   in Loop: Header=BB2_3084 Depth=3
	v_cmp_ne_u16_sdwa s22, v10, v2 src0_sel:BYTE_1 src1_sel:DWORD
	v_mov_b32_e32 v92, 0
	s_andn2_b32 s17, s17, exec_lo
	s_and_b32 s22, s22, exec_lo
	s_or_b32 s17, s17, s22
	s_or_b32 exec_lo, exec_lo, s18
	s_and_saveexec_b32 s18, s17
	s_cbranch_execnz .LBB2_3420
	s_branch .LBB2_3421
.LBB2_3739:                             ;   in Loop: Header=BB2_3084 Depth=3
	s_or_saveexec_b32 s18, s18
	v_mov_b32_e32 v9, 0x7f800001
	s_xor_b32 exec_lo, exec_lo, s18
	s_cbranch_execz .LBB2_3427
.LBB2_3740:                             ;   in Loop: Header=BB2_3084 Depth=3
	v_cmp_ne_u16_sdwa s22, v14, v2 src0_sel:BYTE_1 src1_sel:DWORD
	v_mov_b32_e32 v9, 0
	s_andn2_b32 s17, s17, exec_lo
	s_and_b32 s22, s22, exec_lo
	s_or_b32 s17, s17, s22
	s_or_b32 exec_lo, exec_lo, s18
	s_and_saveexec_b32 s18, s17
	s_cbranch_execnz .LBB2_3428
	s_branch .LBB2_3429
.LBB2_3741:                             ;   in Loop: Header=BB2_3084 Depth=3
	s_or_saveexec_b32 s18, s18
	v_mov_b32_e32 v92, 0x7f800001
	s_xor_b32 exec_lo, exec_lo, s18
	s_cbranch_execz .LBB2_3433
.LBB2_3742:                             ;   in Loop: Header=BB2_3084 Depth=3
	v_cmp_ne_u16_sdwa s22, v10, v2 src0_sel:BYTE_1 src1_sel:DWORD
	v_mov_b32_e32 v92, 0
	s_andn2_b32 s17, s17, exec_lo
	s_and_b32 s22, s22, exec_lo
	s_or_b32 s17, s17, s22
	s_or_b32 exec_lo, exec_lo, s18
	s_and_saveexec_b32 s18, s17
	s_cbranch_execnz .LBB2_3434
	s_branch .LBB2_3435
.LBB2_3743:                             ;   in Loop: Header=BB2_3084 Depth=3
	s_or_saveexec_b32 s17, s17
	v_mov_b32_e32 v93, 0x7f800001
	s_xor_b32 exec_lo, exec_lo, s17
	s_cbranch_execz .LBB2_3449
.LBB2_3744:                             ;   in Loop: Header=BB2_3084 Depth=3
	v_cmp_ne_u16_e32 vcc_lo, 0, v9
	v_mov_b32_e32 v93, 0
	s_andn2_b32 s18, s18, exec_lo
	s_and_b32 s22, vcc_lo, exec_lo
	s_or_b32 s18, s18, s22
	s_or_b32 exec_lo, exec_lo, s17
	s_and_saveexec_b32 s17, s18
	s_cbranch_execnz .LBB2_3450
	s_branch .LBB2_3451
.LBB2_3745:                             ;   in Loop: Header=BB2_3084 Depth=3
	s_or_saveexec_b32 s18, s18
	v_mov_b32_e32 v94, 0x7f800001
	s_xor_b32 exec_lo, exec_lo, s18
	s_cbranch_execz .LBB2_3455
.LBB2_3746:                             ;   in Loop: Header=BB2_3084 Depth=3
	v_cmp_ne_u16_e32 vcc_lo, 0, v95
	v_mov_b32_e32 v94, 0
	s_andn2_b32 s17, s17, exec_lo
	s_and_b32 s22, vcc_lo, exec_lo
	s_or_b32 s17, s17, s22
	s_or_b32 exec_lo, exec_lo, s18
	s_and_saveexec_b32 s18, s17
	s_cbranch_execnz .LBB2_3456
	s_branch .LBB2_3457
.LBB2_3747:                             ;   in Loop: Header=BB2_3084 Depth=3
	s_or_saveexec_b32 s18, s18
	v_mov_b32_e32 v93, 0x7f800001
	s_xor_b32 exec_lo, exec_lo, s18
	s_cbranch_execz .LBB2_3463
.LBB2_3748:                             ;   in Loop: Header=BB2_3084 Depth=3
	v_cmp_ne_u16_e32 vcc_lo, 0, v9
	v_mov_b32_e32 v93, 0
	s_andn2_b32 s17, s17, exec_lo
	s_and_b32 s22, vcc_lo, exec_lo
	s_or_b32 s17, s17, s22
	s_or_b32 exec_lo, exec_lo, s18
	s_and_saveexec_b32 s18, s17
	s_cbranch_execnz .LBB2_3464
	s_branch .LBB2_3465
.LBB2_3749:                             ;   in Loop: Header=BB2_3084 Depth=3
	s_or_saveexec_b32 s18, s18
	v_mov_b32_e32 v9, 0x7f800001
	s_xor_b32 exec_lo, exec_lo, s18
	s_cbranch_execz .LBB2_3469
.LBB2_3750:                             ;   in Loop: Header=BB2_3084 Depth=3
	v_cmp_ne_u16_e32 vcc_lo, 0, v94
	v_mov_b32_e32 v9, 0
	s_andn2_b32 s17, s17, exec_lo
	s_and_b32 s22, vcc_lo, exec_lo
	s_or_b32 s17, s17, s22
	s_or_b32 exec_lo, exec_lo, s18
	s_and_saveexec_b32 s18, s17
	s_cbranch_execnz .LBB2_3470
	s_branch .LBB2_3471
.LBB2_3751:                             ;   in Loop: Header=BB2_3084 Depth=3
	s_or_saveexec_b32 s18, s18
	v_mov_b32_e32 v9, 0x7f800001
	s_xor_b32 exec_lo, exec_lo, s18
	s_cbranch_execz .LBB2_3485
.LBB2_3752:                             ;   in Loop: Header=BB2_3084 Depth=3
	v_cmp_ne_u16_sdwa s22, v14, v2 src0_sel:BYTE_3 src1_sel:DWORD
	v_mov_b32_e32 v9, 0
	s_andn2_b32 s17, s17, exec_lo
	s_and_b32 s22, s22, exec_lo
	s_or_b32 s17, s17, s22
	s_or_b32 exec_lo, exec_lo, s18
	s_and_saveexec_b32 s18, s17
	s_cbranch_execnz .LBB2_3486
	s_branch .LBB2_3487
.LBB2_3753:                             ;   in Loop: Header=BB2_3084 Depth=3
	s_or_saveexec_b32 s18, s18
	v_mov_b32_e32 v94, 0x7f800001
	s_xor_b32 exec_lo, exec_lo, s18
	s_cbranch_execz .LBB2_3491
.LBB2_3754:                             ;   in Loop: Header=BB2_3084 Depth=3
	v_cmp_ne_u16_sdwa s22, v10, v2 src0_sel:BYTE_3 src1_sel:DWORD
	v_mov_b32_e32 v94, 0
	s_andn2_b32 s17, s17, exec_lo
	s_and_b32 s22, s22, exec_lo
	s_or_b32 s17, s17, s22
	s_or_b32 exec_lo, exec_lo, s18
	s_and_saveexec_b32 s18, s17
	s_cbranch_execnz .LBB2_3492
	s_branch .LBB2_3493
.LBB2_3755:                             ;   in Loop: Header=BB2_3084 Depth=3
	s_or_saveexec_b32 s18, s18
	v_mov_b32_e32 v9, 0x7f800001
	s_xor_b32 exec_lo, exec_lo, s18
	s_cbranch_execz .LBB2_3499
.LBB2_3756:                             ;   in Loop: Header=BB2_3084 Depth=3
	v_cmp_ne_u16_sdwa s22, v14, v2 src0_sel:BYTE_3 src1_sel:DWORD
	v_mov_b32_e32 v9, 0
	s_andn2_b32 s17, s17, exec_lo
	s_and_b32 s22, s22, exec_lo
	s_or_b32 s17, s17, s22
	s_or_b32 exec_lo, exec_lo, s18
	s_and_saveexec_b32 s18, s17
	s_cbranch_execnz .LBB2_3500
	s_branch .LBB2_3501
.LBB2_3757:                             ;   in Loop: Header=BB2_3084 Depth=3
	s_or_saveexec_b32 s18, s18
	v_mov_b32_e32 v14, 0x7f800001
	s_xor_b32 exec_lo, exec_lo, s18
	s_cbranch_execz .LBB2_3505
.LBB2_3758:                             ;   in Loop: Header=BB2_3084 Depth=3
	v_cmp_ne_u16_sdwa s22, v10, v2 src0_sel:BYTE_3 src1_sel:DWORD
	v_mov_b32_e32 v14, 0
	s_andn2_b32 s17, s17, exec_lo
	s_and_b32 s22, s22, exec_lo
	s_or_b32 s17, s17, s22
	s_or_b32 exec_lo, exec_lo, s18
	s_and_saveexec_b32 s18, s17
	s_cbranch_execnz .LBB2_3506
	s_branch .LBB2_3507
.LBB2_3759:                             ;   in Loop: Header=BB2_3084 Depth=3
	s_or_saveexec_b32 s18, s18
	v_mov_b32_e32 v9, 0x7f800001
	s_xor_b32 exec_lo, exec_lo, s18
	s_cbranch_execz .LBB2_3521
.LBB2_3760:                             ;   in Loop: Header=BB2_3084 Depth=3
	v_cmp_ne_u16_sdwa s22, v15, v2 src0_sel:BYTE_0 src1_sel:DWORD
	v_mov_b32_e32 v9, 0
	s_andn2_b32 s17, s17, exec_lo
	s_and_b32 s22, s22, exec_lo
	s_or_b32 s17, s17, s22
	s_or_b32 exec_lo, exec_lo, s18
	s_and_saveexec_b32 s18, s17
	s_cbranch_execnz .LBB2_3522
	s_branch .LBB2_3523
.LBB2_3761:                             ;   in Loop: Header=BB2_3084 Depth=3
	s_or_saveexec_b32 s18, s18
	v_mov_b32_e32 v10, 0x7f800001
	s_xor_b32 exec_lo, exec_lo, s18
	s_cbranch_execz .LBB2_3527
.LBB2_3762:                             ;   in Loop: Header=BB2_3084 Depth=3
	v_cmp_ne_u16_sdwa s22, v11, v2 src0_sel:BYTE_0 src1_sel:DWORD
	v_mov_b32_e32 v10, 0
	s_andn2_b32 s17, s17, exec_lo
	s_and_b32 s22, s22, exec_lo
	s_or_b32 s17, s17, s22
	s_or_b32 exec_lo, exec_lo, s18
	s_and_saveexec_b32 s18, s17
	s_cbranch_execnz .LBB2_3528
	s_branch .LBB2_3529
.LBB2_3763:                             ;   in Loop: Header=BB2_3084 Depth=3
	s_or_saveexec_b32 s18, s18
	v_mov_b32_e32 v9, 0x7f800001
	s_xor_b32 exec_lo, exec_lo, s18
	s_cbranch_execz .LBB2_3535
.LBB2_3764:                             ;   in Loop: Header=BB2_3084 Depth=3
	v_cmp_ne_u16_sdwa s22, v15, v2 src0_sel:BYTE_0 src1_sel:DWORD
	v_mov_b32_e32 v9, 0
	s_andn2_b32 s17, s17, exec_lo
	s_and_b32 s22, s22, exec_lo
	s_or_b32 s17, s17, s22
	s_or_b32 exec_lo, exec_lo, s18
	s_and_saveexec_b32 s18, s17
	s_cbranch_execnz .LBB2_3536
	s_branch .LBB2_3537
.LBB2_3765:                             ;   in Loop: Header=BB2_3084 Depth=3
	s_or_saveexec_b32 s18, s18
	v_mov_b32_e32 v10, 0x7f800001
	s_xor_b32 exec_lo, exec_lo, s18
	s_cbranch_execz .LBB2_3541
.LBB2_3766:                             ;   in Loop: Header=BB2_3084 Depth=3
	v_cmp_ne_u16_sdwa s22, v11, v2 src0_sel:BYTE_0 src1_sel:DWORD
	v_mov_b32_e32 v10, 0
	s_andn2_b32 s17, s17, exec_lo
	s_and_b32 s22, s22, exec_lo
	s_or_b32 s17, s17, s22
	s_or_b32 exec_lo, exec_lo, s18
	s_and_saveexec_b32 s18, s17
	s_cbranch_execnz .LBB2_3542
	s_branch .LBB2_3543
.LBB2_3767:                             ;   in Loop: Header=BB2_3084 Depth=3
	s_or_saveexec_b32 s18, s18
	v_mov_b32_e32 v9, 0x7f800001
	s_xor_b32 exec_lo, exec_lo, s18
	s_cbranch_execz .LBB2_3557
.LBB2_3768:                             ;   in Loop: Header=BB2_3084 Depth=3
	v_cmp_ne_u16_sdwa s22, v15, v2 src0_sel:BYTE_1 src1_sel:DWORD
	v_mov_b32_e32 v9, 0
	s_andn2_b32 s17, s17, exec_lo
	s_and_b32 s22, s22, exec_lo
	s_or_b32 s17, s17, s22
	s_or_b32 exec_lo, exec_lo, s18
	s_and_saveexec_b32 s18, s17
	s_cbranch_execnz .LBB2_3558
	s_branch .LBB2_3559
.LBB2_3769:                             ;   in Loop: Header=BB2_3084 Depth=3
	s_or_saveexec_b32 s18, s18
	v_mov_b32_e32 v10, 0x7f800001
	s_xor_b32 exec_lo, exec_lo, s18
	s_cbranch_execz .LBB2_3563
.LBB2_3770:                             ;   in Loop: Header=BB2_3084 Depth=3
	v_cmp_ne_u16_sdwa s22, v11, v2 src0_sel:BYTE_1 src1_sel:DWORD
	v_mov_b32_e32 v10, 0
	s_andn2_b32 s17, s17, exec_lo
	s_and_b32 s22, s22, exec_lo
	s_or_b32 s17, s17, s22
	s_or_b32 exec_lo, exec_lo, s18
	s_and_saveexec_b32 s18, s17
	s_cbranch_execnz .LBB2_3564
	s_branch .LBB2_3565
.LBB2_3771:                             ;   in Loop: Header=BB2_3084 Depth=3
	s_or_saveexec_b32 s18, s18
	v_mov_b32_e32 v9, 0x7f800001
	s_xor_b32 exec_lo, exec_lo, s18
	s_cbranch_execz .LBB2_3571
.LBB2_3772:                             ;   in Loop: Header=BB2_3084 Depth=3
	v_cmp_ne_u16_sdwa s22, v15, v2 src0_sel:BYTE_1 src1_sel:DWORD
	v_mov_b32_e32 v9, 0
	s_andn2_b32 s17, s17, exec_lo
	s_and_b32 s22, s22, exec_lo
	s_or_b32 s17, s17, s22
	s_or_b32 exec_lo, exec_lo, s18
	s_and_saveexec_b32 s18, s17
	s_cbranch_execnz .LBB2_3572
	s_branch .LBB2_3573
.LBB2_3773:                             ;   in Loop: Header=BB2_3084 Depth=3
	s_or_saveexec_b32 s18, s18
	v_mov_b32_e32 v10, 0x7f800001
	s_xor_b32 exec_lo, exec_lo, s18
	s_cbranch_execz .LBB2_3577
.LBB2_3774:                             ;   in Loop: Header=BB2_3084 Depth=3
	v_cmp_ne_u16_sdwa s22, v11, v2 src0_sel:BYTE_1 src1_sel:DWORD
	v_mov_b32_e32 v10, 0
	s_andn2_b32 s17, s17, exec_lo
	s_and_b32 s22, s22, exec_lo
	s_or_b32 s17, s17, s22
	s_or_b32 exec_lo, exec_lo, s18
	s_and_saveexec_b32 s18, s17
	s_cbranch_execnz .LBB2_3578
	s_branch .LBB2_3579
.LBB2_3775:                             ;   in Loop: Header=BB2_3084 Depth=3
	s_or_saveexec_b32 s17, s17
	v_mov_b32_e32 v10, 0x7f800001
	s_xor_b32 exec_lo, exec_lo, s17
	s_cbranch_execz .LBB2_3593
.LBB2_3776:                             ;   in Loop: Header=BB2_3084 Depth=3
	v_cmp_ne_u16_e32 vcc_lo, 0, v9
	v_mov_b32_e32 v10, 0
	s_andn2_b32 s18, s18, exec_lo
	s_and_b32 s22, vcc_lo, exec_lo
	s_or_b32 s18, s18, s22
	s_or_b32 exec_lo, exec_lo, s17
	s_and_saveexec_b32 s17, s18
	s_cbranch_execnz .LBB2_3594
	s_branch .LBB2_3595
.LBB2_3777:                             ;   in Loop: Header=BB2_3084 Depth=3
	s_or_saveexec_b32 s18, s18
	v_mov_b32_e32 v104, 0x7f800001
	s_xor_b32 exec_lo, exec_lo, s18
	s_cbranch_execz .LBB2_3599
.LBB2_3778:                             ;   in Loop: Header=BB2_3084 Depth=3
	v_cmp_ne_u16_e32 vcc_lo, 0, v105
	v_mov_b32_e32 v104, 0
	s_andn2_b32 s17, s17, exec_lo
	s_and_b32 s22, vcc_lo, exec_lo
	s_or_b32 s17, s17, s22
	s_or_b32 exec_lo, exec_lo, s18
	s_and_saveexec_b32 s18, s17
	s_cbranch_execnz .LBB2_3600
	s_branch .LBB2_3601
.LBB2_3779:                             ;   in Loop: Header=BB2_3084 Depth=3
	s_or_saveexec_b32 s18, s18
	v_mov_b32_e32 v10, 0x7f800001
	s_xor_b32 exec_lo, exec_lo, s18
	s_cbranch_execz .LBB2_3607
.LBB2_3780:                             ;   in Loop: Header=BB2_3084 Depth=3
	v_cmp_ne_u16_e32 vcc_lo, 0, v9
	v_mov_b32_e32 v10, 0
	s_andn2_b32 s17, s17, exec_lo
	s_and_b32 s22, vcc_lo, exec_lo
	s_or_b32 s17, s17, s22
	s_or_b32 exec_lo, exec_lo, s18
	s_and_saveexec_b32 s18, s17
	s_cbranch_execnz .LBB2_3608
	s_branch .LBB2_3609
.LBB2_3781:                             ;   in Loop: Header=BB2_3084 Depth=3
	s_or_saveexec_b32 s18, s18
	v_mov_b32_e32 v9, 0x7f800001
	s_xor_b32 exec_lo, exec_lo, s18
	s_cbranch_execz .LBB2_3613
.LBB2_3782:                             ;   in Loop: Header=BB2_3084 Depth=3
	v_cmp_ne_u16_e32 vcc_lo, 0, v104
	v_mov_b32_e32 v9, 0
	s_andn2_b32 s17, s17, exec_lo
	s_and_b32 s22, vcc_lo, exec_lo
	s_or_b32 s17, s17, s22
	s_or_b32 exec_lo, exec_lo, s18
	s_and_saveexec_b32 s18, s17
	s_cbranch_execnz .LBB2_3614
	s_branch .LBB2_3615
.LBB2_3783:                             ;   in Loop: Header=BB2_3084 Depth=3
	s_or_saveexec_b32 s18, s18
	v_mov_b32_e32 v8, 0x7f800001
	s_xor_b32 exec_lo, exec_lo, s18
	s_cbranch_execz .LBB2_3629
.LBB2_3784:                             ;   in Loop: Header=BB2_3084 Depth=3
	v_cmp_ne_u16_sdwa s22, v15, v2 src0_sel:BYTE_3 src1_sel:DWORD
	v_mov_b32_e32 v8, 0
	s_andn2_b32 s17, s17, exec_lo
	s_and_b32 s22, s22, exec_lo
	s_or_b32 s17, s17, s22
	s_or_b32 exec_lo, exec_lo, s18
	s_and_saveexec_b32 s18, s17
	s_cbranch_execnz .LBB2_3630
	s_branch .LBB2_3631
.LBB2_3785:                             ;   in Loop: Header=BB2_3084 Depth=3
	s_or_saveexec_b32 s18, s18
	v_mov_b32_e32 v9, 0x7f800001
	s_xor_b32 exec_lo, exec_lo, s18
	s_cbranch_execz .LBB2_3635
.LBB2_3786:                             ;   in Loop: Header=BB2_3084 Depth=3
	v_cmp_ne_u16_sdwa s22, v11, v2 src0_sel:BYTE_3 src1_sel:DWORD
	v_mov_b32_e32 v9, 0
	s_andn2_b32 s17, s17, exec_lo
	s_and_b32 s22, s22, exec_lo
	s_or_b32 s17, s17, s22
	s_or_b32 exec_lo, exec_lo, s18
	s_and_saveexec_b32 s18, s17
	s_cbranch_execnz .LBB2_3636
	s_branch .LBB2_3637
.LBB2_3787:                             ;   in Loop: Header=BB2_3084 Depth=3
	s_or_saveexec_b32 s18, s18
	v_mov_b32_e32 v106, 0x7f800001
	s_xor_b32 exec_lo, exec_lo, s18
	s_cbranch_execz .LBB2_3643
.LBB2_3788:                             ;   in Loop: Header=BB2_3084 Depth=3
	v_cmp_ne_u16_sdwa s22, v15, v2 src0_sel:BYTE_3 src1_sel:DWORD
	v_mov_b32_e32 v106, 0
	s_andn2_b32 s17, s17, exec_lo
	s_and_b32 s22, s22, exec_lo
	s_or_b32 s17, s17, s22
	s_or_b32 exec_lo, exec_lo, s18
	s_and_saveexec_b32 s18, s17
	s_cbranch_execnz .LBB2_3644
	s_branch .LBB2_3645
.LBB2_3789:                             ;   in Loop: Header=BB2_3084 Depth=3
	s_or_saveexec_b32 s18, s18
	v_mov_b32_e32 v8, 0x7f800001
	s_xor_b32 exec_lo, exec_lo, s18
	s_cbranch_execz .LBB2_3649
.LBB2_3790:                             ;   in Loop: Header=BB2_3084 Depth=3
	v_cmp_ne_u16_sdwa s22, v11, v2 src0_sel:BYTE_3 src1_sel:DWORD
	v_mov_b32_e32 v8, 0
	s_andn2_b32 s17, s17, exec_lo
	s_and_b32 s22, s22, exec_lo
	s_or_b32 s17, s17, s22
	s_or_b32 exec_lo, exec_lo, s18
	s_and_saveexec_b32 s18, s17
	s_cbranch_execnz .LBB2_3650
	s_branch .LBB2_3651
.LBB2_3791:                             ;   in Loop: Header=BB2_2295 Depth=2
	s_or_b32 exec_lo, exec_lo, s74
.LBB2_3792:                             ;   in Loop: Header=BB2_2295 Depth=2
	s_or_b32 exec_lo, exec_lo, s73
	v_and_b32_e32 v8, 15, v59
	v_cmp_lt_i32_e32 vcc_lo, 0, v63
	v_sub_nc_u32_e32 v9, v60, v8
	v_cndmask_b32_e32 v10, 0, v87, vcc_lo
	v_cndmask_b32_e64 v71, v60, v8, s16
	v_cndmask_b32_e64 v8, 0, v9, s16
	v_sub_nc_u32_e32 v9, v10, v63
	v_cmp_ne_u32_e32 vcc_lo, 0, v71
	v_add3_u32 v70, v62, v58, v8
	v_lshl_add_u32 v80, v9, 5, v61
	s_and_b32 s17, vcc_lo, exec_lo
.LBB2_3793:                             ;   in Loop: Header=BB2_2295 Depth=2
	s_or_b32 exec_lo, exec_lo, s19
	s_and_saveexec_b32 s22, s17
	s_cbranch_execz .LBB2_4200
.LBB2_3794:                             ;   in Loop: Header=BB2_2295 Depth=2
	v_ashrrev_i32_e32 v8, 31, v80
	v_ashrrev_i32_e32 v9, 31, v71
	s_mov_b32 s17, exec_lo
	v_lshrrev_b32_e32 v8, 27, v8
	v_add_nc_u32_sdwa v9, v71, v9 dst_sel:DWORD dst_unused:UNUSED_PAD src0_sel:DWORD src1_sel:BYTE_3
	v_add_nc_u32_e32 v8, v80, v8
	v_ashrrev_i32_e32 v59, 8, v9
	v_ashrrev_i32_e32 v81, 5, v8
	v_sub_nc_u32_e32 v58, v59, v81
	v_cmpx_lt_i32_e32 0, v58
	s_cbranch_execz .LBB2_4150
; %bb.3795:                             ;   in Loop: Header=BB2_2295 Depth=2
	v_and_b32_e32 v8, 0xffffffe0, v8
	s_trap 2
	ds_read_b64 v[14:15], v0
	v_lshlrev_b32_e32 v9, 8, v81
	s_bitcmp1_b32 s72, 0
	v_sub_nc_u32_e32 v8, v80, v8
	s_mov_b32 s18, 0
	s_cselect_b32 s19, -1, 0
	v_add3_u32 v60, v70, v8, v9
	v_ashrrev_i32_e32 v61, 31, v60
	v_add_co_u32 v8, vcc_lo, v60, v66
	v_add_co_ci_u32_e64 v9, null, v61, v67, vcc_lo
	v_add_co_u32 v10, vcc_lo, v60, v68
	v_add_co_ci_u32_e64 v11, null, v61, v69, vcc_lo
	;; [unrolled: 2-line block ×3, first 2 shown]
	s_waitcnt lgkmcnt(0)
	v_add_co_u32 v14, vcc_lo, v14, v60
	v_add_co_ci_u32_e64 v15, null, v15, v61, vcc_lo
	s_branch .LBB2_3799
.LBB2_3796:                             ;   in Loop: Header=BB2_3799 Depth=3
	s_or_b32 exec_lo, exec_lo, s16
	v_lshrrev_b32_e32 v69, 20, v69
	v_cmp_gt_i32_e32 vcc_lo, 16, v68
	v_min_i32_e32 v73, 15, v68
	v_and_b32_sdwa v62, v62, v103 dst_sel:DWORD dst_unused:UNUSED_PAD src0_sel:BYTE_3 src1_sel:DWORD
	v_cndmask_b32_e32 v69, 7, v69, vcc_lo
	v_lshlrev_b32_e32 v73, 3, v73
	v_and_b32_e32 v76, 7, v69
	v_or_b32_e32 v68, v68, v69
	v_or3_b32 v69, v73, v62, v76
	v_cmp_ne_u32_e32 vcc_lo, 0, v68
	v_cndmask_b32_e32 v68, 0, v69, vcc_lo
.LBB2_3797:                             ;   in Loop: Header=BB2_3799 Depth=3
	s_or_b32 exec_lo, exec_lo, s73
.LBB2_3798:                             ;   in Loop: Header=BB2_3799 Depth=3
	s_or_b32 exec_lo, exec_lo, s23
	v_add_co_u32 v12, vcc_lo, v12, v118
	v_sub_nc_u32_e32 v58, v58, v87
	v_add_co_ci_u32_e64 v13, null, 0, v13, vcc_lo
	v_add_co_u32 v14, vcc_lo, v14, v118
	flat_store_byte v[8:9], v60 glc slc
	flat_store_byte v[8:9], v63 offset:32 glc slc
	flat_store_byte v[8:9], v74 offset:64 glc slc
	;; [unrolled: 1-line block ×7, first 2 shown]
	flat_store_byte v[10:11], v60 glc slc
	flat_store_byte v[10:11], v63 offset:32 glc slc
	flat_store_byte v[10:11], v74 offset:64 glc slc
	;; [unrolled: 1-line block ×7, first 2 shown]
	v_add_co_ci_u32_e64 v15, null, 0, v15, vcc_lo
	v_add_co_u32 v8, vcc_lo, v8, v118
	v_add_co_ci_u32_e64 v9, null, 0, v9, vcc_lo
	v_cmp_gt_i32_e32 vcc_lo, 1, v58
	v_add_co_u32 v10, s16, v10, v118
	v_add_co_ci_u32_e64 v11, null, 0, v11, s16
	s_or_b32 s18, vcc_lo, s18
	s_andn2_b32 exec_lo, exec_lo, s18
	s_cbranch_execz .LBB2_4149
.LBB2_3799:                             ;   Parent Loop BB2_47 Depth=1
                                        ;     Parent Loop BB2_2295 Depth=2
                                        ; =>    This Inner Loop Header: Depth=3
	s_clause 0x7
	flat_load_ubyte v89, v[12:13] slc
	flat_load_ubyte v88, v[12:13] offset:32 slc
	flat_load_ubyte v79, v[12:13] offset:64 slc
	;; [unrolled: 1-line block ×7, first 2 shown]
	s_clause 0x7
	flat_load_ubyte v60, v[14:15] slc
	flat_load_ubyte v63, v[14:15] offset:32 slc
	flat_load_ubyte v74, v[14:15] offset:64 slc
	;; [unrolled: 1-line block ×7, first 2 shown]
	s_and_b32 vcc_lo, exec_lo, s19
	s_mov_b32 s16, -1
                                        ; implicit-def: $vgpr90
	s_waitcnt vmcnt(15) lgkmcnt(15)
	v_cmp_gt_i16_sdwa s23, v89, v102 src0_sel:BYTE_0 src1_sel:DWORD
	s_cbranch_vccz .LBB2_3813
; %bb.3800:                             ;   in Loop: Header=BB2_3799 Depth=3
	s_mov_b32 s16, 0
	s_and_saveexec_b32 s73, s23
	s_xor_b32 s23, exec_lo, s73
	s_cbranch_execz .LBB2_4085
; %bb.3801:                             ;   in Loop: Header=BB2_3799 Depth=3
	v_cmp_eq_u16_sdwa s74, v89, v103 src0_sel:BYTE_0 src1_sel:DWORD
	s_mov_b32 s16, -1
	s_and_saveexec_b32 s73, s74
; %bb.3802:                             ;   in Loop: Header=BB2_3799 Depth=3
	s_xor_b32 s16, exec_lo, -1
; %bb.3803:                             ;   in Loop: Header=BB2_3799 Depth=3
	s_or_b32 exec_lo, exec_lo, s73
	s_and_b32 s16, s16, exec_lo
	s_or_saveexec_b32 s23, s23
	v_mov_b32_e32 v90, 0x7f800001
	s_xor_b32 exec_lo, exec_lo, s23
	s_cbranch_execnz .LBB2_4086
.LBB2_3804:                             ;   in Loop: Header=BB2_3799 Depth=3
	s_or_b32 exec_lo, exec_lo, s23
	s_and_saveexec_b32 s23, s16
	s_cbranch_execz .LBB2_3806
.LBB2_3805:                             ;   in Loop: Header=BB2_3799 Depth=3
	v_and_b32_e32 v90, 7, v89
	v_lshrrev_b16 v92, 3, v89
	v_lshlrev_b32_e32 v94, 24, v89
	v_ffbh_u32_e32 v91, v90
	v_and_b32_e32 v92, 15, v92
	v_min_u32_e32 v91, 32, v91
	v_cmp_eq_u32_e32 vcc_lo, 0, v92
	v_subrev_nc_u32_e32 v93, 28, v91
	v_sub_nc_u32_e32 v91, 29, v91
	v_lshlrev_b32_e32 v93, v93, v89
	v_cndmask_b32_e32 v91, v92, v91, vcc_lo
	v_and_b32_e32 v92, 0x80000000, v94
	v_and_b32_e32 v93, 7, v93
	v_lshl_add_u32 v91, v91, 23, 0x3b800000
	v_cndmask_b32_e32 v90, v90, v93, vcc_lo
	v_lshlrev_b32_e32 v90, 20, v90
	v_or3_b32 v90, v92, v91, v90
.LBB2_3806:                             ;   in Loop: Header=BB2_3799 Depth=3
	s_or_b32 exec_lo, exec_lo, s23
	s_waitcnt vmcnt(7) lgkmcnt(7)
	v_cmp_gt_i16_sdwa s23, v60, v102 src0_sel:BYTE_0 src1_sel:DWORD
	s_mov_b32 s16, 0
	s_and_saveexec_b32 s73, s23
	s_xor_b32 s23, exec_lo, s73
	s_cbranch_execz .LBB2_4087
; %bb.3807:                             ;   in Loop: Header=BB2_3799 Depth=3
	v_cmp_eq_u16_sdwa s74, v60, v103 src0_sel:BYTE_0 src1_sel:DWORD
	s_mov_b32 s16, -1
	s_and_saveexec_b32 s73, s74
; %bb.3808:                             ;   in Loop: Header=BB2_3799 Depth=3
	s_xor_b32 s16, exec_lo, -1
; %bb.3809:                             ;   in Loop: Header=BB2_3799 Depth=3
	s_or_b32 exec_lo, exec_lo, s73
	s_and_b32 s16, s16, exec_lo
	s_or_saveexec_b32 s23, s23
	v_mov_b32_e32 v91, 0x7f800001
	s_xor_b32 exec_lo, exec_lo, s23
	s_cbranch_execnz .LBB2_4088
.LBB2_3810:                             ;   in Loop: Header=BB2_3799 Depth=3
	s_or_b32 exec_lo, exec_lo, s23
	s_and_saveexec_b32 s23, s16
	s_cbranch_execz .LBB2_3812
.LBB2_3811:                             ;   in Loop: Header=BB2_3799 Depth=3
	v_and_b32_e32 v91, 7, v60
	v_lshrrev_b16 v93, 3, v60
	v_lshlrev_b32_e32 v95, 24, v60
	v_ffbh_u32_e32 v92, v91
	v_and_b32_e32 v93, 15, v93
	v_min_u32_e32 v92, 32, v92
	v_cmp_eq_u32_e32 vcc_lo, 0, v93
	v_subrev_nc_u32_e32 v94, 28, v92
	v_sub_nc_u32_e32 v92, 29, v92
	v_lshlrev_b32_e32 v94, v94, v60
	v_cndmask_b32_e32 v92, v93, v92, vcc_lo
	v_and_b32_e32 v93, 0x80000000, v95
	v_and_b32_e32 v94, 7, v94
	v_lshl_add_u32 v92, v92, 23, 0x3b800000
	v_cndmask_b32_e32 v91, v91, v94, vcc_lo
	v_lshlrev_b32_e32 v91, 20, v91
	v_or3_b32 v91, v93, v92, v91
.LBB2_3812:                             ;   in Loop: Header=BB2_3799 Depth=3
	s_or_b32 exec_lo, exec_lo, s23
	v_max_f32_e32 v91, v91, v91
	v_max_f32_e32 v90, v90, v90
	s_mov_b32 s16, 0
	v_max_f32_e32 v90, v90, v91
.LBB2_3813:                             ;   in Loop: Header=BB2_3799 Depth=3
	s_and_b32 vcc_lo, exec_lo, s16
	s_cbranch_vccz .LBB2_3827
; %bb.3814:                             ;   in Loop: Header=BB2_3799 Depth=3
	v_cmp_gt_i16_sdwa s23, v89, v102 src0_sel:BYTE_0 src1_sel:DWORD
	s_mov_b32 s16, 0
	s_and_saveexec_b32 s73, s23
	s_xor_b32 s23, exec_lo, s73
	s_cbranch_execz .LBB2_4089
; %bb.3815:                             ;   in Loop: Header=BB2_3799 Depth=3
	v_cmp_eq_u16_sdwa s74, v89, v103 src0_sel:BYTE_0 src1_sel:DWORD
	s_mov_b32 s16, -1
	s_and_saveexec_b32 s73, s74
; %bb.3816:                             ;   in Loop: Header=BB2_3799 Depth=3
	s_xor_b32 s16, exec_lo, -1
; %bb.3817:                             ;   in Loop: Header=BB2_3799 Depth=3
	s_or_b32 exec_lo, exec_lo, s73
	s_and_b32 s16, s16, exec_lo
	s_or_saveexec_b32 s23, s23
	v_mov_b32_e32 v90, 0x7f800001
	s_xor_b32 exec_lo, exec_lo, s23
	s_cbranch_execnz .LBB2_4090
.LBB2_3818:                             ;   in Loop: Header=BB2_3799 Depth=3
	s_or_b32 exec_lo, exec_lo, s23
	s_and_saveexec_b32 s23, s16
	s_cbranch_execz .LBB2_3820
.LBB2_3819:                             ;   in Loop: Header=BB2_3799 Depth=3
	v_and_b32_e32 v90, 7, v89
	v_lshrrev_b16 v92, 3, v89
	v_ffbh_u32_e32 v91, v90
	v_and_b32_e32 v92, 15, v92
	v_min_u32_e32 v91, 32, v91
	v_cmp_eq_u32_e32 vcc_lo, 0, v92
	v_subrev_nc_u32_e32 v93, 28, v91
	v_sub_nc_u32_e32 v91, 29, v91
	v_lshlrev_b32_e32 v93, v93, v89
	v_lshlrev_b32_e32 v89, 24, v89
	v_cndmask_b32_e32 v91, v92, v91, vcc_lo
	v_and_b32_e32 v93, 7, v93
	v_and_b32_e32 v89, 0x80000000, v89
	v_lshl_add_u32 v91, v91, 23, 0x3b800000
	v_cndmask_b32_e32 v90, v90, v93, vcc_lo
	v_lshlrev_b32_e32 v90, 20, v90
	v_or3_b32 v90, v89, v91, v90
.LBB2_3820:                             ;   in Loop: Header=BB2_3799 Depth=3
	s_or_b32 exec_lo, exec_lo, s23
	s_waitcnt vmcnt(7) lgkmcnt(7)
	v_cmp_gt_i16_sdwa s23, v60, v102 src0_sel:BYTE_0 src1_sel:DWORD
	s_mov_b32 s16, 0
	s_and_saveexec_b32 s73, s23
	s_xor_b32 s23, exec_lo, s73
	s_cbranch_execz .LBB2_4091
; %bb.3821:                             ;   in Loop: Header=BB2_3799 Depth=3
	v_cmp_eq_u16_sdwa s74, v60, v103 src0_sel:BYTE_0 src1_sel:DWORD
	s_mov_b32 s16, -1
	s_and_saveexec_b32 s73, s74
; %bb.3822:                             ;   in Loop: Header=BB2_3799 Depth=3
	s_xor_b32 s16, exec_lo, -1
; %bb.3823:                             ;   in Loop: Header=BB2_3799 Depth=3
	s_or_b32 exec_lo, exec_lo, s73
	s_and_b32 s16, s16, exec_lo
	s_or_saveexec_b32 s23, s23
	v_mov_b32_e32 v89, 0x7f800001
	s_xor_b32 exec_lo, exec_lo, s23
	s_cbranch_execnz .LBB2_4092
.LBB2_3824:                             ;   in Loop: Header=BB2_3799 Depth=3
	s_or_b32 exec_lo, exec_lo, s23
	s_and_saveexec_b32 s23, s16
	s_cbranch_execz .LBB2_3826
.LBB2_3825:                             ;   in Loop: Header=BB2_3799 Depth=3
	v_and_b32_e32 v89, 7, v60
	v_lshrrev_b16 v92, 3, v60
	v_ffbh_u32_e32 v91, v89
	v_and_b32_e32 v92, 15, v92
	v_min_u32_e32 v91, 32, v91
	v_cmp_eq_u32_e32 vcc_lo, 0, v92
	v_subrev_nc_u32_e32 v93, 28, v91
	v_sub_nc_u32_e32 v91, 29, v91
	v_lshlrev_b32_e32 v93, v93, v60
	v_lshlrev_b32_e32 v60, 24, v60
	v_cndmask_b32_e32 v91, v92, v91, vcc_lo
	v_and_b32_e32 v93, 7, v93
	v_and_b32_e32 v60, 0x80000000, v60
	v_lshl_add_u32 v91, v91, 23, 0x3b800000
	v_cndmask_b32_e32 v89, v89, v93, vcc_lo
	v_lshlrev_b32_e32 v89, 20, v89
	v_or3_b32 v89, v60, v91, v89
.LBB2_3826:                             ;   in Loop: Header=BB2_3799 Depth=3
	s_or_b32 exec_lo, exec_lo, s23
	v_max_f32_e32 v60, v89, v89
	v_max_f32_e32 v89, v90, v90
	v_min_f32_e32 v90, v89, v60
.LBB2_3827:                             ;   in Loop: Header=BB2_3799 Depth=3
	s_waitcnt vmcnt(7) lgkmcnt(7)
	v_and_b32_e32 v60, 0x7f800000, v90
	v_cmp_ne_u32_e32 vcc_lo, 0x7f800000, v60
	v_mov_b32_e32 v60, 0x80
	s_and_saveexec_b32 s23, vcc_lo
	s_cbranch_execz .LBB2_3835
; %bb.3828:                             ;   in Loop: Header=BB2_3799 Depth=3
	v_mov_b32_e32 v60, 0
	s_mov_b32 s73, exec_lo
	v_cmpx_ne_u32_e32 0, v90
	s_cbranch_execz .LBB2_3834
; %bb.3829:                             ;   in Loop: Header=BB2_3799 Depth=3
	v_bfe_u32 v60, v90, 23, 8
	v_and_b32_e32 v89, 0x7fffff, v90
	v_sub_nc_u32_e32 v91, 0x78, v60
	v_cmp_gt_u32_e32 vcc_lo, 0x79, v60
	v_or_b32_e32 v92, 0x800000, v89
	v_cndmask_b32_e32 v91, 0, v91, vcc_lo
	v_cmp_eq_u32_e32 vcc_lo, 0, v60
	v_add_nc_u32_e32 v60, 0xffffff89, v60
	v_cndmask_b32_e64 v91, v91, 0x77, vcc_lo
	v_cndmask_b32_e32 v89, v92, v89, vcc_lo
	v_cndmask_b32_e64 v60, v60, 0xffffff8a, vcc_lo
	v_lshl_add_u32 v92, 0x100000, v91, -1
	v_lshrrev_b32_e32 v93, v91, v89
	v_lshlrev_b32_e64 v95, v91, 0x80000
	v_add_nc_u32_e32 v91, v91, v60
	v_and_b32_e32 v89, v92, v89
	v_bfe_u32 v94, v93, 20, 1
	v_cmp_eq_u32_e64 s16, v89, v95
	v_add_nc_u32_e32 v92, -1, v94
	v_cndmask_b32_e64 v89, 0, v92, s16
	v_lshrrev_b32_e32 v92, 23, v93
	s_mov_b32 s16, exec_lo
	v_add_nc_u32_e32 v89, v89, v93
	v_xor_b32_e32 v92, 1, v92
	v_and_b32_e32 v60, 0xfffff, v89
	v_add_nc_u32_e32 v89, v60, v93
                                        ; implicit-def: $vgpr60
	v_cmpx_ne_u32_e64 v91, v92
	s_xor_b32 s16, exec_lo, s16
; %bb.3830:                             ;   in Loop: Header=BB2_3799 Depth=3
	v_cmp_lt_u32_e32 vcc_lo, 0xffffff, v89
	v_sub_nc_u32_e32 v60, v91, v92
	v_cndmask_b32_e64 v91, 0, 1, vcc_lo
	v_add_co_ci_u32_e64 v60, null, 0, v60, vcc_lo
	v_lshrrev_b32_e32 v89, v91, v89
; %bb.3831:                             ;   in Loop: Header=BB2_3799 Depth=3
	s_andn2_saveexec_b32 s16, s16
; %bb.3832:                             ;   in Loop: Header=BB2_3799 Depth=3
	v_bfe_u32 v60, v89, 23, 1
; %bb.3833:                             ;   in Loop: Header=BB2_3799 Depth=3
	s_or_b32 exec_lo, exec_lo, s16
	v_lshrrev_b32_e32 v89, 20, v89
	v_cmp_gt_i32_e32 vcc_lo, 16, v60
	v_min_i32_e32 v91, 15, v60
	v_and_b32_sdwa v90, v90, v103 dst_sel:DWORD dst_unused:UNUSED_PAD src0_sel:BYTE_3 src1_sel:DWORD
	v_cndmask_b32_e32 v89, 7, v89, vcc_lo
	v_lshlrev_b32_e32 v91, 3, v91
	v_and_b32_e32 v92, 7, v89
	v_or_b32_e32 v60, v60, v89
	v_or3_b32 v89, v91, v90, v92
	v_cmp_ne_u32_e32 vcc_lo, 0, v60
	v_cndmask_b32_e32 v60, 0, v89, vcc_lo
.LBB2_3834:                             ;   in Loop: Header=BB2_3799 Depth=3
	s_or_b32 exec_lo, exec_lo, s73
.LBB2_3835:                             ;   in Loop: Header=BB2_3799 Depth=3
	s_or_b32 exec_lo, exec_lo, s23
	v_cmp_gt_i16_sdwa s23, v88, v102 src0_sel:BYTE_0 src1_sel:DWORD
	s_andn2_b32 vcc_lo, exec_lo, s19
	s_mov_b32 s16, -1
                                        ; implicit-def: $vgpr89
	s_cbranch_vccnz .LBB2_3849
; %bb.3836:                             ;   in Loop: Header=BB2_3799 Depth=3
	s_mov_b32 s16, 0
	s_and_saveexec_b32 s73, s23
	s_xor_b32 s23, exec_lo, s73
	s_cbranch_execz .LBB2_4093
; %bb.3837:                             ;   in Loop: Header=BB2_3799 Depth=3
	v_cmp_eq_u16_sdwa s74, v88, v103 src0_sel:BYTE_0 src1_sel:DWORD
	s_mov_b32 s16, -1
	s_and_saveexec_b32 s73, s74
; %bb.3838:                             ;   in Loop: Header=BB2_3799 Depth=3
	s_xor_b32 s16, exec_lo, -1
; %bb.3839:                             ;   in Loop: Header=BB2_3799 Depth=3
	s_or_b32 exec_lo, exec_lo, s73
	s_and_b32 s16, s16, exec_lo
	s_or_saveexec_b32 s23, s23
	v_mov_b32_e32 v89, 0x7f800001
	s_xor_b32 exec_lo, exec_lo, s23
	s_cbranch_execnz .LBB2_4094
.LBB2_3840:                             ;   in Loop: Header=BB2_3799 Depth=3
	s_or_b32 exec_lo, exec_lo, s23
	s_and_saveexec_b32 s23, s16
	s_cbranch_execz .LBB2_3842
.LBB2_3841:                             ;   in Loop: Header=BB2_3799 Depth=3
	v_and_b32_e32 v89, 7, v88
	v_lshrrev_b16 v91, 3, v88
	v_lshlrev_b32_e32 v93, 24, v88
	v_ffbh_u32_e32 v90, v89
	v_and_b32_e32 v91, 15, v91
	v_min_u32_e32 v90, 32, v90
	v_cmp_eq_u32_e32 vcc_lo, 0, v91
	v_subrev_nc_u32_e32 v92, 28, v90
	v_sub_nc_u32_e32 v90, 29, v90
	v_lshlrev_b32_e32 v92, v92, v88
	v_cndmask_b32_e32 v90, v91, v90, vcc_lo
	v_and_b32_e32 v91, 0x80000000, v93
	v_and_b32_e32 v92, 7, v92
	v_lshl_add_u32 v90, v90, 23, 0x3b800000
	v_cndmask_b32_e32 v89, v89, v92, vcc_lo
	v_lshlrev_b32_e32 v89, 20, v89
	v_or3_b32 v89, v91, v90, v89
.LBB2_3842:                             ;   in Loop: Header=BB2_3799 Depth=3
	s_or_b32 exec_lo, exec_lo, s23
	s_waitcnt vmcnt(6) lgkmcnt(6)
	v_cmp_gt_i16_sdwa s23, v63, v102 src0_sel:BYTE_0 src1_sel:DWORD
	s_mov_b32 s16, 0
	s_and_saveexec_b32 s73, s23
	s_xor_b32 s23, exec_lo, s73
	s_cbranch_execz .LBB2_4095
; %bb.3843:                             ;   in Loop: Header=BB2_3799 Depth=3
	v_cmp_eq_u16_sdwa s74, v63, v103 src0_sel:BYTE_0 src1_sel:DWORD
	s_mov_b32 s16, -1
	s_and_saveexec_b32 s73, s74
; %bb.3844:                             ;   in Loop: Header=BB2_3799 Depth=3
	s_xor_b32 s16, exec_lo, -1
; %bb.3845:                             ;   in Loop: Header=BB2_3799 Depth=3
	s_or_b32 exec_lo, exec_lo, s73
	s_and_b32 s16, s16, exec_lo
	s_or_saveexec_b32 s23, s23
	v_mov_b32_e32 v90, 0x7f800001
	s_xor_b32 exec_lo, exec_lo, s23
	s_cbranch_execnz .LBB2_4096
.LBB2_3846:                             ;   in Loop: Header=BB2_3799 Depth=3
	s_or_b32 exec_lo, exec_lo, s23
	s_and_saveexec_b32 s23, s16
	s_cbranch_execz .LBB2_3848
.LBB2_3847:                             ;   in Loop: Header=BB2_3799 Depth=3
	v_and_b32_e32 v90, 7, v63
	v_lshrrev_b16 v92, 3, v63
	v_lshlrev_b32_e32 v94, 24, v63
	v_ffbh_u32_e32 v91, v90
	v_and_b32_e32 v92, 15, v92
	v_min_u32_e32 v91, 32, v91
	v_cmp_eq_u32_e32 vcc_lo, 0, v92
	v_subrev_nc_u32_e32 v93, 28, v91
	v_sub_nc_u32_e32 v91, 29, v91
	v_lshlrev_b32_e32 v93, v93, v63
	v_cndmask_b32_e32 v91, v92, v91, vcc_lo
	v_and_b32_e32 v92, 0x80000000, v94
	v_and_b32_e32 v93, 7, v93
	v_lshl_add_u32 v91, v91, 23, 0x3b800000
	v_cndmask_b32_e32 v90, v90, v93, vcc_lo
	v_lshlrev_b32_e32 v90, 20, v90
	v_or3_b32 v90, v92, v91, v90
.LBB2_3848:                             ;   in Loop: Header=BB2_3799 Depth=3
	s_or_b32 exec_lo, exec_lo, s23
	v_max_f32_e32 v90, v90, v90
	v_max_f32_e32 v89, v89, v89
	s_mov_b32 s16, 0
	v_max_f32_e32 v89, v89, v90
.LBB2_3849:                             ;   in Loop: Header=BB2_3799 Depth=3
	s_and_b32 vcc_lo, exec_lo, s16
	s_cbranch_vccz .LBB2_3863
; %bb.3850:                             ;   in Loop: Header=BB2_3799 Depth=3
	v_cmp_gt_i16_sdwa s23, v88, v102 src0_sel:BYTE_0 src1_sel:DWORD
	s_mov_b32 s16, 0
	s_and_saveexec_b32 s73, s23
	s_xor_b32 s23, exec_lo, s73
	s_cbranch_execz .LBB2_4097
; %bb.3851:                             ;   in Loop: Header=BB2_3799 Depth=3
	v_cmp_eq_u16_sdwa s74, v88, v103 src0_sel:BYTE_0 src1_sel:DWORD
	s_mov_b32 s16, -1
	s_and_saveexec_b32 s73, s74
; %bb.3852:                             ;   in Loop: Header=BB2_3799 Depth=3
	s_xor_b32 s16, exec_lo, -1
; %bb.3853:                             ;   in Loop: Header=BB2_3799 Depth=3
	s_or_b32 exec_lo, exec_lo, s73
	s_and_b32 s16, s16, exec_lo
	s_or_saveexec_b32 s23, s23
	v_mov_b32_e32 v89, 0x7f800001
	s_xor_b32 exec_lo, exec_lo, s23
	s_cbranch_execnz .LBB2_4098
.LBB2_3854:                             ;   in Loop: Header=BB2_3799 Depth=3
	s_or_b32 exec_lo, exec_lo, s23
	s_and_saveexec_b32 s23, s16
	s_cbranch_execz .LBB2_3856
.LBB2_3855:                             ;   in Loop: Header=BB2_3799 Depth=3
	v_and_b32_e32 v89, 7, v88
	v_lshrrev_b16 v91, 3, v88
	v_ffbh_u32_e32 v90, v89
	v_and_b32_e32 v91, 15, v91
	v_min_u32_e32 v90, 32, v90
	v_cmp_eq_u32_e32 vcc_lo, 0, v91
	v_subrev_nc_u32_e32 v92, 28, v90
	v_sub_nc_u32_e32 v90, 29, v90
	v_lshlrev_b32_e32 v92, v92, v88
	v_lshlrev_b32_e32 v88, 24, v88
	v_cndmask_b32_e32 v90, v91, v90, vcc_lo
	v_and_b32_e32 v92, 7, v92
	v_and_b32_e32 v88, 0x80000000, v88
	v_lshl_add_u32 v90, v90, 23, 0x3b800000
	v_cndmask_b32_e32 v89, v89, v92, vcc_lo
	v_lshlrev_b32_e32 v89, 20, v89
	v_or3_b32 v89, v88, v90, v89
.LBB2_3856:                             ;   in Loop: Header=BB2_3799 Depth=3
	s_or_b32 exec_lo, exec_lo, s23
	s_waitcnt vmcnt(6) lgkmcnt(6)
	v_cmp_gt_i16_sdwa s23, v63, v102 src0_sel:BYTE_0 src1_sel:DWORD
	s_mov_b32 s16, 0
	s_and_saveexec_b32 s73, s23
	s_xor_b32 s23, exec_lo, s73
	s_cbranch_execz .LBB2_4099
; %bb.3857:                             ;   in Loop: Header=BB2_3799 Depth=3
	v_cmp_eq_u16_sdwa s74, v63, v103 src0_sel:BYTE_0 src1_sel:DWORD
	s_mov_b32 s16, -1
	s_and_saveexec_b32 s73, s74
; %bb.3858:                             ;   in Loop: Header=BB2_3799 Depth=3
	s_xor_b32 s16, exec_lo, -1
; %bb.3859:                             ;   in Loop: Header=BB2_3799 Depth=3
	s_or_b32 exec_lo, exec_lo, s73
	s_and_b32 s16, s16, exec_lo
	s_or_saveexec_b32 s23, s23
	v_mov_b32_e32 v88, 0x7f800001
	s_xor_b32 exec_lo, exec_lo, s23
	s_cbranch_execnz .LBB2_4100
.LBB2_3860:                             ;   in Loop: Header=BB2_3799 Depth=3
	s_or_b32 exec_lo, exec_lo, s23
	s_and_saveexec_b32 s23, s16
	s_cbranch_execz .LBB2_3862
.LBB2_3861:                             ;   in Loop: Header=BB2_3799 Depth=3
	v_and_b32_e32 v88, 7, v63
	v_lshrrev_b16 v91, 3, v63
	v_ffbh_u32_e32 v90, v88
	v_and_b32_e32 v91, 15, v91
	v_min_u32_e32 v90, 32, v90
	v_cmp_eq_u32_e32 vcc_lo, 0, v91
	v_subrev_nc_u32_e32 v92, 28, v90
	v_sub_nc_u32_e32 v90, 29, v90
	v_lshlrev_b32_e32 v92, v92, v63
	v_lshlrev_b32_e32 v63, 24, v63
	v_cndmask_b32_e32 v90, v91, v90, vcc_lo
	v_and_b32_e32 v92, 7, v92
	v_and_b32_e32 v63, 0x80000000, v63
	v_lshl_add_u32 v90, v90, 23, 0x3b800000
	v_cndmask_b32_e32 v88, v88, v92, vcc_lo
	v_lshlrev_b32_e32 v88, 20, v88
	v_or3_b32 v88, v63, v90, v88
.LBB2_3862:                             ;   in Loop: Header=BB2_3799 Depth=3
	s_or_b32 exec_lo, exec_lo, s23
	v_max_f32_e32 v63, v88, v88
	v_max_f32_e32 v88, v89, v89
	v_min_f32_e32 v89, v88, v63
.LBB2_3863:                             ;   in Loop: Header=BB2_3799 Depth=3
	s_waitcnt vmcnt(6) lgkmcnt(6)
	v_and_b32_e32 v63, 0x7f800000, v89
	v_cmp_ne_u32_e32 vcc_lo, 0x7f800000, v63
	v_mov_b32_e32 v63, 0x80
	s_and_saveexec_b32 s23, vcc_lo
	s_cbranch_execz .LBB2_3871
; %bb.3864:                             ;   in Loop: Header=BB2_3799 Depth=3
	v_mov_b32_e32 v63, 0
	s_mov_b32 s73, exec_lo
	v_cmpx_ne_u32_e32 0, v89
	s_cbranch_execz .LBB2_3870
; %bb.3865:                             ;   in Loop: Header=BB2_3799 Depth=3
	v_bfe_u32 v63, v89, 23, 8
	v_and_b32_e32 v88, 0x7fffff, v89
	v_sub_nc_u32_e32 v90, 0x78, v63
	v_cmp_gt_u32_e32 vcc_lo, 0x79, v63
	v_or_b32_e32 v91, 0x800000, v88
	v_cndmask_b32_e32 v90, 0, v90, vcc_lo
	v_cmp_eq_u32_e32 vcc_lo, 0, v63
	v_add_nc_u32_e32 v63, 0xffffff89, v63
	v_cndmask_b32_e64 v90, v90, 0x77, vcc_lo
	v_cndmask_b32_e32 v88, v91, v88, vcc_lo
	v_cndmask_b32_e64 v63, v63, 0xffffff8a, vcc_lo
	v_lshl_add_u32 v91, 0x100000, v90, -1
	v_lshrrev_b32_e32 v92, v90, v88
	v_lshlrev_b32_e64 v94, v90, 0x80000
	v_add_nc_u32_e32 v90, v90, v63
	v_and_b32_e32 v88, v91, v88
	v_bfe_u32 v93, v92, 20, 1
	v_cmp_eq_u32_e64 s16, v88, v94
	v_add_nc_u32_e32 v91, -1, v93
	v_cndmask_b32_e64 v88, 0, v91, s16
	v_lshrrev_b32_e32 v91, 23, v92
	s_mov_b32 s16, exec_lo
	v_add_nc_u32_e32 v88, v88, v92
	v_xor_b32_e32 v91, 1, v91
	v_and_b32_e32 v63, 0xfffff, v88
	v_add_nc_u32_e32 v88, v63, v92
                                        ; implicit-def: $vgpr63
	v_cmpx_ne_u32_e64 v90, v91
	s_xor_b32 s16, exec_lo, s16
; %bb.3866:                             ;   in Loop: Header=BB2_3799 Depth=3
	v_cmp_lt_u32_e32 vcc_lo, 0xffffff, v88
	v_sub_nc_u32_e32 v63, v90, v91
	v_cndmask_b32_e64 v90, 0, 1, vcc_lo
	v_add_co_ci_u32_e64 v63, null, 0, v63, vcc_lo
	v_lshrrev_b32_e32 v88, v90, v88
; %bb.3867:                             ;   in Loop: Header=BB2_3799 Depth=3
	s_andn2_saveexec_b32 s16, s16
; %bb.3868:                             ;   in Loop: Header=BB2_3799 Depth=3
	v_bfe_u32 v63, v88, 23, 1
; %bb.3869:                             ;   in Loop: Header=BB2_3799 Depth=3
	s_or_b32 exec_lo, exec_lo, s16
	v_lshrrev_b32_e32 v88, 20, v88
	v_cmp_gt_i32_e32 vcc_lo, 16, v63
	v_min_i32_e32 v90, 15, v63
	v_and_b32_sdwa v89, v89, v103 dst_sel:DWORD dst_unused:UNUSED_PAD src0_sel:BYTE_3 src1_sel:DWORD
	v_cndmask_b32_e32 v88, 7, v88, vcc_lo
	v_lshlrev_b32_e32 v90, 3, v90
	v_and_b32_e32 v91, 7, v88
	v_or_b32_e32 v63, v63, v88
	v_or3_b32 v88, v90, v89, v91
	v_cmp_ne_u32_e32 vcc_lo, 0, v63
	v_cndmask_b32_e32 v63, 0, v88, vcc_lo
.LBB2_3870:                             ;   in Loop: Header=BB2_3799 Depth=3
	s_or_b32 exec_lo, exec_lo, s73
.LBB2_3871:                             ;   in Loop: Header=BB2_3799 Depth=3
	s_or_b32 exec_lo, exec_lo, s23
	v_cmp_gt_i16_sdwa s23, v79, v102 src0_sel:BYTE_0 src1_sel:DWORD
	s_andn2_b32 vcc_lo, exec_lo, s19
	s_mov_b32 s16, -1
                                        ; implicit-def: $vgpr88
	s_cbranch_vccnz .LBB2_3885
; %bb.3872:                             ;   in Loop: Header=BB2_3799 Depth=3
	s_mov_b32 s16, 0
	s_and_saveexec_b32 s73, s23
	s_xor_b32 s23, exec_lo, s73
	s_cbranch_execz .LBB2_4101
; %bb.3873:                             ;   in Loop: Header=BB2_3799 Depth=3
	v_cmp_eq_u16_sdwa s74, v79, v103 src0_sel:BYTE_0 src1_sel:DWORD
	s_mov_b32 s16, -1
	s_and_saveexec_b32 s73, s74
; %bb.3874:                             ;   in Loop: Header=BB2_3799 Depth=3
	s_xor_b32 s16, exec_lo, -1
; %bb.3875:                             ;   in Loop: Header=BB2_3799 Depth=3
	s_or_b32 exec_lo, exec_lo, s73
	s_and_b32 s16, s16, exec_lo
	s_or_saveexec_b32 s23, s23
	v_mov_b32_e32 v88, 0x7f800001
	s_xor_b32 exec_lo, exec_lo, s23
	s_cbranch_execnz .LBB2_4102
.LBB2_3876:                             ;   in Loop: Header=BB2_3799 Depth=3
	s_or_b32 exec_lo, exec_lo, s23
	s_and_saveexec_b32 s23, s16
	s_cbranch_execz .LBB2_3878
.LBB2_3877:                             ;   in Loop: Header=BB2_3799 Depth=3
	v_and_b32_e32 v88, 7, v79
	v_lshrrev_b16 v90, 3, v79
	v_lshlrev_b32_e32 v92, 24, v79
	v_ffbh_u32_e32 v89, v88
	v_and_b32_e32 v90, 15, v90
	v_min_u32_e32 v89, 32, v89
	v_cmp_eq_u32_e32 vcc_lo, 0, v90
	v_subrev_nc_u32_e32 v91, 28, v89
	v_sub_nc_u32_e32 v89, 29, v89
	v_lshlrev_b32_e32 v91, v91, v79
	v_cndmask_b32_e32 v89, v90, v89, vcc_lo
	v_and_b32_e32 v90, 0x80000000, v92
	v_and_b32_e32 v91, 7, v91
	v_lshl_add_u32 v89, v89, 23, 0x3b800000
	v_cndmask_b32_e32 v88, v88, v91, vcc_lo
	v_lshlrev_b32_e32 v88, 20, v88
	v_or3_b32 v88, v90, v89, v88
.LBB2_3878:                             ;   in Loop: Header=BB2_3799 Depth=3
	s_or_b32 exec_lo, exec_lo, s23
	s_waitcnt vmcnt(5) lgkmcnt(5)
	v_cmp_gt_i16_sdwa s23, v74, v102 src0_sel:BYTE_0 src1_sel:DWORD
	s_mov_b32 s16, 0
	s_and_saveexec_b32 s73, s23
	s_xor_b32 s23, exec_lo, s73
	s_cbranch_execz .LBB2_4103
; %bb.3879:                             ;   in Loop: Header=BB2_3799 Depth=3
	v_cmp_eq_u16_sdwa s74, v74, v103 src0_sel:BYTE_0 src1_sel:DWORD
	s_mov_b32 s16, -1
	s_and_saveexec_b32 s73, s74
; %bb.3880:                             ;   in Loop: Header=BB2_3799 Depth=3
	s_xor_b32 s16, exec_lo, -1
; %bb.3881:                             ;   in Loop: Header=BB2_3799 Depth=3
	s_or_b32 exec_lo, exec_lo, s73
	s_and_b32 s16, s16, exec_lo
	s_or_saveexec_b32 s23, s23
	v_mov_b32_e32 v89, 0x7f800001
	s_xor_b32 exec_lo, exec_lo, s23
	s_cbranch_execnz .LBB2_4104
.LBB2_3882:                             ;   in Loop: Header=BB2_3799 Depth=3
	s_or_b32 exec_lo, exec_lo, s23
	s_and_saveexec_b32 s23, s16
	s_cbranch_execz .LBB2_3884
.LBB2_3883:                             ;   in Loop: Header=BB2_3799 Depth=3
	v_and_b32_e32 v89, 7, v74
	v_lshrrev_b16 v91, 3, v74
	v_lshlrev_b32_e32 v93, 24, v74
	v_ffbh_u32_e32 v90, v89
	v_and_b32_e32 v91, 15, v91
	v_min_u32_e32 v90, 32, v90
	v_cmp_eq_u32_e32 vcc_lo, 0, v91
	v_subrev_nc_u32_e32 v92, 28, v90
	v_sub_nc_u32_e32 v90, 29, v90
	v_lshlrev_b32_e32 v92, v92, v74
	v_cndmask_b32_e32 v90, v91, v90, vcc_lo
	v_and_b32_e32 v91, 0x80000000, v93
	v_and_b32_e32 v92, 7, v92
	v_lshl_add_u32 v90, v90, 23, 0x3b800000
	v_cndmask_b32_e32 v89, v89, v92, vcc_lo
	v_lshlrev_b32_e32 v89, 20, v89
	v_or3_b32 v89, v91, v90, v89
.LBB2_3884:                             ;   in Loop: Header=BB2_3799 Depth=3
	s_or_b32 exec_lo, exec_lo, s23
	v_max_f32_e32 v89, v89, v89
	v_max_f32_e32 v88, v88, v88
	s_mov_b32 s16, 0
	v_max_f32_e32 v88, v88, v89
.LBB2_3885:                             ;   in Loop: Header=BB2_3799 Depth=3
	s_and_b32 vcc_lo, exec_lo, s16
	s_cbranch_vccz .LBB2_3899
; %bb.3886:                             ;   in Loop: Header=BB2_3799 Depth=3
	v_cmp_gt_i16_sdwa s23, v79, v102 src0_sel:BYTE_0 src1_sel:DWORD
	s_mov_b32 s16, 0
	s_and_saveexec_b32 s73, s23
	s_xor_b32 s23, exec_lo, s73
	s_cbranch_execz .LBB2_4105
; %bb.3887:                             ;   in Loop: Header=BB2_3799 Depth=3
	v_cmp_eq_u16_sdwa s74, v79, v103 src0_sel:BYTE_0 src1_sel:DWORD
	s_mov_b32 s16, -1
	s_and_saveexec_b32 s73, s74
; %bb.3888:                             ;   in Loop: Header=BB2_3799 Depth=3
	s_xor_b32 s16, exec_lo, -1
; %bb.3889:                             ;   in Loop: Header=BB2_3799 Depth=3
	s_or_b32 exec_lo, exec_lo, s73
	s_and_b32 s16, s16, exec_lo
	s_or_saveexec_b32 s23, s23
	v_mov_b32_e32 v88, 0x7f800001
	s_xor_b32 exec_lo, exec_lo, s23
	s_cbranch_execnz .LBB2_4106
.LBB2_3890:                             ;   in Loop: Header=BB2_3799 Depth=3
	s_or_b32 exec_lo, exec_lo, s23
	s_and_saveexec_b32 s23, s16
	s_cbranch_execz .LBB2_3892
.LBB2_3891:                             ;   in Loop: Header=BB2_3799 Depth=3
	v_and_b32_e32 v88, 7, v79
	v_lshrrev_b16 v90, 3, v79
	v_ffbh_u32_e32 v89, v88
	v_and_b32_e32 v90, 15, v90
	v_min_u32_e32 v89, 32, v89
	v_cmp_eq_u32_e32 vcc_lo, 0, v90
	v_subrev_nc_u32_e32 v91, 28, v89
	v_sub_nc_u32_e32 v89, 29, v89
	v_lshlrev_b32_e32 v91, v91, v79
	v_lshlrev_b32_e32 v79, 24, v79
	v_cndmask_b32_e32 v89, v90, v89, vcc_lo
	v_and_b32_e32 v91, 7, v91
	v_and_b32_e32 v79, 0x80000000, v79
	v_lshl_add_u32 v89, v89, 23, 0x3b800000
	v_cndmask_b32_e32 v88, v88, v91, vcc_lo
	v_lshlrev_b32_e32 v88, 20, v88
	v_or3_b32 v88, v79, v89, v88
.LBB2_3892:                             ;   in Loop: Header=BB2_3799 Depth=3
	s_or_b32 exec_lo, exec_lo, s23
	s_waitcnt vmcnt(5) lgkmcnt(5)
	v_cmp_gt_i16_sdwa s23, v74, v102 src0_sel:BYTE_0 src1_sel:DWORD
	s_mov_b32 s16, 0
	s_and_saveexec_b32 s73, s23
	s_xor_b32 s23, exec_lo, s73
	s_cbranch_execz .LBB2_4107
; %bb.3893:                             ;   in Loop: Header=BB2_3799 Depth=3
	v_cmp_eq_u16_sdwa s74, v74, v103 src0_sel:BYTE_0 src1_sel:DWORD
	s_mov_b32 s16, -1
	s_and_saveexec_b32 s73, s74
; %bb.3894:                             ;   in Loop: Header=BB2_3799 Depth=3
	s_xor_b32 s16, exec_lo, -1
; %bb.3895:                             ;   in Loop: Header=BB2_3799 Depth=3
	s_or_b32 exec_lo, exec_lo, s73
	s_and_b32 s16, s16, exec_lo
	s_or_saveexec_b32 s23, s23
	v_mov_b32_e32 v79, 0x7f800001
	s_xor_b32 exec_lo, exec_lo, s23
	s_cbranch_execnz .LBB2_4108
.LBB2_3896:                             ;   in Loop: Header=BB2_3799 Depth=3
	s_or_b32 exec_lo, exec_lo, s23
	s_and_saveexec_b32 s23, s16
	s_cbranch_execz .LBB2_3898
.LBB2_3897:                             ;   in Loop: Header=BB2_3799 Depth=3
	v_and_b32_e32 v79, 7, v74
	v_lshrrev_b16 v90, 3, v74
	v_ffbh_u32_e32 v89, v79
	v_and_b32_e32 v90, 15, v90
	v_min_u32_e32 v89, 32, v89
	v_cmp_eq_u32_e32 vcc_lo, 0, v90
	v_subrev_nc_u32_e32 v91, 28, v89
	v_sub_nc_u32_e32 v89, 29, v89
	v_lshlrev_b32_e32 v91, v91, v74
	v_lshlrev_b32_e32 v74, 24, v74
	v_cndmask_b32_e32 v89, v90, v89, vcc_lo
	v_and_b32_e32 v91, 7, v91
	v_and_b32_e32 v74, 0x80000000, v74
	v_lshl_add_u32 v89, v89, 23, 0x3b800000
	v_cndmask_b32_e32 v79, v79, v91, vcc_lo
	v_lshlrev_b32_e32 v79, 20, v79
	v_or3_b32 v79, v74, v89, v79
.LBB2_3898:                             ;   in Loop: Header=BB2_3799 Depth=3
	s_or_b32 exec_lo, exec_lo, s23
	v_max_f32_e32 v74, v79, v79
	v_max_f32_e32 v79, v88, v88
	v_min_f32_e32 v88, v79, v74
.LBB2_3899:                             ;   in Loop: Header=BB2_3799 Depth=3
	s_waitcnt vmcnt(5) lgkmcnt(5)
	v_and_b32_e32 v74, 0x7f800000, v88
	v_cmp_ne_u32_e32 vcc_lo, 0x7f800000, v74
	v_mov_b32_e32 v74, 0x80
	s_and_saveexec_b32 s23, vcc_lo
	s_cbranch_execz .LBB2_3907
; %bb.3900:                             ;   in Loop: Header=BB2_3799 Depth=3
	v_mov_b32_e32 v74, 0
	s_mov_b32 s73, exec_lo
	v_cmpx_ne_u32_e32 0, v88
	s_cbranch_execz .LBB2_3906
; %bb.3901:                             ;   in Loop: Header=BB2_3799 Depth=3
	v_bfe_u32 v74, v88, 23, 8
	v_and_b32_e32 v79, 0x7fffff, v88
	v_sub_nc_u32_e32 v89, 0x78, v74
	v_cmp_gt_u32_e32 vcc_lo, 0x79, v74
	v_or_b32_e32 v90, 0x800000, v79
	v_cndmask_b32_e32 v89, 0, v89, vcc_lo
	v_cmp_eq_u32_e32 vcc_lo, 0, v74
	v_add_nc_u32_e32 v74, 0xffffff89, v74
	v_cndmask_b32_e64 v89, v89, 0x77, vcc_lo
	v_cndmask_b32_e32 v79, v90, v79, vcc_lo
	v_cndmask_b32_e64 v74, v74, 0xffffff8a, vcc_lo
	v_lshl_add_u32 v90, 0x100000, v89, -1
	v_lshrrev_b32_e32 v91, v89, v79
	v_lshlrev_b32_e64 v93, v89, 0x80000
	v_add_nc_u32_e32 v89, v89, v74
	v_and_b32_e32 v79, v90, v79
	v_bfe_u32 v92, v91, 20, 1
	v_cmp_eq_u32_e64 s16, v79, v93
	v_add_nc_u32_e32 v90, -1, v92
	v_cndmask_b32_e64 v79, 0, v90, s16
	v_lshrrev_b32_e32 v90, 23, v91
	s_mov_b32 s16, exec_lo
	v_add_nc_u32_e32 v79, v79, v91
	v_xor_b32_e32 v90, 1, v90
	v_and_b32_e32 v74, 0xfffff, v79
	v_add_nc_u32_e32 v79, v74, v91
                                        ; implicit-def: $vgpr74
	v_cmpx_ne_u32_e64 v89, v90
	s_xor_b32 s16, exec_lo, s16
; %bb.3902:                             ;   in Loop: Header=BB2_3799 Depth=3
	v_cmp_lt_u32_e32 vcc_lo, 0xffffff, v79
	v_sub_nc_u32_e32 v74, v89, v90
	v_cndmask_b32_e64 v89, 0, 1, vcc_lo
	v_add_co_ci_u32_e64 v74, null, 0, v74, vcc_lo
	v_lshrrev_b32_e32 v79, v89, v79
; %bb.3903:                             ;   in Loop: Header=BB2_3799 Depth=3
	s_andn2_saveexec_b32 s16, s16
; %bb.3904:                             ;   in Loop: Header=BB2_3799 Depth=3
	v_bfe_u32 v74, v79, 23, 1
; %bb.3905:                             ;   in Loop: Header=BB2_3799 Depth=3
	s_or_b32 exec_lo, exec_lo, s16
	v_lshrrev_b32_e32 v79, 20, v79
	v_cmp_gt_i32_e32 vcc_lo, 16, v74
	v_min_i32_e32 v89, 15, v74
	v_and_b32_sdwa v88, v88, v103 dst_sel:DWORD dst_unused:UNUSED_PAD src0_sel:BYTE_3 src1_sel:DWORD
	v_cndmask_b32_e32 v79, 7, v79, vcc_lo
	v_lshlrev_b32_e32 v89, 3, v89
	v_and_b32_e32 v90, 7, v79
	v_or_b32_e32 v74, v74, v79
	v_or3_b32 v79, v89, v88, v90
	v_cmp_ne_u32_e32 vcc_lo, 0, v74
	v_cndmask_b32_e32 v74, 0, v79, vcc_lo
.LBB2_3906:                             ;   in Loop: Header=BB2_3799 Depth=3
	s_or_b32 exec_lo, exec_lo, s73
.LBB2_3907:                             ;   in Loop: Header=BB2_3799 Depth=3
	s_or_b32 exec_lo, exec_lo, s23
	v_cmp_gt_i16_sdwa s23, v78, v102 src0_sel:BYTE_0 src1_sel:DWORD
	s_andn2_b32 vcc_lo, exec_lo, s19
	s_mov_b32 s16, -1
                                        ; implicit-def: $vgpr79
	s_cbranch_vccnz .LBB2_3921
; %bb.3908:                             ;   in Loop: Header=BB2_3799 Depth=3
	s_mov_b32 s16, 0
	s_and_saveexec_b32 s73, s23
	s_xor_b32 s23, exec_lo, s73
	s_cbranch_execz .LBB2_4109
; %bb.3909:                             ;   in Loop: Header=BB2_3799 Depth=3
	v_cmp_eq_u16_sdwa s74, v78, v103 src0_sel:BYTE_0 src1_sel:DWORD
	s_mov_b32 s16, -1
	s_and_saveexec_b32 s73, s74
; %bb.3910:                             ;   in Loop: Header=BB2_3799 Depth=3
	s_xor_b32 s16, exec_lo, -1
; %bb.3911:                             ;   in Loop: Header=BB2_3799 Depth=3
	s_or_b32 exec_lo, exec_lo, s73
	s_and_b32 s16, s16, exec_lo
	s_or_saveexec_b32 s23, s23
	v_mov_b32_e32 v79, 0x7f800001
	s_xor_b32 exec_lo, exec_lo, s23
	s_cbranch_execnz .LBB2_4110
.LBB2_3912:                             ;   in Loop: Header=BB2_3799 Depth=3
	s_or_b32 exec_lo, exec_lo, s23
	s_and_saveexec_b32 s23, s16
	s_cbranch_execz .LBB2_3914
.LBB2_3913:                             ;   in Loop: Header=BB2_3799 Depth=3
	v_and_b32_e32 v79, 7, v78
	v_lshrrev_b16 v89, 3, v78
	v_lshlrev_b32_e32 v91, 24, v78
	v_ffbh_u32_e32 v88, v79
	v_and_b32_e32 v89, 15, v89
	v_min_u32_e32 v88, 32, v88
	v_cmp_eq_u32_e32 vcc_lo, 0, v89
	v_subrev_nc_u32_e32 v90, 28, v88
	v_sub_nc_u32_e32 v88, 29, v88
	v_lshlrev_b32_e32 v90, v90, v78
	v_cndmask_b32_e32 v88, v89, v88, vcc_lo
	v_and_b32_e32 v89, 0x80000000, v91
	v_and_b32_e32 v90, 7, v90
	v_lshl_add_u32 v88, v88, 23, 0x3b800000
	v_cndmask_b32_e32 v79, v79, v90, vcc_lo
	v_lshlrev_b32_e32 v79, 20, v79
	v_or3_b32 v79, v89, v88, v79
.LBB2_3914:                             ;   in Loop: Header=BB2_3799 Depth=3
	s_or_b32 exec_lo, exec_lo, s23
	s_waitcnt vmcnt(4) lgkmcnt(4)
	v_cmp_gt_i16_sdwa s23, v77, v102 src0_sel:BYTE_0 src1_sel:DWORD
	s_mov_b32 s16, 0
	s_and_saveexec_b32 s73, s23
	s_xor_b32 s23, exec_lo, s73
	s_cbranch_execz .LBB2_4111
; %bb.3915:                             ;   in Loop: Header=BB2_3799 Depth=3
	v_cmp_eq_u16_sdwa s74, v77, v103 src0_sel:BYTE_0 src1_sel:DWORD
	s_mov_b32 s16, -1
	s_and_saveexec_b32 s73, s74
; %bb.3916:                             ;   in Loop: Header=BB2_3799 Depth=3
	s_xor_b32 s16, exec_lo, -1
; %bb.3917:                             ;   in Loop: Header=BB2_3799 Depth=3
	s_or_b32 exec_lo, exec_lo, s73
	s_and_b32 s16, s16, exec_lo
	s_or_saveexec_b32 s23, s23
	v_mov_b32_e32 v88, 0x7f800001
	s_xor_b32 exec_lo, exec_lo, s23
	s_cbranch_execnz .LBB2_4112
.LBB2_3918:                             ;   in Loop: Header=BB2_3799 Depth=3
	s_or_b32 exec_lo, exec_lo, s23
	s_and_saveexec_b32 s23, s16
	s_cbranch_execz .LBB2_3920
.LBB2_3919:                             ;   in Loop: Header=BB2_3799 Depth=3
	v_and_b32_e32 v88, 7, v77
	v_lshrrev_b16 v90, 3, v77
	v_lshlrev_b32_e32 v92, 24, v77
	v_ffbh_u32_e32 v89, v88
	v_and_b32_e32 v90, 15, v90
	v_min_u32_e32 v89, 32, v89
	v_cmp_eq_u32_e32 vcc_lo, 0, v90
	v_subrev_nc_u32_e32 v91, 28, v89
	v_sub_nc_u32_e32 v89, 29, v89
	v_lshlrev_b32_e32 v91, v91, v77
	v_cndmask_b32_e32 v89, v90, v89, vcc_lo
	v_and_b32_e32 v90, 0x80000000, v92
	v_and_b32_e32 v91, 7, v91
	v_lshl_add_u32 v89, v89, 23, 0x3b800000
	v_cndmask_b32_e32 v88, v88, v91, vcc_lo
	v_lshlrev_b32_e32 v88, 20, v88
	v_or3_b32 v88, v90, v89, v88
.LBB2_3920:                             ;   in Loop: Header=BB2_3799 Depth=3
	s_or_b32 exec_lo, exec_lo, s23
	v_max_f32_e32 v88, v88, v88
	v_max_f32_e32 v79, v79, v79
	s_mov_b32 s16, 0
	v_max_f32_e32 v79, v79, v88
.LBB2_3921:                             ;   in Loop: Header=BB2_3799 Depth=3
	s_and_b32 vcc_lo, exec_lo, s16
	s_cbranch_vccz .LBB2_3935
; %bb.3922:                             ;   in Loop: Header=BB2_3799 Depth=3
	v_cmp_gt_i16_sdwa s23, v78, v102 src0_sel:BYTE_0 src1_sel:DWORD
	s_mov_b32 s16, 0
	s_and_saveexec_b32 s73, s23
	s_xor_b32 s23, exec_lo, s73
	s_cbranch_execz .LBB2_4113
; %bb.3923:                             ;   in Loop: Header=BB2_3799 Depth=3
	v_cmp_eq_u16_sdwa s74, v78, v103 src0_sel:BYTE_0 src1_sel:DWORD
	s_mov_b32 s16, -1
	s_and_saveexec_b32 s73, s74
; %bb.3924:                             ;   in Loop: Header=BB2_3799 Depth=3
	s_xor_b32 s16, exec_lo, -1
; %bb.3925:                             ;   in Loop: Header=BB2_3799 Depth=3
	s_or_b32 exec_lo, exec_lo, s73
	s_and_b32 s16, s16, exec_lo
	s_or_saveexec_b32 s23, s23
	v_mov_b32_e32 v79, 0x7f800001
	s_xor_b32 exec_lo, exec_lo, s23
	s_cbranch_execnz .LBB2_4114
.LBB2_3926:                             ;   in Loop: Header=BB2_3799 Depth=3
	s_or_b32 exec_lo, exec_lo, s23
	s_and_saveexec_b32 s23, s16
	s_cbranch_execz .LBB2_3928
.LBB2_3927:                             ;   in Loop: Header=BB2_3799 Depth=3
	v_and_b32_e32 v79, 7, v78
	v_lshrrev_b16 v89, 3, v78
	v_ffbh_u32_e32 v88, v79
	v_and_b32_e32 v89, 15, v89
	v_min_u32_e32 v88, 32, v88
	v_cmp_eq_u32_e32 vcc_lo, 0, v89
	v_subrev_nc_u32_e32 v90, 28, v88
	v_sub_nc_u32_e32 v88, 29, v88
	v_lshlrev_b32_e32 v90, v90, v78
	v_lshlrev_b32_e32 v78, 24, v78
	v_cndmask_b32_e32 v88, v89, v88, vcc_lo
	v_and_b32_e32 v90, 7, v90
	v_and_b32_e32 v78, 0x80000000, v78
	v_lshl_add_u32 v88, v88, 23, 0x3b800000
	v_cndmask_b32_e32 v79, v79, v90, vcc_lo
	v_lshlrev_b32_e32 v79, 20, v79
	v_or3_b32 v79, v78, v88, v79
.LBB2_3928:                             ;   in Loop: Header=BB2_3799 Depth=3
	s_or_b32 exec_lo, exec_lo, s23
	s_waitcnt vmcnt(4) lgkmcnt(4)
	v_cmp_gt_i16_sdwa s23, v77, v102 src0_sel:BYTE_0 src1_sel:DWORD
	s_mov_b32 s16, 0
	s_and_saveexec_b32 s73, s23
	s_xor_b32 s23, exec_lo, s73
	s_cbranch_execz .LBB2_4115
; %bb.3929:                             ;   in Loop: Header=BB2_3799 Depth=3
	v_cmp_eq_u16_sdwa s74, v77, v103 src0_sel:BYTE_0 src1_sel:DWORD
	s_mov_b32 s16, -1
	s_and_saveexec_b32 s73, s74
; %bb.3930:                             ;   in Loop: Header=BB2_3799 Depth=3
	s_xor_b32 s16, exec_lo, -1
; %bb.3931:                             ;   in Loop: Header=BB2_3799 Depth=3
	s_or_b32 exec_lo, exec_lo, s73
	s_and_b32 s16, s16, exec_lo
	s_or_saveexec_b32 s23, s23
	v_mov_b32_e32 v78, 0x7f800001
	s_xor_b32 exec_lo, exec_lo, s23
	s_cbranch_execnz .LBB2_4116
.LBB2_3932:                             ;   in Loop: Header=BB2_3799 Depth=3
	s_or_b32 exec_lo, exec_lo, s23
	s_and_saveexec_b32 s23, s16
	s_cbranch_execz .LBB2_3934
.LBB2_3933:                             ;   in Loop: Header=BB2_3799 Depth=3
	v_and_b32_e32 v78, 7, v77
	v_lshrrev_b16 v89, 3, v77
	v_ffbh_u32_e32 v88, v78
	v_and_b32_e32 v89, 15, v89
	v_min_u32_e32 v88, 32, v88
	v_cmp_eq_u32_e32 vcc_lo, 0, v89
	v_subrev_nc_u32_e32 v90, 28, v88
	v_sub_nc_u32_e32 v88, 29, v88
	v_lshlrev_b32_e32 v90, v90, v77
	v_lshlrev_b32_e32 v77, 24, v77
	v_cndmask_b32_e32 v88, v89, v88, vcc_lo
	v_and_b32_e32 v90, 7, v90
	v_and_b32_e32 v77, 0x80000000, v77
	v_lshl_add_u32 v88, v88, 23, 0x3b800000
	v_cndmask_b32_e32 v78, v78, v90, vcc_lo
	v_lshlrev_b32_e32 v78, 20, v78
	v_or3_b32 v78, v77, v88, v78
.LBB2_3934:                             ;   in Loop: Header=BB2_3799 Depth=3
	s_or_b32 exec_lo, exec_lo, s23
	v_max_f32_e32 v77, v78, v78
	v_max_f32_e32 v78, v79, v79
	v_min_f32_e32 v79, v78, v77
.LBB2_3935:                             ;   in Loop: Header=BB2_3799 Depth=3
	s_waitcnt vmcnt(4) lgkmcnt(4)
	v_and_b32_e32 v77, 0x7f800000, v79
	v_cmp_ne_u32_e32 vcc_lo, 0x7f800000, v77
	v_mov_b32_e32 v77, 0x80
	s_and_saveexec_b32 s23, vcc_lo
	s_cbranch_execz .LBB2_3943
; %bb.3936:                             ;   in Loop: Header=BB2_3799 Depth=3
	v_mov_b32_e32 v77, 0
	s_mov_b32 s73, exec_lo
	v_cmpx_ne_u32_e32 0, v79
	s_cbranch_execz .LBB2_3942
; %bb.3937:                             ;   in Loop: Header=BB2_3799 Depth=3
	v_bfe_u32 v77, v79, 23, 8
	v_and_b32_e32 v78, 0x7fffff, v79
	v_sub_nc_u32_e32 v88, 0x78, v77
	v_cmp_gt_u32_e32 vcc_lo, 0x79, v77
	v_or_b32_e32 v89, 0x800000, v78
	v_cndmask_b32_e32 v88, 0, v88, vcc_lo
	v_cmp_eq_u32_e32 vcc_lo, 0, v77
	v_add_nc_u32_e32 v77, 0xffffff89, v77
	v_cndmask_b32_e64 v88, v88, 0x77, vcc_lo
	v_cndmask_b32_e32 v78, v89, v78, vcc_lo
	v_cndmask_b32_e64 v77, v77, 0xffffff8a, vcc_lo
	v_lshl_add_u32 v89, 0x100000, v88, -1
	v_lshrrev_b32_e32 v90, v88, v78
	v_lshlrev_b32_e64 v92, v88, 0x80000
	v_add_nc_u32_e32 v88, v88, v77
	v_and_b32_e32 v78, v89, v78
	v_bfe_u32 v91, v90, 20, 1
	v_cmp_eq_u32_e64 s16, v78, v92
	v_add_nc_u32_e32 v89, -1, v91
	v_cndmask_b32_e64 v78, 0, v89, s16
	v_lshrrev_b32_e32 v89, 23, v90
	s_mov_b32 s16, exec_lo
	v_add_nc_u32_e32 v78, v78, v90
	v_xor_b32_e32 v89, 1, v89
	v_and_b32_e32 v77, 0xfffff, v78
	v_add_nc_u32_e32 v78, v77, v90
                                        ; implicit-def: $vgpr77
	v_cmpx_ne_u32_e64 v88, v89
	s_xor_b32 s16, exec_lo, s16
; %bb.3938:                             ;   in Loop: Header=BB2_3799 Depth=3
	v_cmp_lt_u32_e32 vcc_lo, 0xffffff, v78
	v_sub_nc_u32_e32 v77, v88, v89
	v_cndmask_b32_e64 v88, 0, 1, vcc_lo
	v_add_co_ci_u32_e64 v77, null, 0, v77, vcc_lo
	v_lshrrev_b32_e32 v78, v88, v78
; %bb.3939:                             ;   in Loop: Header=BB2_3799 Depth=3
	s_andn2_saveexec_b32 s16, s16
; %bb.3940:                             ;   in Loop: Header=BB2_3799 Depth=3
	v_bfe_u32 v77, v78, 23, 1
; %bb.3941:                             ;   in Loop: Header=BB2_3799 Depth=3
	s_or_b32 exec_lo, exec_lo, s16
	v_lshrrev_b32_e32 v78, 20, v78
	v_cmp_gt_i32_e32 vcc_lo, 16, v77
	v_min_i32_e32 v88, 15, v77
	v_and_b32_sdwa v79, v79, v103 dst_sel:DWORD dst_unused:UNUSED_PAD src0_sel:BYTE_3 src1_sel:DWORD
	v_cndmask_b32_e32 v78, 7, v78, vcc_lo
	v_lshlrev_b32_e32 v88, 3, v88
	v_and_b32_e32 v89, 7, v78
	v_or_b32_e32 v77, v77, v78
	v_or3_b32 v78, v88, v79, v89
	v_cmp_ne_u32_e32 vcc_lo, 0, v77
	v_cndmask_b32_e32 v77, 0, v78, vcc_lo
.LBB2_3942:                             ;   in Loop: Header=BB2_3799 Depth=3
	s_or_b32 exec_lo, exec_lo, s73
.LBB2_3943:                             ;   in Loop: Header=BB2_3799 Depth=3
	s_or_b32 exec_lo, exec_lo, s23
	v_cmp_gt_i16_sdwa s23, v76, v102 src0_sel:BYTE_0 src1_sel:DWORD
	s_andn2_b32 vcc_lo, exec_lo, s19
	s_mov_b32 s16, -1
                                        ; implicit-def: $vgpr78
	s_cbranch_vccnz .LBB2_3957
; %bb.3944:                             ;   in Loop: Header=BB2_3799 Depth=3
	s_mov_b32 s16, 0
	s_and_saveexec_b32 s73, s23
	s_xor_b32 s23, exec_lo, s73
	s_cbranch_execz .LBB2_4117
; %bb.3945:                             ;   in Loop: Header=BB2_3799 Depth=3
	v_cmp_eq_u16_sdwa s74, v76, v103 src0_sel:BYTE_0 src1_sel:DWORD
	s_mov_b32 s16, -1
	s_and_saveexec_b32 s73, s74
; %bb.3946:                             ;   in Loop: Header=BB2_3799 Depth=3
	s_xor_b32 s16, exec_lo, -1
; %bb.3947:                             ;   in Loop: Header=BB2_3799 Depth=3
	s_or_b32 exec_lo, exec_lo, s73
	s_and_b32 s16, s16, exec_lo
	s_or_saveexec_b32 s23, s23
	v_mov_b32_e32 v78, 0x7f800001
	s_xor_b32 exec_lo, exec_lo, s23
	s_cbranch_execnz .LBB2_4118
.LBB2_3948:                             ;   in Loop: Header=BB2_3799 Depth=3
	s_or_b32 exec_lo, exec_lo, s23
	s_and_saveexec_b32 s23, s16
	s_cbranch_execz .LBB2_3950
.LBB2_3949:                             ;   in Loop: Header=BB2_3799 Depth=3
	v_and_b32_e32 v78, 7, v76
	v_lshrrev_b16 v88, 3, v76
	v_lshlrev_b32_e32 v90, 24, v76
	v_ffbh_u32_e32 v79, v78
	v_and_b32_e32 v88, 15, v88
	v_min_u32_e32 v79, 32, v79
	v_cmp_eq_u32_e32 vcc_lo, 0, v88
	v_subrev_nc_u32_e32 v89, 28, v79
	v_sub_nc_u32_e32 v79, 29, v79
	v_lshlrev_b32_e32 v89, v89, v76
	v_cndmask_b32_e32 v79, v88, v79, vcc_lo
	v_and_b32_e32 v88, 0x80000000, v90
	v_and_b32_e32 v89, 7, v89
	v_lshl_add_u32 v79, v79, 23, 0x3b800000
	v_cndmask_b32_e32 v78, v78, v89, vcc_lo
	v_lshlrev_b32_e32 v78, 20, v78
	v_or3_b32 v78, v88, v79, v78
.LBB2_3950:                             ;   in Loop: Header=BB2_3799 Depth=3
	s_or_b32 exec_lo, exec_lo, s23
	s_waitcnt vmcnt(3) lgkmcnt(3)
	v_cmp_gt_i16_sdwa s23, v75, v102 src0_sel:BYTE_0 src1_sel:DWORD
	s_mov_b32 s16, 0
	s_and_saveexec_b32 s73, s23
	s_xor_b32 s23, exec_lo, s73
	s_cbranch_execz .LBB2_4119
; %bb.3951:                             ;   in Loop: Header=BB2_3799 Depth=3
	v_cmp_eq_u16_sdwa s74, v75, v103 src0_sel:BYTE_0 src1_sel:DWORD
	s_mov_b32 s16, -1
	s_and_saveexec_b32 s73, s74
; %bb.3952:                             ;   in Loop: Header=BB2_3799 Depth=3
	s_xor_b32 s16, exec_lo, -1
; %bb.3953:                             ;   in Loop: Header=BB2_3799 Depth=3
	s_or_b32 exec_lo, exec_lo, s73
	s_and_b32 s16, s16, exec_lo
	s_or_saveexec_b32 s23, s23
	v_mov_b32_e32 v79, 0x7f800001
	s_xor_b32 exec_lo, exec_lo, s23
	s_cbranch_execnz .LBB2_4120
.LBB2_3954:                             ;   in Loop: Header=BB2_3799 Depth=3
	s_or_b32 exec_lo, exec_lo, s23
	s_and_saveexec_b32 s23, s16
	s_cbranch_execz .LBB2_3956
.LBB2_3955:                             ;   in Loop: Header=BB2_3799 Depth=3
	v_and_b32_e32 v79, 7, v75
	v_lshrrev_b16 v89, 3, v75
	v_lshlrev_b32_e32 v91, 24, v75
	v_ffbh_u32_e32 v88, v79
	v_and_b32_e32 v89, 15, v89
	v_min_u32_e32 v88, 32, v88
	v_cmp_eq_u32_e32 vcc_lo, 0, v89
	v_subrev_nc_u32_e32 v90, 28, v88
	v_sub_nc_u32_e32 v88, 29, v88
	v_lshlrev_b32_e32 v90, v90, v75
	v_cndmask_b32_e32 v88, v89, v88, vcc_lo
	v_and_b32_e32 v89, 0x80000000, v91
	v_and_b32_e32 v90, 7, v90
	v_lshl_add_u32 v88, v88, 23, 0x3b800000
	v_cndmask_b32_e32 v79, v79, v90, vcc_lo
	v_lshlrev_b32_e32 v79, 20, v79
	v_or3_b32 v79, v89, v88, v79
.LBB2_3956:                             ;   in Loop: Header=BB2_3799 Depth=3
	s_or_b32 exec_lo, exec_lo, s23
	v_max_f32_e32 v79, v79, v79
	v_max_f32_e32 v78, v78, v78
	s_mov_b32 s16, 0
	v_max_f32_e32 v78, v78, v79
.LBB2_3957:                             ;   in Loop: Header=BB2_3799 Depth=3
	s_and_b32 vcc_lo, exec_lo, s16
	s_cbranch_vccz .LBB2_3971
; %bb.3958:                             ;   in Loop: Header=BB2_3799 Depth=3
	v_cmp_gt_i16_sdwa s23, v76, v102 src0_sel:BYTE_0 src1_sel:DWORD
	s_mov_b32 s16, 0
	s_and_saveexec_b32 s73, s23
	s_xor_b32 s23, exec_lo, s73
	s_cbranch_execz .LBB2_4121
; %bb.3959:                             ;   in Loop: Header=BB2_3799 Depth=3
	v_cmp_eq_u16_sdwa s74, v76, v103 src0_sel:BYTE_0 src1_sel:DWORD
	s_mov_b32 s16, -1
	s_and_saveexec_b32 s73, s74
; %bb.3960:                             ;   in Loop: Header=BB2_3799 Depth=3
	s_xor_b32 s16, exec_lo, -1
; %bb.3961:                             ;   in Loop: Header=BB2_3799 Depth=3
	s_or_b32 exec_lo, exec_lo, s73
	s_and_b32 s16, s16, exec_lo
	s_or_saveexec_b32 s23, s23
	v_mov_b32_e32 v78, 0x7f800001
	s_xor_b32 exec_lo, exec_lo, s23
	s_cbranch_execnz .LBB2_4122
.LBB2_3962:                             ;   in Loop: Header=BB2_3799 Depth=3
	s_or_b32 exec_lo, exec_lo, s23
	s_and_saveexec_b32 s23, s16
	s_cbranch_execz .LBB2_3964
.LBB2_3963:                             ;   in Loop: Header=BB2_3799 Depth=3
	v_and_b32_e32 v78, 7, v76
	v_lshrrev_b16 v88, 3, v76
	v_ffbh_u32_e32 v79, v78
	v_and_b32_e32 v88, 15, v88
	v_min_u32_e32 v79, 32, v79
	v_cmp_eq_u32_e32 vcc_lo, 0, v88
	v_subrev_nc_u32_e32 v89, 28, v79
	v_sub_nc_u32_e32 v79, 29, v79
	v_lshlrev_b32_e32 v89, v89, v76
	v_lshlrev_b32_e32 v76, 24, v76
	v_cndmask_b32_e32 v79, v88, v79, vcc_lo
	v_and_b32_e32 v89, 7, v89
	v_and_b32_e32 v76, 0x80000000, v76
	v_lshl_add_u32 v79, v79, 23, 0x3b800000
	v_cndmask_b32_e32 v78, v78, v89, vcc_lo
	v_lshlrev_b32_e32 v78, 20, v78
	v_or3_b32 v78, v76, v79, v78
.LBB2_3964:                             ;   in Loop: Header=BB2_3799 Depth=3
	s_or_b32 exec_lo, exec_lo, s23
	s_waitcnt vmcnt(3) lgkmcnt(3)
	v_cmp_gt_i16_sdwa s23, v75, v102 src0_sel:BYTE_0 src1_sel:DWORD
	s_mov_b32 s16, 0
	s_and_saveexec_b32 s73, s23
	s_xor_b32 s23, exec_lo, s73
	s_cbranch_execz .LBB2_4123
; %bb.3965:                             ;   in Loop: Header=BB2_3799 Depth=3
	v_cmp_eq_u16_sdwa s74, v75, v103 src0_sel:BYTE_0 src1_sel:DWORD
	s_mov_b32 s16, -1
	s_and_saveexec_b32 s73, s74
; %bb.3966:                             ;   in Loop: Header=BB2_3799 Depth=3
	s_xor_b32 s16, exec_lo, -1
; %bb.3967:                             ;   in Loop: Header=BB2_3799 Depth=3
	s_or_b32 exec_lo, exec_lo, s73
	s_and_b32 s16, s16, exec_lo
	s_or_saveexec_b32 s23, s23
	v_mov_b32_e32 v76, 0x7f800001
	s_xor_b32 exec_lo, exec_lo, s23
	s_cbranch_execnz .LBB2_4124
.LBB2_3968:                             ;   in Loop: Header=BB2_3799 Depth=3
	s_or_b32 exec_lo, exec_lo, s23
	s_and_saveexec_b32 s23, s16
	s_cbranch_execz .LBB2_3970
.LBB2_3969:                             ;   in Loop: Header=BB2_3799 Depth=3
	v_and_b32_e32 v76, 7, v75
	v_lshrrev_b16 v88, 3, v75
	v_ffbh_u32_e32 v79, v76
	v_and_b32_e32 v88, 15, v88
	v_min_u32_e32 v79, 32, v79
	v_cmp_eq_u32_e32 vcc_lo, 0, v88
	v_subrev_nc_u32_e32 v89, 28, v79
	v_sub_nc_u32_e32 v79, 29, v79
	v_lshlrev_b32_e32 v89, v89, v75
	v_lshlrev_b32_e32 v75, 24, v75
	v_cndmask_b32_e32 v79, v88, v79, vcc_lo
	v_and_b32_e32 v89, 7, v89
	v_and_b32_e32 v75, 0x80000000, v75
	v_lshl_add_u32 v79, v79, 23, 0x3b800000
	v_cndmask_b32_e32 v76, v76, v89, vcc_lo
	v_lshlrev_b32_e32 v76, 20, v76
	v_or3_b32 v76, v75, v79, v76
.LBB2_3970:                             ;   in Loop: Header=BB2_3799 Depth=3
	s_or_b32 exec_lo, exec_lo, s23
	v_max_f32_e32 v75, v76, v76
	v_max_f32_e32 v76, v78, v78
	v_min_f32_e32 v78, v76, v75
.LBB2_3971:                             ;   in Loop: Header=BB2_3799 Depth=3
	s_waitcnt vmcnt(3) lgkmcnt(3)
	v_and_b32_e32 v75, 0x7f800000, v78
	v_cmp_ne_u32_e32 vcc_lo, 0x7f800000, v75
	v_mov_b32_e32 v75, 0x80
	s_and_saveexec_b32 s23, vcc_lo
	s_cbranch_execz .LBB2_3979
; %bb.3972:                             ;   in Loop: Header=BB2_3799 Depth=3
	v_mov_b32_e32 v75, 0
	s_mov_b32 s73, exec_lo
	v_cmpx_ne_u32_e32 0, v78
	s_cbranch_execz .LBB2_3978
; %bb.3973:                             ;   in Loop: Header=BB2_3799 Depth=3
	v_bfe_u32 v75, v78, 23, 8
	v_and_b32_e32 v76, 0x7fffff, v78
	v_sub_nc_u32_e32 v79, 0x78, v75
	v_cmp_gt_u32_e32 vcc_lo, 0x79, v75
	v_or_b32_e32 v88, 0x800000, v76
	v_cndmask_b32_e32 v79, 0, v79, vcc_lo
	v_cmp_eq_u32_e32 vcc_lo, 0, v75
	v_add_nc_u32_e32 v75, 0xffffff89, v75
	v_cndmask_b32_e64 v79, v79, 0x77, vcc_lo
	v_cndmask_b32_e32 v76, v88, v76, vcc_lo
	v_cndmask_b32_e64 v75, v75, 0xffffff8a, vcc_lo
	v_lshl_add_u32 v88, 0x100000, v79, -1
	v_lshrrev_b32_e32 v89, v79, v76
	v_lshlrev_b32_e64 v91, v79, 0x80000
	v_add_nc_u32_e32 v79, v79, v75
	v_and_b32_e32 v76, v88, v76
	v_bfe_u32 v90, v89, 20, 1
	v_cmp_eq_u32_e64 s16, v76, v91
	v_add_nc_u32_e32 v88, -1, v90
	v_cndmask_b32_e64 v76, 0, v88, s16
	v_lshrrev_b32_e32 v88, 23, v89
	s_mov_b32 s16, exec_lo
	v_add_nc_u32_e32 v76, v76, v89
	v_xor_b32_e32 v88, 1, v88
	v_and_b32_e32 v75, 0xfffff, v76
	v_add_nc_u32_e32 v76, v75, v89
                                        ; implicit-def: $vgpr75
	v_cmpx_ne_u32_e64 v79, v88
	s_xor_b32 s16, exec_lo, s16
; %bb.3974:                             ;   in Loop: Header=BB2_3799 Depth=3
	v_cmp_lt_u32_e32 vcc_lo, 0xffffff, v76
	v_sub_nc_u32_e32 v75, v79, v88
	v_cndmask_b32_e64 v79, 0, 1, vcc_lo
	v_add_co_ci_u32_e64 v75, null, 0, v75, vcc_lo
	v_lshrrev_b32_e32 v76, v79, v76
; %bb.3975:                             ;   in Loop: Header=BB2_3799 Depth=3
	s_andn2_saveexec_b32 s16, s16
; %bb.3976:                             ;   in Loop: Header=BB2_3799 Depth=3
	v_bfe_u32 v75, v76, 23, 1
; %bb.3977:                             ;   in Loop: Header=BB2_3799 Depth=3
	s_or_b32 exec_lo, exec_lo, s16
	v_lshrrev_b32_e32 v76, 20, v76
	v_cmp_gt_i32_e32 vcc_lo, 16, v75
	v_min_i32_e32 v79, 15, v75
	v_and_b32_sdwa v78, v78, v103 dst_sel:DWORD dst_unused:UNUSED_PAD src0_sel:BYTE_3 src1_sel:DWORD
	v_cndmask_b32_e32 v76, 7, v76, vcc_lo
	v_lshlrev_b32_e32 v79, 3, v79
	v_and_b32_e32 v88, 7, v76
	v_or_b32_e32 v75, v75, v76
	v_or3_b32 v76, v79, v78, v88
	v_cmp_ne_u32_e32 vcc_lo, 0, v75
	v_cndmask_b32_e32 v75, 0, v76, vcc_lo
.LBB2_3978:                             ;   in Loop: Header=BB2_3799 Depth=3
	s_or_b32 exec_lo, exec_lo, s73
.LBB2_3979:                             ;   in Loop: Header=BB2_3799 Depth=3
	s_or_b32 exec_lo, exec_lo, s23
	v_cmp_gt_i16_sdwa s23, v73, v102 src0_sel:BYTE_0 src1_sel:DWORD
	s_andn2_b32 vcc_lo, exec_lo, s19
	s_mov_b32 s16, -1
                                        ; implicit-def: $vgpr76
	s_cbranch_vccnz .LBB2_3993
; %bb.3980:                             ;   in Loop: Header=BB2_3799 Depth=3
	s_mov_b32 s16, 0
	s_and_saveexec_b32 s73, s23
	s_xor_b32 s23, exec_lo, s73
	s_cbranch_execz .LBB2_4125
; %bb.3981:                             ;   in Loop: Header=BB2_3799 Depth=3
	v_cmp_eq_u16_sdwa s74, v73, v103 src0_sel:BYTE_0 src1_sel:DWORD
	s_mov_b32 s16, -1
	s_and_saveexec_b32 s73, s74
; %bb.3982:                             ;   in Loop: Header=BB2_3799 Depth=3
	s_xor_b32 s16, exec_lo, -1
; %bb.3983:                             ;   in Loop: Header=BB2_3799 Depth=3
	s_or_b32 exec_lo, exec_lo, s73
	s_and_b32 s16, s16, exec_lo
	s_or_saveexec_b32 s23, s23
	v_mov_b32_e32 v76, 0x7f800001
	s_xor_b32 exec_lo, exec_lo, s23
	s_cbranch_execnz .LBB2_4126
.LBB2_3984:                             ;   in Loop: Header=BB2_3799 Depth=3
	s_or_b32 exec_lo, exec_lo, s23
	s_and_saveexec_b32 s23, s16
	s_cbranch_execz .LBB2_3986
.LBB2_3985:                             ;   in Loop: Header=BB2_3799 Depth=3
	v_and_b32_e32 v76, 7, v73
	v_lshrrev_b16 v79, 3, v73
	v_lshlrev_b32_e32 v89, 24, v73
	v_ffbh_u32_e32 v78, v76
	v_and_b32_e32 v79, 15, v79
	v_min_u32_e32 v78, 32, v78
	v_cmp_eq_u32_e32 vcc_lo, 0, v79
	v_subrev_nc_u32_e32 v88, 28, v78
	v_sub_nc_u32_e32 v78, 29, v78
	v_lshlrev_b32_e32 v88, v88, v73
	v_cndmask_b32_e32 v78, v79, v78, vcc_lo
	v_and_b32_e32 v79, 0x80000000, v89
	v_and_b32_e32 v88, 7, v88
	v_lshl_add_u32 v78, v78, 23, 0x3b800000
	v_cndmask_b32_e32 v76, v76, v88, vcc_lo
	v_lshlrev_b32_e32 v76, 20, v76
	v_or3_b32 v76, v79, v78, v76
.LBB2_3986:                             ;   in Loop: Header=BB2_3799 Depth=3
	s_or_b32 exec_lo, exec_lo, s23
	s_waitcnt vmcnt(2) lgkmcnt(2)
	v_cmp_gt_i16_sdwa s23, v72, v102 src0_sel:BYTE_0 src1_sel:DWORD
	s_mov_b32 s16, 0
	s_and_saveexec_b32 s73, s23
	s_xor_b32 s23, exec_lo, s73
	s_cbranch_execz .LBB2_4127
; %bb.3987:                             ;   in Loop: Header=BB2_3799 Depth=3
	v_cmp_eq_u16_sdwa s74, v72, v103 src0_sel:BYTE_0 src1_sel:DWORD
	s_mov_b32 s16, -1
	s_and_saveexec_b32 s73, s74
; %bb.3988:                             ;   in Loop: Header=BB2_3799 Depth=3
	s_xor_b32 s16, exec_lo, -1
; %bb.3989:                             ;   in Loop: Header=BB2_3799 Depth=3
	s_or_b32 exec_lo, exec_lo, s73
	s_and_b32 s16, s16, exec_lo
	s_or_saveexec_b32 s23, s23
	v_mov_b32_e32 v78, 0x7f800001
	s_xor_b32 exec_lo, exec_lo, s23
	s_cbranch_execnz .LBB2_4128
.LBB2_3990:                             ;   in Loop: Header=BB2_3799 Depth=3
	s_or_b32 exec_lo, exec_lo, s23
	s_and_saveexec_b32 s23, s16
	s_cbranch_execz .LBB2_3992
.LBB2_3991:                             ;   in Loop: Header=BB2_3799 Depth=3
	v_and_b32_e32 v78, 7, v72
	v_lshrrev_b16 v88, 3, v72
	v_lshlrev_b32_e32 v90, 24, v72
	v_ffbh_u32_e32 v79, v78
	v_and_b32_e32 v88, 15, v88
	v_min_u32_e32 v79, 32, v79
	v_cmp_eq_u32_e32 vcc_lo, 0, v88
	v_subrev_nc_u32_e32 v89, 28, v79
	v_sub_nc_u32_e32 v79, 29, v79
	v_lshlrev_b32_e32 v89, v89, v72
	v_cndmask_b32_e32 v79, v88, v79, vcc_lo
	v_and_b32_e32 v88, 0x80000000, v90
	v_and_b32_e32 v89, 7, v89
	v_lshl_add_u32 v79, v79, 23, 0x3b800000
	v_cndmask_b32_e32 v78, v78, v89, vcc_lo
	v_lshlrev_b32_e32 v78, 20, v78
	v_or3_b32 v78, v88, v79, v78
.LBB2_3992:                             ;   in Loop: Header=BB2_3799 Depth=3
	s_or_b32 exec_lo, exec_lo, s23
	v_max_f32_e32 v78, v78, v78
	v_max_f32_e32 v76, v76, v76
	s_mov_b32 s16, 0
	v_max_f32_e32 v76, v76, v78
.LBB2_3993:                             ;   in Loop: Header=BB2_3799 Depth=3
	s_and_b32 vcc_lo, exec_lo, s16
	s_cbranch_vccz .LBB2_4007
; %bb.3994:                             ;   in Loop: Header=BB2_3799 Depth=3
	v_cmp_gt_i16_sdwa s23, v73, v102 src0_sel:BYTE_0 src1_sel:DWORD
	s_mov_b32 s16, 0
	s_and_saveexec_b32 s73, s23
	s_xor_b32 s23, exec_lo, s73
	s_cbranch_execz .LBB2_4129
; %bb.3995:                             ;   in Loop: Header=BB2_3799 Depth=3
	v_cmp_eq_u16_sdwa s74, v73, v103 src0_sel:BYTE_0 src1_sel:DWORD
	s_mov_b32 s16, -1
	s_and_saveexec_b32 s73, s74
; %bb.3996:                             ;   in Loop: Header=BB2_3799 Depth=3
	s_xor_b32 s16, exec_lo, -1
; %bb.3997:                             ;   in Loop: Header=BB2_3799 Depth=3
	s_or_b32 exec_lo, exec_lo, s73
	s_and_b32 s16, s16, exec_lo
	s_or_saveexec_b32 s23, s23
	v_mov_b32_e32 v76, 0x7f800001
	s_xor_b32 exec_lo, exec_lo, s23
	s_cbranch_execnz .LBB2_4130
.LBB2_3998:                             ;   in Loop: Header=BB2_3799 Depth=3
	s_or_b32 exec_lo, exec_lo, s23
	s_and_saveexec_b32 s23, s16
	s_cbranch_execz .LBB2_4000
.LBB2_3999:                             ;   in Loop: Header=BB2_3799 Depth=3
	v_and_b32_e32 v76, 7, v73
	v_lshrrev_b16 v79, 3, v73
	v_ffbh_u32_e32 v78, v76
	v_and_b32_e32 v79, 15, v79
	v_min_u32_e32 v78, 32, v78
	v_cmp_eq_u32_e32 vcc_lo, 0, v79
	v_subrev_nc_u32_e32 v88, 28, v78
	v_sub_nc_u32_e32 v78, 29, v78
	v_lshlrev_b32_e32 v88, v88, v73
	v_lshlrev_b32_e32 v73, 24, v73
	v_cndmask_b32_e32 v78, v79, v78, vcc_lo
	v_and_b32_e32 v88, 7, v88
	v_and_b32_e32 v73, 0x80000000, v73
	v_lshl_add_u32 v78, v78, 23, 0x3b800000
	v_cndmask_b32_e32 v76, v76, v88, vcc_lo
	v_lshlrev_b32_e32 v76, 20, v76
	v_or3_b32 v76, v73, v78, v76
.LBB2_4000:                             ;   in Loop: Header=BB2_3799 Depth=3
	s_or_b32 exec_lo, exec_lo, s23
	s_waitcnt vmcnt(2) lgkmcnt(2)
	v_cmp_gt_i16_sdwa s23, v72, v102 src0_sel:BYTE_0 src1_sel:DWORD
	s_mov_b32 s16, 0
	s_and_saveexec_b32 s73, s23
	s_xor_b32 s23, exec_lo, s73
	s_cbranch_execz .LBB2_4131
; %bb.4001:                             ;   in Loop: Header=BB2_3799 Depth=3
	v_cmp_eq_u16_sdwa s74, v72, v103 src0_sel:BYTE_0 src1_sel:DWORD
	s_mov_b32 s16, -1
	s_and_saveexec_b32 s73, s74
; %bb.4002:                             ;   in Loop: Header=BB2_3799 Depth=3
	s_xor_b32 s16, exec_lo, -1
; %bb.4003:                             ;   in Loop: Header=BB2_3799 Depth=3
	s_or_b32 exec_lo, exec_lo, s73
	s_and_b32 s16, s16, exec_lo
	s_or_saveexec_b32 s23, s23
	v_mov_b32_e32 v73, 0x7f800001
	s_xor_b32 exec_lo, exec_lo, s23
	s_cbranch_execnz .LBB2_4132
.LBB2_4004:                             ;   in Loop: Header=BB2_3799 Depth=3
	s_or_b32 exec_lo, exec_lo, s23
	s_and_saveexec_b32 s23, s16
	s_cbranch_execz .LBB2_4006
.LBB2_4005:                             ;   in Loop: Header=BB2_3799 Depth=3
	v_and_b32_e32 v73, 7, v72
	v_lshrrev_b16 v79, 3, v72
	v_ffbh_u32_e32 v78, v73
	v_and_b32_e32 v79, 15, v79
	v_min_u32_e32 v78, 32, v78
	v_cmp_eq_u32_e32 vcc_lo, 0, v79
	v_subrev_nc_u32_e32 v88, 28, v78
	v_sub_nc_u32_e32 v78, 29, v78
	v_lshlrev_b32_e32 v88, v88, v72
	v_lshlrev_b32_e32 v72, 24, v72
	v_cndmask_b32_e32 v78, v79, v78, vcc_lo
	v_and_b32_e32 v88, 7, v88
	v_and_b32_e32 v72, 0x80000000, v72
	v_lshl_add_u32 v78, v78, 23, 0x3b800000
	v_cndmask_b32_e32 v73, v73, v88, vcc_lo
	v_lshlrev_b32_e32 v73, 20, v73
	v_or3_b32 v73, v72, v78, v73
.LBB2_4006:                             ;   in Loop: Header=BB2_3799 Depth=3
	s_or_b32 exec_lo, exec_lo, s23
	v_max_f32_e32 v72, v73, v73
	v_max_f32_e32 v73, v76, v76
	v_min_f32_e32 v76, v73, v72
.LBB2_4007:                             ;   in Loop: Header=BB2_3799 Depth=3
	s_waitcnt vmcnt(2) lgkmcnt(2)
	v_and_b32_e32 v72, 0x7f800000, v76
	v_cmp_ne_u32_e32 vcc_lo, 0x7f800000, v72
	v_mov_b32_e32 v72, 0x80
	s_and_saveexec_b32 s23, vcc_lo
	s_cbranch_execz .LBB2_4015
; %bb.4008:                             ;   in Loop: Header=BB2_3799 Depth=3
	v_mov_b32_e32 v72, 0
	s_mov_b32 s73, exec_lo
	v_cmpx_ne_u32_e32 0, v76
	s_cbranch_execz .LBB2_4014
; %bb.4009:                             ;   in Loop: Header=BB2_3799 Depth=3
	v_bfe_u32 v72, v76, 23, 8
	v_and_b32_e32 v73, 0x7fffff, v76
	v_sub_nc_u32_e32 v78, 0x78, v72
	v_cmp_gt_u32_e32 vcc_lo, 0x79, v72
	v_or_b32_e32 v79, 0x800000, v73
	v_cndmask_b32_e32 v78, 0, v78, vcc_lo
	v_cmp_eq_u32_e32 vcc_lo, 0, v72
	v_add_nc_u32_e32 v72, 0xffffff89, v72
	v_cndmask_b32_e64 v78, v78, 0x77, vcc_lo
	v_cndmask_b32_e32 v73, v79, v73, vcc_lo
	v_cndmask_b32_e64 v72, v72, 0xffffff8a, vcc_lo
	v_lshl_add_u32 v79, 0x100000, v78, -1
	v_lshrrev_b32_e32 v88, v78, v73
	v_lshlrev_b32_e64 v90, v78, 0x80000
	v_add_nc_u32_e32 v78, v78, v72
	v_and_b32_e32 v73, v79, v73
	v_bfe_u32 v89, v88, 20, 1
	v_cmp_eq_u32_e64 s16, v73, v90
	v_add_nc_u32_e32 v79, -1, v89
	v_cndmask_b32_e64 v73, 0, v79, s16
	v_lshrrev_b32_e32 v79, 23, v88
	s_mov_b32 s16, exec_lo
	v_add_nc_u32_e32 v73, v73, v88
	v_xor_b32_e32 v79, 1, v79
	v_and_b32_e32 v72, 0xfffff, v73
	v_add_nc_u32_e32 v73, v72, v88
                                        ; implicit-def: $vgpr72
	v_cmpx_ne_u32_e64 v78, v79
	s_xor_b32 s16, exec_lo, s16
; %bb.4010:                             ;   in Loop: Header=BB2_3799 Depth=3
	v_cmp_lt_u32_e32 vcc_lo, 0xffffff, v73
	v_sub_nc_u32_e32 v72, v78, v79
	v_cndmask_b32_e64 v78, 0, 1, vcc_lo
	v_add_co_ci_u32_e64 v72, null, 0, v72, vcc_lo
	v_lshrrev_b32_e32 v73, v78, v73
; %bb.4011:                             ;   in Loop: Header=BB2_3799 Depth=3
	s_andn2_saveexec_b32 s16, s16
; %bb.4012:                             ;   in Loop: Header=BB2_3799 Depth=3
	v_bfe_u32 v72, v73, 23, 1
; %bb.4013:                             ;   in Loop: Header=BB2_3799 Depth=3
	s_or_b32 exec_lo, exec_lo, s16
	v_lshrrev_b32_e32 v73, 20, v73
	v_cmp_gt_i32_e32 vcc_lo, 16, v72
	v_min_i32_e32 v78, 15, v72
	v_and_b32_sdwa v76, v76, v103 dst_sel:DWORD dst_unused:UNUSED_PAD src0_sel:BYTE_3 src1_sel:DWORD
	v_cndmask_b32_e32 v73, 7, v73, vcc_lo
	v_lshlrev_b32_e32 v78, 3, v78
	v_and_b32_e32 v79, 7, v73
	v_or_b32_e32 v72, v72, v73
	v_or3_b32 v73, v78, v76, v79
	v_cmp_ne_u32_e32 vcc_lo, 0, v72
	v_cndmask_b32_e32 v72, 0, v73, vcc_lo
.LBB2_4014:                             ;   in Loop: Header=BB2_3799 Depth=3
	s_or_b32 exec_lo, exec_lo, s73
.LBB2_4015:                             ;   in Loop: Header=BB2_3799 Depth=3
	s_or_b32 exec_lo, exec_lo, s23
	v_cmp_gt_i16_sdwa s23, v62, v102 src0_sel:BYTE_0 src1_sel:DWORD
	s_andn2_b32 vcc_lo, exec_lo, s19
	s_mov_b32 s16, -1
                                        ; implicit-def: $vgpr73
	s_cbranch_vccnz .LBB2_4029
; %bb.4016:                             ;   in Loop: Header=BB2_3799 Depth=3
	s_mov_b32 s16, 0
	s_and_saveexec_b32 s73, s23
	s_xor_b32 s23, exec_lo, s73
	s_cbranch_execz .LBB2_4133
; %bb.4017:                             ;   in Loop: Header=BB2_3799 Depth=3
	v_cmp_eq_u16_sdwa s74, v62, v103 src0_sel:BYTE_0 src1_sel:DWORD
	s_mov_b32 s16, -1
	s_and_saveexec_b32 s73, s74
; %bb.4018:                             ;   in Loop: Header=BB2_3799 Depth=3
	s_xor_b32 s16, exec_lo, -1
; %bb.4019:                             ;   in Loop: Header=BB2_3799 Depth=3
	s_or_b32 exec_lo, exec_lo, s73
	s_and_b32 s16, s16, exec_lo
	s_or_saveexec_b32 s23, s23
	v_mov_b32_e32 v73, 0x7f800001
	s_xor_b32 exec_lo, exec_lo, s23
	s_cbranch_execnz .LBB2_4134
.LBB2_4020:                             ;   in Loop: Header=BB2_3799 Depth=3
	s_or_b32 exec_lo, exec_lo, s23
	s_and_saveexec_b32 s23, s16
	s_cbranch_execz .LBB2_4022
.LBB2_4021:                             ;   in Loop: Header=BB2_3799 Depth=3
	v_and_b32_e32 v73, 7, v62
	v_lshrrev_b16 v78, 3, v62
	v_lshlrev_b32_e32 v88, 24, v62
	v_ffbh_u32_e32 v76, v73
	v_and_b32_e32 v78, 15, v78
	v_min_u32_e32 v76, 32, v76
	v_cmp_eq_u32_e32 vcc_lo, 0, v78
	v_subrev_nc_u32_e32 v79, 28, v76
	v_sub_nc_u32_e32 v76, 29, v76
	v_lshlrev_b32_e32 v79, v79, v62
	v_cndmask_b32_e32 v76, v78, v76, vcc_lo
	v_and_b32_e32 v78, 0x80000000, v88
	v_and_b32_e32 v79, 7, v79
	v_lshl_add_u32 v76, v76, 23, 0x3b800000
	v_cndmask_b32_e32 v73, v73, v79, vcc_lo
	v_lshlrev_b32_e32 v73, 20, v73
	v_or3_b32 v73, v78, v76, v73
.LBB2_4022:                             ;   in Loop: Header=BB2_3799 Depth=3
	s_or_b32 exec_lo, exec_lo, s23
	s_waitcnt vmcnt(1) lgkmcnt(1)
	v_cmp_gt_i16_sdwa s23, v61, v102 src0_sel:BYTE_0 src1_sel:DWORD
	s_mov_b32 s16, 0
	s_and_saveexec_b32 s73, s23
	s_xor_b32 s23, exec_lo, s73
	s_cbranch_execz .LBB2_4135
; %bb.4023:                             ;   in Loop: Header=BB2_3799 Depth=3
	v_cmp_eq_u16_sdwa s74, v61, v103 src0_sel:BYTE_0 src1_sel:DWORD
	s_mov_b32 s16, -1
	s_and_saveexec_b32 s73, s74
; %bb.4024:                             ;   in Loop: Header=BB2_3799 Depth=3
	s_xor_b32 s16, exec_lo, -1
; %bb.4025:                             ;   in Loop: Header=BB2_3799 Depth=3
	s_or_b32 exec_lo, exec_lo, s73
	s_and_b32 s16, s16, exec_lo
	s_or_saveexec_b32 s23, s23
	v_mov_b32_e32 v76, 0x7f800001
	s_xor_b32 exec_lo, exec_lo, s23
	s_cbranch_execnz .LBB2_4136
.LBB2_4026:                             ;   in Loop: Header=BB2_3799 Depth=3
	s_or_b32 exec_lo, exec_lo, s23
	s_and_saveexec_b32 s23, s16
	s_cbranch_execz .LBB2_4028
.LBB2_4027:                             ;   in Loop: Header=BB2_3799 Depth=3
	v_and_b32_e32 v76, 7, v61
	v_lshrrev_b16 v79, 3, v61
	v_lshlrev_b32_e32 v89, 24, v61
	v_ffbh_u32_e32 v78, v76
	v_and_b32_e32 v79, 15, v79
	v_min_u32_e32 v78, 32, v78
	v_cmp_eq_u32_e32 vcc_lo, 0, v79
	v_subrev_nc_u32_e32 v88, 28, v78
	v_sub_nc_u32_e32 v78, 29, v78
	v_lshlrev_b32_e32 v88, v88, v61
	v_cndmask_b32_e32 v78, v79, v78, vcc_lo
	v_and_b32_e32 v79, 0x80000000, v89
	v_and_b32_e32 v88, 7, v88
	v_lshl_add_u32 v78, v78, 23, 0x3b800000
	v_cndmask_b32_e32 v76, v76, v88, vcc_lo
	v_lshlrev_b32_e32 v76, 20, v76
	v_or3_b32 v76, v79, v78, v76
.LBB2_4028:                             ;   in Loop: Header=BB2_3799 Depth=3
	s_or_b32 exec_lo, exec_lo, s23
	v_max_f32_e32 v76, v76, v76
	v_max_f32_e32 v73, v73, v73
	s_mov_b32 s16, 0
	v_max_f32_e32 v73, v73, v76
.LBB2_4029:                             ;   in Loop: Header=BB2_3799 Depth=3
	s_and_b32 vcc_lo, exec_lo, s16
	s_cbranch_vccz .LBB2_4043
; %bb.4030:                             ;   in Loop: Header=BB2_3799 Depth=3
	v_cmp_gt_i16_sdwa s23, v62, v102 src0_sel:BYTE_0 src1_sel:DWORD
	s_mov_b32 s16, 0
	s_and_saveexec_b32 s73, s23
	s_xor_b32 s23, exec_lo, s73
	s_cbranch_execz .LBB2_4137
; %bb.4031:                             ;   in Loop: Header=BB2_3799 Depth=3
	v_cmp_eq_u16_sdwa s74, v62, v103 src0_sel:BYTE_0 src1_sel:DWORD
	s_mov_b32 s16, -1
	s_and_saveexec_b32 s73, s74
; %bb.4032:                             ;   in Loop: Header=BB2_3799 Depth=3
	s_xor_b32 s16, exec_lo, -1
; %bb.4033:                             ;   in Loop: Header=BB2_3799 Depth=3
	s_or_b32 exec_lo, exec_lo, s73
	s_and_b32 s16, s16, exec_lo
	s_or_saveexec_b32 s23, s23
	v_mov_b32_e32 v73, 0x7f800001
	s_xor_b32 exec_lo, exec_lo, s23
	s_cbranch_execnz .LBB2_4138
.LBB2_4034:                             ;   in Loop: Header=BB2_3799 Depth=3
	s_or_b32 exec_lo, exec_lo, s23
	s_and_saveexec_b32 s23, s16
	s_cbranch_execz .LBB2_4036
.LBB2_4035:                             ;   in Loop: Header=BB2_3799 Depth=3
	v_and_b32_e32 v73, 7, v62
	v_lshrrev_b16 v78, 3, v62
	v_ffbh_u32_e32 v76, v73
	v_and_b32_e32 v78, 15, v78
	v_min_u32_e32 v76, 32, v76
	v_cmp_eq_u32_e32 vcc_lo, 0, v78
	v_subrev_nc_u32_e32 v79, 28, v76
	v_sub_nc_u32_e32 v76, 29, v76
	v_lshlrev_b32_e32 v79, v79, v62
	v_lshlrev_b32_e32 v62, 24, v62
	v_cndmask_b32_e32 v76, v78, v76, vcc_lo
	v_and_b32_e32 v79, 7, v79
	v_and_b32_e32 v62, 0x80000000, v62
	v_lshl_add_u32 v76, v76, 23, 0x3b800000
	v_cndmask_b32_e32 v73, v73, v79, vcc_lo
	v_lshlrev_b32_e32 v73, 20, v73
	v_or3_b32 v73, v62, v76, v73
.LBB2_4036:                             ;   in Loop: Header=BB2_3799 Depth=3
	s_or_b32 exec_lo, exec_lo, s23
	s_waitcnt vmcnt(1) lgkmcnt(1)
	v_cmp_gt_i16_sdwa s23, v61, v102 src0_sel:BYTE_0 src1_sel:DWORD
	s_mov_b32 s16, 0
	s_and_saveexec_b32 s73, s23
	s_xor_b32 s23, exec_lo, s73
	s_cbranch_execz .LBB2_4139
; %bb.4037:                             ;   in Loop: Header=BB2_3799 Depth=3
	v_cmp_eq_u16_sdwa s74, v61, v103 src0_sel:BYTE_0 src1_sel:DWORD
	s_mov_b32 s16, -1
	s_and_saveexec_b32 s73, s74
; %bb.4038:                             ;   in Loop: Header=BB2_3799 Depth=3
	s_xor_b32 s16, exec_lo, -1
; %bb.4039:                             ;   in Loop: Header=BB2_3799 Depth=3
	s_or_b32 exec_lo, exec_lo, s73
	s_and_b32 s16, s16, exec_lo
	s_or_saveexec_b32 s23, s23
	v_mov_b32_e32 v62, 0x7f800001
	s_xor_b32 exec_lo, exec_lo, s23
	s_cbranch_execnz .LBB2_4140
.LBB2_4040:                             ;   in Loop: Header=BB2_3799 Depth=3
	s_or_b32 exec_lo, exec_lo, s23
	s_and_saveexec_b32 s23, s16
	s_cbranch_execz .LBB2_4042
.LBB2_4041:                             ;   in Loop: Header=BB2_3799 Depth=3
	v_and_b32_e32 v62, 7, v61
	v_lshrrev_b16 v78, 3, v61
	v_ffbh_u32_e32 v76, v62
	v_and_b32_e32 v78, 15, v78
	v_min_u32_e32 v76, 32, v76
	v_cmp_eq_u32_e32 vcc_lo, 0, v78
	v_subrev_nc_u32_e32 v79, 28, v76
	v_sub_nc_u32_e32 v76, 29, v76
	v_lshlrev_b32_e32 v79, v79, v61
	v_lshlrev_b32_e32 v61, 24, v61
	v_cndmask_b32_e32 v76, v78, v76, vcc_lo
	v_and_b32_e32 v79, 7, v79
	v_and_b32_e32 v61, 0x80000000, v61
	v_lshl_add_u32 v76, v76, 23, 0x3b800000
	v_cndmask_b32_e32 v62, v62, v79, vcc_lo
	v_lshlrev_b32_e32 v62, 20, v62
	v_or3_b32 v62, v61, v76, v62
.LBB2_4042:                             ;   in Loop: Header=BB2_3799 Depth=3
	s_or_b32 exec_lo, exec_lo, s23
	v_max_f32_e32 v61, v62, v62
	v_max_f32_e32 v62, v73, v73
	v_min_f32_e32 v73, v62, v61
.LBB2_4043:                             ;   in Loop: Header=BB2_3799 Depth=3
	s_waitcnt vmcnt(1) lgkmcnt(1)
	v_and_b32_e32 v61, 0x7f800000, v73
	v_cmp_ne_u32_e32 vcc_lo, 0x7f800000, v61
	v_mov_b32_e32 v61, 0x80
	s_and_saveexec_b32 s23, vcc_lo
	s_cbranch_execz .LBB2_4051
; %bb.4044:                             ;   in Loop: Header=BB2_3799 Depth=3
	v_mov_b32_e32 v61, 0
	s_mov_b32 s73, exec_lo
	v_cmpx_ne_u32_e32 0, v73
	s_cbranch_execz .LBB2_4050
; %bb.4045:                             ;   in Loop: Header=BB2_3799 Depth=3
	v_bfe_u32 v61, v73, 23, 8
	v_and_b32_e32 v62, 0x7fffff, v73
	v_sub_nc_u32_e32 v76, 0x78, v61
	v_cmp_gt_u32_e32 vcc_lo, 0x79, v61
	v_or_b32_e32 v78, 0x800000, v62
	v_cndmask_b32_e32 v76, 0, v76, vcc_lo
	v_cmp_eq_u32_e32 vcc_lo, 0, v61
	v_add_nc_u32_e32 v61, 0xffffff89, v61
	v_cndmask_b32_e64 v76, v76, 0x77, vcc_lo
	v_cndmask_b32_e32 v62, v78, v62, vcc_lo
	v_cndmask_b32_e64 v61, v61, 0xffffff8a, vcc_lo
	v_lshl_add_u32 v78, 0x100000, v76, -1
	v_lshrrev_b32_e32 v79, v76, v62
	v_lshlrev_b32_e64 v89, v76, 0x80000
	v_add_nc_u32_e32 v76, v76, v61
	v_and_b32_e32 v62, v78, v62
	v_bfe_u32 v88, v79, 20, 1
	v_cmp_eq_u32_e64 s16, v62, v89
	v_add_nc_u32_e32 v78, -1, v88
	v_cndmask_b32_e64 v62, 0, v78, s16
	v_lshrrev_b32_e32 v78, 23, v79
	s_mov_b32 s16, exec_lo
	v_add_nc_u32_e32 v62, v62, v79
	v_xor_b32_e32 v78, 1, v78
	v_and_b32_e32 v61, 0xfffff, v62
	v_add_nc_u32_e32 v62, v61, v79
                                        ; implicit-def: $vgpr61
	v_cmpx_ne_u32_e64 v76, v78
	s_xor_b32 s16, exec_lo, s16
; %bb.4046:                             ;   in Loop: Header=BB2_3799 Depth=3
	v_cmp_lt_u32_e32 vcc_lo, 0xffffff, v62
	v_sub_nc_u32_e32 v61, v76, v78
	v_cndmask_b32_e64 v76, 0, 1, vcc_lo
	v_add_co_ci_u32_e64 v61, null, 0, v61, vcc_lo
	v_lshrrev_b32_e32 v62, v76, v62
; %bb.4047:                             ;   in Loop: Header=BB2_3799 Depth=3
	s_andn2_saveexec_b32 s16, s16
; %bb.4048:                             ;   in Loop: Header=BB2_3799 Depth=3
	v_bfe_u32 v61, v62, 23, 1
; %bb.4049:                             ;   in Loop: Header=BB2_3799 Depth=3
	s_or_b32 exec_lo, exec_lo, s16
	v_lshrrev_b32_e32 v62, 20, v62
	v_cmp_gt_i32_e32 vcc_lo, 16, v61
	v_min_i32_e32 v76, 15, v61
	v_and_b32_sdwa v73, v73, v103 dst_sel:DWORD dst_unused:UNUSED_PAD src0_sel:BYTE_3 src1_sel:DWORD
	v_cndmask_b32_e32 v62, 7, v62, vcc_lo
	v_lshlrev_b32_e32 v76, 3, v76
	v_and_b32_e32 v78, 7, v62
	v_or_b32_e32 v61, v61, v62
	v_or3_b32 v62, v76, v73, v78
	v_cmp_ne_u32_e32 vcc_lo, 0, v61
	v_cndmask_b32_e32 v61, 0, v62, vcc_lo
.LBB2_4050:                             ;   in Loop: Header=BB2_3799 Depth=3
	s_or_b32 exec_lo, exec_lo, s73
.LBB2_4051:                             ;   in Loop: Header=BB2_3799 Depth=3
	s_or_b32 exec_lo, exec_lo, s23
	v_cmp_gt_i16_sdwa s23, v69, v102 src0_sel:BYTE_0 src1_sel:DWORD
	s_andn2_b32 vcc_lo, exec_lo, s19
	s_mov_b32 s16, -1
                                        ; implicit-def: $vgpr62
	s_cbranch_vccnz .LBB2_4065
; %bb.4052:                             ;   in Loop: Header=BB2_3799 Depth=3
	s_mov_b32 s16, 0
	s_and_saveexec_b32 s73, s23
	s_xor_b32 s23, exec_lo, s73
	s_cbranch_execz .LBB2_4141
; %bb.4053:                             ;   in Loop: Header=BB2_3799 Depth=3
	v_cmp_eq_u16_sdwa s74, v69, v103 src0_sel:BYTE_0 src1_sel:DWORD
	s_mov_b32 s16, -1
	s_and_saveexec_b32 s73, s74
; %bb.4054:                             ;   in Loop: Header=BB2_3799 Depth=3
	s_xor_b32 s16, exec_lo, -1
; %bb.4055:                             ;   in Loop: Header=BB2_3799 Depth=3
	s_or_b32 exec_lo, exec_lo, s73
	s_and_b32 s16, s16, exec_lo
	s_or_saveexec_b32 s23, s23
	v_mov_b32_e32 v62, 0x7f800001
	s_xor_b32 exec_lo, exec_lo, s23
	s_cbranch_execnz .LBB2_4142
.LBB2_4056:                             ;   in Loop: Header=BB2_3799 Depth=3
	s_or_b32 exec_lo, exec_lo, s23
	s_and_saveexec_b32 s23, s16
	s_cbranch_execz .LBB2_4058
.LBB2_4057:                             ;   in Loop: Header=BB2_3799 Depth=3
	v_and_b32_e32 v62, 7, v69
	v_lshrrev_b16 v76, 3, v69
	v_lshlrev_b32_e32 v79, 24, v69
	v_ffbh_u32_e32 v73, v62
	v_and_b32_e32 v76, 15, v76
	v_min_u32_e32 v73, 32, v73
	v_cmp_eq_u32_e32 vcc_lo, 0, v76
	v_subrev_nc_u32_e32 v78, 28, v73
	v_sub_nc_u32_e32 v73, 29, v73
	v_lshlrev_b32_e32 v78, v78, v69
	v_cndmask_b32_e32 v73, v76, v73, vcc_lo
	v_and_b32_e32 v76, 0x80000000, v79
	v_and_b32_e32 v78, 7, v78
	v_lshl_add_u32 v73, v73, 23, 0x3b800000
	v_cndmask_b32_e32 v62, v62, v78, vcc_lo
	v_lshlrev_b32_e32 v62, 20, v62
	v_or3_b32 v62, v76, v73, v62
.LBB2_4058:                             ;   in Loop: Header=BB2_3799 Depth=3
	s_or_b32 exec_lo, exec_lo, s23
	s_waitcnt vmcnt(0) lgkmcnt(0)
	v_cmp_gt_i16_sdwa s23, v68, v102 src0_sel:BYTE_0 src1_sel:DWORD
	s_mov_b32 s16, 0
	s_and_saveexec_b32 s73, s23
	s_xor_b32 s23, exec_lo, s73
	s_cbranch_execz .LBB2_4143
; %bb.4059:                             ;   in Loop: Header=BB2_3799 Depth=3
	v_cmp_eq_u16_sdwa s74, v68, v103 src0_sel:BYTE_0 src1_sel:DWORD
	s_mov_b32 s16, -1
	s_and_saveexec_b32 s73, s74
; %bb.4060:                             ;   in Loop: Header=BB2_3799 Depth=3
	s_xor_b32 s16, exec_lo, -1
; %bb.4061:                             ;   in Loop: Header=BB2_3799 Depth=3
	s_or_b32 exec_lo, exec_lo, s73
	s_and_b32 s16, s16, exec_lo
	s_or_saveexec_b32 s23, s23
	v_mov_b32_e32 v73, 0x7f800001
	s_xor_b32 exec_lo, exec_lo, s23
	s_cbranch_execnz .LBB2_4144
.LBB2_4062:                             ;   in Loop: Header=BB2_3799 Depth=3
	s_or_b32 exec_lo, exec_lo, s23
	s_and_saveexec_b32 s23, s16
	s_cbranch_execz .LBB2_4064
.LBB2_4063:                             ;   in Loop: Header=BB2_3799 Depth=3
	v_and_b32_e32 v73, 7, v68
	v_lshrrev_b16 v78, 3, v68
	v_lshlrev_b32_e32 v88, 24, v68
	v_ffbh_u32_e32 v76, v73
	v_and_b32_e32 v78, 15, v78
	v_min_u32_e32 v76, 32, v76
	v_cmp_eq_u32_e32 vcc_lo, 0, v78
	v_subrev_nc_u32_e32 v79, 28, v76
	v_sub_nc_u32_e32 v76, 29, v76
	v_lshlrev_b32_e32 v79, v79, v68
	v_cndmask_b32_e32 v76, v78, v76, vcc_lo
	v_and_b32_e32 v78, 0x80000000, v88
	v_and_b32_e32 v79, 7, v79
	v_lshl_add_u32 v76, v76, 23, 0x3b800000
	v_cndmask_b32_e32 v73, v73, v79, vcc_lo
	v_lshlrev_b32_e32 v73, 20, v73
	v_or3_b32 v73, v78, v76, v73
.LBB2_4064:                             ;   in Loop: Header=BB2_3799 Depth=3
	s_or_b32 exec_lo, exec_lo, s23
	v_max_f32_e32 v73, v73, v73
	v_max_f32_e32 v62, v62, v62
	s_mov_b32 s16, 0
	v_max_f32_e32 v62, v62, v73
.LBB2_4065:                             ;   in Loop: Header=BB2_3799 Depth=3
	s_and_b32 vcc_lo, exec_lo, s16
	s_cbranch_vccz .LBB2_4079
; %bb.4066:                             ;   in Loop: Header=BB2_3799 Depth=3
	v_cmp_gt_i16_sdwa s23, v69, v102 src0_sel:BYTE_0 src1_sel:DWORD
	s_mov_b32 s16, 0
	s_and_saveexec_b32 s73, s23
	s_xor_b32 s23, exec_lo, s73
	s_cbranch_execz .LBB2_4145
; %bb.4067:                             ;   in Loop: Header=BB2_3799 Depth=3
	v_cmp_eq_u16_sdwa s74, v69, v103 src0_sel:BYTE_0 src1_sel:DWORD
	s_mov_b32 s16, -1
	s_and_saveexec_b32 s73, s74
; %bb.4068:                             ;   in Loop: Header=BB2_3799 Depth=3
	s_xor_b32 s16, exec_lo, -1
; %bb.4069:                             ;   in Loop: Header=BB2_3799 Depth=3
	s_or_b32 exec_lo, exec_lo, s73
	s_and_b32 s16, s16, exec_lo
	s_or_saveexec_b32 s23, s23
	v_mov_b32_e32 v62, 0x7f800001
	s_xor_b32 exec_lo, exec_lo, s23
	s_cbranch_execnz .LBB2_4146
.LBB2_4070:                             ;   in Loop: Header=BB2_3799 Depth=3
	s_or_b32 exec_lo, exec_lo, s23
	s_and_saveexec_b32 s23, s16
	s_cbranch_execz .LBB2_4072
.LBB2_4071:                             ;   in Loop: Header=BB2_3799 Depth=3
	v_and_b32_e32 v62, 7, v69
	v_lshrrev_b16 v76, 3, v69
	v_ffbh_u32_e32 v73, v62
	v_and_b32_e32 v76, 15, v76
	v_min_u32_e32 v73, 32, v73
	v_cmp_eq_u32_e32 vcc_lo, 0, v76
	v_subrev_nc_u32_e32 v78, 28, v73
	v_sub_nc_u32_e32 v73, 29, v73
	v_lshlrev_b32_e32 v78, v78, v69
	v_lshlrev_b32_e32 v69, 24, v69
	v_cndmask_b32_e32 v73, v76, v73, vcc_lo
	v_and_b32_e32 v78, 7, v78
	v_and_b32_e32 v69, 0x80000000, v69
	v_lshl_add_u32 v73, v73, 23, 0x3b800000
	v_cndmask_b32_e32 v62, v62, v78, vcc_lo
	v_lshlrev_b32_e32 v62, 20, v62
	v_or3_b32 v62, v69, v73, v62
.LBB2_4072:                             ;   in Loop: Header=BB2_3799 Depth=3
	s_or_b32 exec_lo, exec_lo, s23
	s_waitcnt vmcnt(0) lgkmcnt(0)
	v_cmp_gt_i16_sdwa s23, v68, v102 src0_sel:BYTE_0 src1_sel:DWORD
	s_mov_b32 s16, 0
	s_and_saveexec_b32 s73, s23
	s_xor_b32 s23, exec_lo, s73
	s_cbranch_execz .LBB2_4147
; %bb.4073:                             ;   in Loop: Header=BB2_3799 Depth=3
	v_cmp_eq_u16_sdwa s74, v68, v103 src0_sel:BYTE_0 src1_sel:DWORD
	s_mov_b32 s16, -1
	s_and_saveexec_b32 s73, s74
; %bb.4074:                             ;   in Loop: Header=BB2_3799 Depth=3
	s_xor_b32 s16, exec_lo, -1
; %bb.4075:                             ;   in Loop: Header=BB2_3799 Depth=3
	s_or_b32 exec_lo, exec_lo, s73
	s_and_b32 s16, s16, exec_lo
	s_or_saveexec_b32 s23, s23
	v_mov_b32_e32 v69, 0x7f800001
	s_xor_b32 exec_lo, exec_lo, s23
	s_cbranch_execnz .LBB2_4148
.LBB2_4076:                             ;   in Loop: Header=BB2_3799 Depth=3
	s_or_b32 exec_lo, exec_lo, s23
	s_and_saveexec_b32 s23, s16
	s_cbranch_execz .LBB2_4078
.LBB2_4077:                             ;   in Loop: Header=BB2_3799 Depth=3
	v_and_b32_e32 v69, 7, v68
	v_lshrrev_b16 v76, 3, v68
	v_ffbh_u32_e32 v73, v69
	v_and_b32_e32 v76, 15, v76
	v_min_u32_e32 v73, 32, v73
	v_cmp_eq_u32_e32 vcc_lo, 0, v76
	v_subrev_nc_u32_e32 v78, 28, v73
	v_sub_nc_u32_e32 v73, 29, v73
	v_lshlrev_b32_e32 v78, v78, v68
	v_lshlrev_b32_e32 v68, 24, v68
	v_cndmask_b32_e32 v73, v76, v73, vcc_lo
	v_and_b32_e32 v78, 7, v78
	v_and_b32_e32 v68, 0x80000000, v68
	v_lshl_add_u32 v73, v73, 23, 0x3b800000
	v_cndmask_b32_e32 v69, v69, v78, vcc_lo
	v_lshlrev_b32_e32 v69, 20, v69
	v_or3_b32 v69, v68, v73, v69
.LBB2_4078:                             ;   in Loop: Header=BB2_3799 Depth=3
	s_or_b32 exec_lo, exec_lo, s23
	v_max_f32_e32 v68, v69, v69
	v_max_f32_e32 v69, v62, v62
	v_min_f32_e32 v62, v69, v68
.LBB2_4079:                             ;   in Loop: Header=BB2_3799 Depth=3
	s_waitcnt vmcnt(0) lgkmcnt(0)
	v_and_b32_e32 v68, 0x7f800000, v62
	v_cmp_ne_u32_e32 vcc_lo, 0x7f800000, v68
	v_mov_b32_e32 v68, 0x80
	s_and_saveexec_b32 s23, vcc_lo
	s_cbranch_execz .LBB2_3798
; %bb.4080:                             ;   in Loop: Header=BB2_3799 Depth=3
	v_mov_b32_e32 v68, 0
	s_mov_b32 s73, exec_lo
	v_cmpx_ne_u32_e32 0, v62
	s_cbranch_execz .LBB2_3797
; %bb.4081:                             ;   in Loop: Header=BB2_3799 Depth=3
	v_bfe_u32 v68, v62, 23, 8
	v_and_b32_e32 v69, 0x7fffff, v62
	v_sub_nc_u32_e32 v73, 0x78, v68
	v_cmp_gt_u32_e32 vcc_lo, 0x79, v68
	v_or_b32_e32 v76, 0x800000, v69
	v_cndmask_b32_e32 v73, 0, v73, vcc_lo
	v_cmp_eq_u32_e32 vcc_lo, 0, v68
	v_add_nc_u32_e32 v68, 0xffffff89, v68
	v_cndmask_b32_e64 v73, v73, 0x77, vcc_lo
	v_cndmask_b32_e32 v69, v76, v69, vcc_lo
	v_cndmask_b32_e64 v68, v68, 0xffffff8a, vcc_lo
	v_lshl_add_u32 v76, 0x100000, v73, -1
	v_lshrrev_b32_e32 v78, v73, v69
	v_lshlrev_b32_e64 v88, v73, 0x80000
	v_add_nc_u32_e32 v73, v73, v68
	v_and_b32_e32 v69, v76, v69
	v_bfe_u32 v79, v78, 20, 1
	v_cmp_eq_u32_e64 s16, v69, v88
	v_add_nc_u32_e32 v76, -1, v79
	v_cndmask_b32_e64 v69, 0, v76, s16
	v_lshrrev_b32_e32 v76, 23, v78
	s_mov_b32 s16, exec_lo
	v_add_nc_u32_e32 v69, v69, v78
	v_xor_b32_e32 v76, 1, v76
	v_and_b32_e32 v68, 0xfffff, v69
	v_add_nc_u32_e32 v69, v68, v78
                                        ; implicit-def: $vgpr68
	v_cmpx_ne_u32_e64 v73, v76
	s_xor_b32 s16, exec_lo, s16
; %bb.4082:                             ;   in Loop: Header=BB2_3799 Depth=3
	v_cmp_lt_u32_e32 vcc_lo, 0xffffff, v69
	v_sub_nc_u32_e32 v68, v73, v76
	v_cndmask_b32_e64 v73, 0, 1, vcc_lo
	v_add_co_ci_u32_e64 v68, null, 0, v68, vcc_lo
	v_lshrrev_b32_e32 v69, v73, v69
; %bb.4083:                             ;   in Loop: Header=BB2_3799 Depth=3
	s_andn2_saveexec_b32 s16, s16
	s_cbranch_execz .LBB2_3796
; %bb.4084:                             ;   in Loop: Header=BB2_3799 Depth=3
	v_bfe_u32 v68, v69, 23, 1
	s_branch .LBB2_3796
.LBB2_4085:                             ;   in Loop: Header=BB2_3799 Depth=3
	s_or_saveexec_b32 s23, s23
	v_mov_b32_e32 v90, 0x7f800001
	s_xor_b32 exec_lo, exec_lo, s23
	s_cbranch_execz .LBB2_3804
.LBB2_4086:                             ;   in Loop: Header=BB2_3799 Depth=3
	v_cmp_ne_u16_sdwa s73, v89, v2 src0_sel:BYTE_0 src1_sel:DWORD
	v_mov_b32_e32 v90, 0
	s_andn2_b32 s16, s16, exec_lo
	s_and_b32 s73, s73, exec_lo
	s_or_b32 s16, s16, s73
	s_or_b32 exec_lo, exec_lo, s23
	s_and_saveexec_b32 s23, s16
	s_cbranch_execnz .LBB2_3805
	s_branch .LBB2_3806
.LBB2_4087:                             ;   in Loop: Header=BB2_3799 Depth=3
	s_or_saveexec_b32 s23, s23
	v_mov_b32_e32 v91, 0x7f800001
	s_xor_b32 exec_lo, exec_lo, s23
	s_cbranch_execz .LBB2_3810
.LBB2_4088:                             ;   in Loop: Header=BB2_3799 Depth=3
	v_cmp_ne_u16_sdwa s73, v60, v2 src0_sel:BYTE_0 src1_sel:DWORD
	v_mov_b32_e32 v91, 0
	s_andn2_b32 s16, s16, exec_lo
	s_and_b32 s73, s73, exec_lo
	s_or_b32 s16, s16, s73
	s_or_b32 exec_lo, exec_lo, s23
	s_and_saveexec_b32 s23, s16
	s_cbranch_execnz .LBB2_3811
	s_branch .LBB2_3812
.LBB2_4089:                             ;   in Loop: Header=BB2_3799 Depth=3
	s_or_saveexec_b32 s23, s23
	v_mov_b32_e32 v90, 0x7f800001
	s_xor_b32 exec_lo, exec_lo, s23
	s_cbranch_execz .LBB2_3818
.LBB2_4090:                             ;   in Loop: Header=BB2_3799 Depth=3
	v_cmp_ne_u16_sdwa s73, v89, v2 src0_sel:BYTE_0 src1_sel:DWORD
	v_mov_b32_e32 v90, 0
	s_andn2_b32 s16, s16, exec_lo
	s_and_b32 s73, s73, exec_lo
	s_or_b32 s16, s16, s73
	s_or_b32 exec_lo, exec_lo, s23
	s_and_saveexec_b32 s23, s16
	s_cbranch_execnz .LBB2_3819
	s_branch .LBB2_3820
.LBB2_4091:                             ;   in Loop: Header=BB2_3799 Depth=3
	s_or_saveexec_b32 s23, s23
	v_mov_b32_e32 v89, 0x7f800001
	s_xor_b32 exec_lo, exec_lo, s23
	s_cbranch_execz .LBB2_3824
.LBB2_4092:                             ;   in Loop: Header=BB2_3799 Depth=3
	v_cmp_ne_u16_sdwa s73, v60, v2 src0_sel:BYTE_0 src1_sel:DWORD
	v_mov_b32_e32 v89, 0
	s_andn2_b32 s16, s16, exec_lo
	s_and_b32 s73, s73, exec_lo
	s_or_b32 s16, s16, s73
	s_or_b32 exec_lo, exec_lo, s23
	s_and_saveexec_b32 s23, s16
	s_cbranch_execnz .LBB2_3825
	s_branch .LBB2_3826
.LBB2_4093:                             ;   in Loop: Header=BB2_3799 Depth=3
	s_or_saveexec_b32 s23, s23
	v_mov_b32_e32 v89, 0x7f800001
	s_xor_b32 exec_lo, exec_lo, s23
	s_cbranch_execz .LBB2_3840
.LBB2_4094:                             ;   in Loop: Header=BB2_3799 Depth=3
	v_cmp_ne_u16_sdwa s73, v88, v2 src0_sel:BYTE_0 src1_sel:DWORD
	v_mov_b32_e32 v89, 0
	s_andn2_b32 s16, s16, exec_lo
	s_and_b32 s73, s73, exec_lo
	s_or_b32 s16, s16, s73
	s_or_b32 exec_lo, exec_lo, s23
	s_and_saveexec_b32 s23, s16
	s_cbranch_execnz .LBB2_3841
	s_branch .LBB2_3842
.LBB2_4095:                             ;   in Loop: Header=BB2_3799 Depth=3
	s_or_saveexec_b32 s23, s23
	v_mov_b32_e32 v90, 0x7f800001
	s_xor_b32 exec_lo, exec_lo, s23
	s_cbranch_execz .LBB2_3846
.LBB2_4096:                             ;   in Loop: Header=BB2_3799 Depth=3
	v_cmp_ne_u16_sdwa s73, v63, v2 src0_sel:BYTE_0 src1_sel:DWORD
	v_mov_b32_e32 v90, 0
	s_andn2_b32 s16, s16, exec_lo
	s_and_b32 s73, s73, exec_lo
	s_or_b32 s16, s16, s73
	s_or_b32 exec_lo, exec_lo, s23
	s_and_saveexec_b32 s23, s16
	s_cbranch_execnz .LBB2_3847
	s_branch .LBB2_3848
.LBB2_4097:                             ;   in Loop: Header=BB2_3799 Depth=3
	s_or_saveexec_b32 s23, s23
	v_mov_b32_e32 v89, 0x7f800001
	s_xor_b32 exec_lo, exec_lo, s23
	s_cbranch_execz .LBB2_3854
.LBB2_4098:                             ;   in Loop: Header=BB2_3799 Depth=3
	v_cmp_ne_u16_sdwa s73, v88, v2 src0_sel:BYTE_0 src1_sel:DWORD
	v_mov_b32_e32 v89, 0
	s_andn2_b32 s16, s16, exec_lo
	s_and_b32 s73, s73, exec_lo
	s_or_b32 s16, s16, s73
	s_or_b32 exec_lo, exec_lo, s23
	s_and_saveexec_b32 s23, s16
	s_cbranch_execnz .LBB2_3855
	s_branch .LBB2_3856
.LBB2_4099:                             ;   in Loop: Header=BB2_3799 Depth=3
	s_or_saveexec_b32 s23, s23
	v_mov_b32_e32 v88, 0x7f800001
	s_xor_b32 exec_lo, exec_lo, s23
	s_cbranch_execz .LBB2_3860
.LBB2_4100:                             ;   in Loop: Header=BB2_3799 Depth=3
	v_cmp_ne_u16_sdwa s73, v63, v2 src0_sel:BYTE_0 src1_sel:DWORD
	v_mov_b32_e32 v88, 0
	s_andn2_b32 s16, s16, exec_lo
	s_and_b32 s73, s73, exec_lo
	s_or_b32 s16, s16, s73
	s_or_b32 exec_lo, exec_lo, s23
	s_and_saveexec_b32 s23, s16
	s_cbranch_execnz .LBB2_3861
	s_branch .LBB2_3862
.LBB2_4101:                             ;   in Loop: Header=BB2_3799 Depth=3
	s_or_saveexec_b32 s23, s23
	v_mov_b32_e32 v88, 0x7f800001
	s_xor_b32 exec_lo, exec_lo, s23
	s_cbranch_execz .LBB2_3876
.LBB2_4102:                             ;   in Loop: Header=BB2_3799 Depth=3
	v_cmp_ne_u16_sdwa s73, v79, v2 src0_sel:BYTE_0 src1_sel:DWORD
	v_mov_b32_e32 v88, 0
	s_andn2_b32 s16, s16, exec_lo
	s_and_b32 s73, s73, exec_lo
	s_or_b32 s16, s16, s73
	s_or_b32 exec_lo, exec_lo, s23
	s_and_saveexec_b32 s23, s16
	s_cbranch_execnz .LBB2_3877
	s_branch .LBB2_3878
.LBB2_4103:                             ;   in Loop: Header=BB2_3799 Depth=3
	s_or_saveexec_b32 s23, s23
	v_mov_b32_e32 v89, 0x7f800001
	s_xor_b32 exec_lo, exec_lo, s23
	s_cbranch_execz .LBB2_3882
.LBB2_4104:                             ;   in Loop: Header=BB2_3799 Depth=3
	v_cmp_ne_u16_sdwa s73, v74, v2 src0_sel:BYTE_0 src1_sel:DWORD
	v_mov_b32_e32 v89, 0
	s_andn2_b32 s16, s16, exec_lo
	s_and_b32 s73, s73, exec_lo
	s_or_b32 s16, s16, s73
	s_or_b32 exec_lo, exec_lo, s23
	s_and_saveexec_b32 s23, s16
	s_cbranch_execnz .LBB2_3883
	s_branch .LBB2_3884
.LBB2_4105:                             ;   in Loop: Header=BB2_3799 Depth=3
	s_or_saveexec_b32 s23, s23
	v_mov_b32_e32 v88, 0x7f800001
	s_xor_b32 exec_lo, exec_lo, s23
	s_cbranch_execz .LBB2_3890
.LBB2_4106:                             ;   in Loop: Header=BB2_3799 Depth=3
	v_cmp_ne_u16_sdwa s73, v79, v2 src0_sel:BYTE_0 src1_sel:DWORD
	v_mov_b32_e32 v88, 0
	s_andn2_b32 s16, s16, exec_lo
	s_and_b32 s73, s73, exec_lo
	s_or_b32 s16, s16, s73
	s_or_b32 exec_lo, exec_lo, s23
	s_and_saveexec_b32 s23, s16
	s_cbranch_execnz .LBB2_3891
	s_branch .LBB2_3892
.LBB2_4107:                             ;   in Loop: Header=BB2_3799 Depth=3
	s_or_saveexec_b32 s23, s23
	v_mov_b32_e32 v79, 0x7f800001
	s_xor_b32 exec_lo, exec_lo, s23
	s_cbranch_execz .LBB2_3896
.LBB2_4108:                             ;   in Loop: Header=BB2_3799 Depth=3
	v_cmp_ne_u16_sdwa s73, v74, v2 src0_sel:BYTE_0 src1_sel:DWORD
	v_mov_b32_e32 v79, 0
	s_andn2_b32 s16, s16, exec_lo
	s_and_b32 s73, s73, exec_lo
	s_or_b32 s16, s16, s73
	s_or_b32 exec_lo, exec_lo, s23
	s_and_saveexec_b32 s23, s16
	s_cbranch_execnz .LBB2_3897
	s_branch .LBB2_3898
.LBB2_4109:                             ;   in Loop: Header=BB2_3799 Depth=3
	s_or_saveexec_b32 s23, s23
	v_mov_b32_e32 v79, 0x7f800001
	s_xor_b32 exec_lo, exec_lo, s23
	s_cbranch_execz .LBB2_3912
.LBB2_4110:                             ;   in Loop: Header=BB2_3799 Depth=3
	v_cmp_ne_u16_sdwa s73, v78, v2 src0_sel:BYTE_0 src1_sel:DWORD
	v_mov_b32_e32 v79, 0
	s_andn2_b32 s16, s16, exec_lo
	s_and_b32 s73, s73, exec_lo
	s_or_b32 s16, s16, s73
	s_or_b32 exec_lo, exec_lo, s23
	s_and_saveexec_b32 s23, s16
	s_cbranch_execnz .LBB2_3913
	s_branch .LBB2_3914
.LBB2_4111:                             ;   in Loop: Header=BB2_3799 Depth=3
	s_or_saveexec_b32 s23, s23
	v_mov_b32_e32 v88, 0x7f800001
	s_xor_b32 exec_lo, exec_lo, s23
	s_cbranch_execz .LBB2_3918
.LBB2_4112:                             ;   in Loop: Header=BB2_3799 Depth=3
	v_cmp_ne_u16_sdwa s73, v77, v2 src0_sel:BYTE_0 src1_sel:DWORD
	v_mov_b32_e32 v88, 0
	s_andn2_b32 s16, s16, exec_lo
	s_and_b32 s73, s73, exec_lo
	s_or_b32 s16, s16, s73
	s_or_b32 exec_lo, exec_lo, s23
	s_and_saveexec_b32 s23, s16
	s_cbranch_execnz .LBB2_3919
	s_branch .LBB2_3920
.LBB2_4113:                             ;   in Loop: Header=BB2_3799 Depth=3
	s_or_saveexec_b32 s23, s23
	v_mov_b32_e32 v79, 0x7f800001
	s_xor_b32 exec_lo, exec_lo, s23
	s_cbranch_execz .LBB2_3926
.LBB2_4114:                             ;   in Loop: Header=BB2_3799 Depth=3
	v_cmp_ne_u16_sdwa s73, v78, v2 src0_sel:BYTE_0 src1_sel:DWORD
	v_mov_b32_e32 v79, 0
	s_andn2_b32 s16, s16, exec_lo
	s_and_b32 s73, s73, exec_lo
	s_or_b32 s16, s16, s73
	s_or_b32 exec_lo, exec_lo, s23
	s_and_saveexec_b32 s23, s16
	s_cbranch_execnz .LBB2_3927
	s_branch .LBB2_3928
.LBB2_4115:                             ;   in Loop: Header=BB2_3799 Depth=3
	s_or_saveexec_b32 s23, s23
	v_mov_b32_e32 v78, 0x7f800001
	s_xor_b32 exec_lo, exec_lo, s23
	s_cbranch_execz .LBB2_3932
.LBB2_4116:                             ;   in Loop: Header=BB2_3799 Depth=3
	v_cmp_ne_u16_sdwa s73, v77, v2 src0_sel:BYTE_0 src1_sel:DWORD
	v_mov_b32_e32 v78, 0
	s_andn2_b32 s16, s16, exec_lo
	s_and_b32 s73, s73, exec_lo
	s_or_b32 s16, s16, s73
	s_or_b32 exec_lo, exec_lo, s23
	s_and_saveexec_b32 s23, s16
	s_cbranch_execnz .LBB2_3933
	s_branch .LBB2_3934
.LBB2_4117:                             ;   in Loop: Header=BB2_3799 Depth=3
	s_or_saveexec_b32 s23, s23
	v_mov_b32_e32 v78, 0x7f800001
	s_xor_b32 exec_lo, exec_lo, s23
	s_cbranch_execz .LBB2_3948
.LBB2_4118:                             ;   in Loop: Header=BB2_3799 Depth=3
	v_cmp_ne_u16_sdwa s73, v76, v2 src0_sel:BYTE_0 src1_sel:DWORD
	v_mov_b32_e32 v78, 0
	s_andn2_b32 s16, s16, exec_lo
	s_and_b32 s73, s73, exec_lo
	s_or_b32 s16, s16, s73
	s_or_b32 exec_lo, exec_lo, s23
	s_and_saveexec_b32 s23, s16
	s_cbranch_execnz .LBB2_3949
	s_branch .LBB2_3950
.LBB2_4119:                             ;   in Loop: Header=BB2_3799 Depth=3
	s_or_saveexec_b32 s23, s23
	v_mov_b32_e32 v79, 0x7f800001
	s_xor_b32 exec_lo, exec_lo, s23
	s_cbranch_execz .LBB2_3954
.LBB2_4120:                             ;   in Loop: Header=BB2_3799 Depth=3
	v_cmp_ne_u16_sdwa s73, v75, v2 src0_sel:BYTE_0 src1_sel:DWORD
	v_mov_b32_e32 v79, 0
	s_andn2_b32 s16, s16, exec_lo
	s_and_b32 s73, s73, exec_lo
	s_or_b32 s16, s16, s73
	s_or_b32 exec_lo, exec_lo, s23
	s_and_saveexec_b32 s23, s16
	s_cbranch_execnz .LBB2_3955
	s_branch .LBB2_3956
.LBB2_4121:                             ;   in Loop: Header=BB2_3799 Depth=3
	s_or_saveexec_b32 s23, s23
	v_mov_b32_e32 v78, 0x7f800001
	s_xor_b32 exec_lo, exec_lo, s23
	s_cbranch_execz .LBB2_3962
.LBB2_4122:                             ;   in Loop: Header=BB2_3799 Depth=3
	v_cmp_ne_u16_sdwa s73, v76, v2 src0_sel:BYTE_0 src1_sel:DWORD
	v_mov_b32_e32 v78, 0
	s_andn2_b32 s16, s16, exec_lo
	s_and_b32 s73, s73, exec_lo
	s_or_b32 s16, s16, s73
	s_or_b32 exec_lo, exec_lo, s23
	s_and_saveexec_b32 s23, s16
	s_cbranch_execnz .LBB2_3963
	s_branch .LBB2_3964
.LBB2_4123:                             ;   in Loop: Header=BB2_3799 Depth=3
	s_or_saveexec_b32 s23, s23
	v_mov_b32_e32 v76, 0x7f800001
	s_xor_b32 exec_lo, exec_lo, s23
	s_cbranch_execz .LBB2_3968
.LBB2_4124:                             ;   in Loop: Header=BB2_3799 Depth=3
	v_cmp_ne_u16_sdwa s73, v75, v2 src0_sel:BYTE_0 src1_sel:DWORD
	v_mov_b32_e32 v76, 0
	s_andn2_b32 s16, s16, exec_lo
	s_and_b32 s73, s73, exec_lo
	s_or_b32 s16, s16, s73
	s_or_b32 exec_lo, exec_lo, s23
	s_and_saveexec_b32 s23, s16
	s_cbranch_execnz .LBB2_3969
	s_branch .LBB2_3970
.LBB2_4125:                             ;   in Loop: Header=BB2_3799 Depth=3
	s_or_saveexec_b32 s23, s23
	v_mov_b32_e32 v76, 0x7f800001
	s_xor_b32 exec_lo, exec_lo, s23
	s_cbranch_execz .LBB2_3984
.LBB2_4126:                             ;   in Loop: Header=BB2_3799 Depth=3
	v_cmp_ne_u16_sdwa s73, v73, v2 src0_sel:BYTE_0 src1_sel:DWORD
	v_mov_b32_e32 v76, 0
	s_andn2_b32 s16, s16, exec_lo
	s_and_b32 s73, s73, exec_lo
	s_or_b32 s16, s16, s73
	s_or_b32 exec_lo, exec_lo, s23
	s_and_saveexec_b32 s23, s16
	s_cbranch_execnz .LBB2_3985
	s_branch .LBB2_3986
.LBB2_4127:                             ;   in Loop: Header=BB2_3799 Depth=3
	s_or_saveexec_b32 s23, s23
	v_mov_b32_e32 v78, 0x7f800001
	s_xor_b32 exec_lo, exec_lo, s23
	s_cbranch_execz .LBB2_3990
.LBB2_4128:                             ;   in Loop: Header=BB2_3799 Depth=3
	v_cmp_ne_u16_sdwa s73, v72, v2 src0_sel:BYTE_0 src1_sel:DWORD
	v_mov_b32_e32 v78, 0
	s_andn2_b32 s16, s16, exec_lo
	s_and_b32 s73, s73, exec_lo
	s_or_b32 s16, s16, s73
	s_or_b32 exec_lo, exec_lo, s23
	s_and_saveexec_b32 s23, s16
	s_cbranch_execnz .LBB2_3991
	s_branch .LBB2_3992
.LBB2_4129:                             ;   in Loop: Header=BB2_3799 Depth=3
	s_or_saveexec_b32 s23, s23
	v_mov_b32_e32 v76, 0x7f800001
	s_xor_b32 exec_lo, exec_lo, s23
	s_cbranch_execz .LBB2_3998
.LBB2_4130:                             ;   in Loop: Header=BB2_3799 Depth=3
	v_cmp_ne_u16_sdwa s73, v73, v2 src0_sel:BYTE_0 src1_sel:DWORD
	v_mov_b32_e32 v76, 0
	s_andn2_b32 s16, s16, exec_lo
	s_and_b32 s73, s73, exec_lo
	s_or_b32 s16, s16, s73
	s_or_b32 exec_lo, exec_lo, s23
	s_and_saveexec_b32 s23, s16
	s_cbranch_execnz .LBB2_3999
	s_branch .LBB2_4000
.LBB2_4131:                             ;   in Loop: Header=BB2_3799 Depth=3
	s_or_saveexec_b32 s23, s23
	v_mov_b32_e32 v73, 0x7f800001
	s_xor_b32 exec_lo, exec_lo, s23
	s_cbranch_execz .LBB2_4004
.LBB2_4132:                             ;   in Loop: Header=BB2_3799 Depth=3
	v_cmp_ne_u16_sdwa s73, v72, v2 src0_sel:BYTE_0 src1_sel:DWORD
	v_mov_b32_e32 v73, 0
	s_andn2_b32 s16, s16, exec_lo
	s_and_b32 s73, s73, exec_lo
	s_or_b32 s16, s16, s73
	s_or_b32 exec_lo, exec_lo, s23
	s_and_saveexec_b32 s23, s16
	s_cbranch_execnz .LBB2_4005
	s_branch .LBB2_4006
.LBB2_4133:                             ;   in Loop: Header=BB2_3799 Depth=3
	s_or_saveexec_b32 s23, s23
	v_mov_b32_e32 v73, 0x7f800001
	s_xor_b32 exec_lo, exec_lo, s23
	s_cbranch_execz .LBB2_4020
.LBB2_4134:                             ;   in Loop: Header=BB2_3799 Depth=3
	v_cmp_ne_u16_sdwa s73, v62, v2 src0_sel:BYTE_0 src1_sel:DWORD
	v_mov_b32_e32 v73, 0
	s_andn2_b32 s16, s16, exec_lo
	s_and_b32 s73, s73, exec_lo
	s_or_b32 s16, s16, s73
	s_or_b32 exec_lo, exec_lo, s23
	s_and_saveexec_b32 s23, s16
	s_cbranch_execnz .LBB2_4021
	s_branch .LBB2_4022
.LBB2_4135:                             ;   in Loop: Header=BB2_3799 Depth=3
	s_or_saveexec_b32 s23, s23
	v_mov_b32_e32 v76, 0x7f800001
	s_xor_b32 exec_lo, exec_lo, s23
	s_cbranch_execz .LBB2_4026
.LBB2_4136:                             ;   in Loop: Header=BB2_3799 Depth=3
	v_cmp_ne_u16_sdwa s73, v61, v2 src0_sel:BYTE_0 src1_sel:DWORD
	v_mov_b32_e32 v76, 0
	s_andn2_b32 s16, s16, exec_lo
	s_and_b32 s73, s73, exec_lo
	s_or_b32 s16, s16, s73
	s_or_b32 exec_lo, exec_lo, s23
	s_and_saveexec_b32 s23, s16
	s_cbranch_execnz .LBB2_4027
	s_branch .LBB2_4028
.LBB2_4137:                             ;   in Loop: Header=BB2_3799 Depth=3
	s_or_saveexec_b32 s23, s23
	v_mov_b32_e32 v73, 0x7f800001
	s_xor_b32 exec_lo, exec_lo, s23
	s_cbranch_execz .LBB2_4034
.LBB2_4138:                             ;   in Loop: Header=BB2_3799 Depth=3
	v_cmp_ne_u16_sdwa s73, v62, v2 src0_sel:BYTE_0 src1_sel:DWORD
	v_mov_b32_e32 v73, 0
	s_andn2_b32 s16, s16, exec_lo
	s_and_b32 s73, s73, exec_lo
	s_or_b32 s16, s16, s73
	s_or_b32 exec_lo, exec_lo, s23
	s_and_saveexec_b32 s23, s16
	s_cbranch_execnz .LBB2_4035
	s_branch .LBB2_4036
.LBB2_4139:                             ;   in Loop: Header=BB2_3799 Depth=3
	s_or_saveexec_b32 s23, s23
	v_mov_b32_e32 v62, 0x7f800001
	s_xor_b32 exec_lo, exec_lo, s23
	s_cbranch_execz .LBB2_4040
.LBB2_4140:                             ;   in Loop: Header=BB2_3799 Depth=3
	v_cmp_ne_u16_sdwa s73, v61, v2 src0_sel:BYTE_0 src1_sel:DWORD
	v_mov_b32_e32 v62, 0
	s_andn2_b32 s16, s16, exec_lo
	s_and_b32 s73, s73, exec_lo
	s_or_b32 s16, s16, s73
	s_or_b32 exec_lo, exec_lo, s23
	s_and_saveexec_b32 s23, s16
	s_cbranch_execnz .LBB2_4041
	s_branch .LBB2_4042
.LBB2_4141:                             ;   in Loop: Header=BB2_3799 Depth=3
	s_or_saveexec_b32 s23, s23
	v_mov_b32_e32 v62, 0x7f800001
	s_xor_b32 exec_lo, exec_lo, s23
	s_cbranch_execz .LBB2_4056
.LBB2_4142:                             ;   in Loop: Header=BB2_3799 Depth=3
	v_cmp_ne_u16_sdwa s73, v69, v2 src0_sel:BYTE_0 src1_sel:DWORD
	v_mov_b32_e32 v62, 0
	s_andn2_b32 s16, s16, exec_lo
	s_and_b32 s73, s73, exec_lo
	s_or_b32 s16, s16, s73
	s_or_b32 exec_lo, exec_lo, s23
	s_and_saveexec_b32 s23, s16
	s_cbranch_execnz .LBB2_4057
	s_branch .LBB2_4058
.LBB2_4143:                             ;   in Loop: Header=BB2_3799 Depth=3
	s_or_saveexec_b32 s23, s23
	v_mov_b32_e32 v73, 0x7f800001
	s_xor_b32 exec_lo, exec_lo, s23
	s_cbranch_execz .LBB2_4062
.LBB2_4144:                             ;   in Loop: Header=BB2_3799 Depth=3
	v_cmp_ne_u16_sdwa s73, v68, v2 src0_sel:BYTE_0 src1_sel:DWORD
	v_mov_b32_e32 v73, 0
	s_andn2_b32 s16, s16, exec_lo
	s_and_b32 s73, s73, exec_lo
	s_or_b32 s16, s16, s73
	s_or_b32 exec_lo, exec_lo, s23
	s_and_saveexec_b32 s23, s16
	s_cbranch_execnz .LBB2_4063
	s_branch .LBB2_4064
.LBB2_4145:                             ;   in Loop: Header=BB2_3799 Depth=3
	s_or_saveexec_b32 s23, s23
	v_mov_b32_e32 v62, 0x7f800001
	s_xor_b32 exec_lo, exec_lo, s23
	s_cbranch_execz .LBB2_4070
.LBB2_4146:                             ;   in Loop: Header=BB2_3799 Depth=3
	v_cmp_ne_u16_sdwa s73, v69, v2 src0_sel:BYTE_0 src1_sel:DWORD
	v_mov_b32_e32 v62, 0
	s_andn2_b32 s16, s16, exec_lo
	s_and_b32 s73, s73, exec_lo
	s_or_b32 s16, s16, s73
	s_or_b32 exec_lo, exec_lo, s23
	s_and_saveexec_b32 s23, s16
	s_cbranch_execnz .LBB2_4071
	s_branch .LBB2_4072
.LBB2_4147:                             ;   in Loop: Header=BB2_3799 Depth=3
	s_or_saveexec_b32 s23, s23
	v_mov_b32_e32 v69, 0x7f800001
	s_xor_b32 exec_lo, exec_lo, s23
	s_cbranch_execz .LBB2_4076
.LBB2_4148:                             ;   in Loop: Header=BB2_3799 Depth=3
	v_cmp_ne_u16_sdwa s73, v68, v2 src0_sel:BYTE_0 src1_sel:DWORD
	v_mov_b32_e32 v69, 0
	s_andn2_b32 s16, s16, exec_lo
	s_and_b32 s73, s73, exec_lo
	s_or_b32 s16, s16, s73
	s_or_b32 exec_lo, exec_lo, s23
	s_and_saveexec_b32 s23, s16
	s_cbranch_execnz .LBB2_4077
	s_branch .LBB2_4078
.LBB2_4149:                             ;   in Loop: Header=BB2_2295 Depth=2
	s_or_b32 exec_lo, exec_lo, s18
.LBB2_4150:                             ;   in Loop: Header=BB2_2295 Depth=2
	s_or_b32 exec_lo, exec_lo, s17
	v_lshlrev_b32_e32 v8, 8, v59
	v_cmp_ne_u32_e32 vcc_lo, v71, v8
	s_and_b32 exec_lo, exec_lo, vcc_lo
	s_cbranch_execz .LBB2_4200
; %bb.4151:                             ;   in Loop: Header=BB2_2295 Depth=2
	v_lshlrev_b32_e32 v9, 5, v81
	v_lshlrev_b32_e32 v10, 5, v58
	v_sub_nc_u32_e32 v9, v80, v9
	v_sub_nc_u32_e32 v9, v9, v10
	v_add_nc_u32_e32 v8, v8, v9
	v_sub_nc_u32_e32 v68, v71, v8
	v_cmp_lt_i32_e32 vcc_lo, 0, v68
	s_and_b32 exec_lo, exec_lo, vcc_lo
	s_cbranch_execz .LBB2_4200
; %bb.4152:                             ;   in Loop: Header=BB2_2295 Depth=2
	s_trap 2
	ds_read_b128 v[9:12], v0
	v_add_nc_u32_e32 v13, v8, v70
	s_bitcmp1_b32 s72, 0
	s_mov_b32 s23, 0
	s_cselect_b32 s73, -1, 0
	v_ashrrev_i32_e32 v14, 31, v13
	s_waitcnt lgkmcnt(0)
	v_add_co_u32 v8, vcc_lo, v9, v13
	v_add_co_ci_u32_e64 v9, null, v10, v14, vcc_lo
	v_add_co_u32 v10, vcc_lo, v11, v13
	v_add_co_ci_u32_e64 v11, null, v12, v14, vcc_lo
	v_mov_b32_e32 v13, v9
	v_mov_b32_e32 v12, v8
	;; [unrolled: 1-line block ×4, first 2 shown]
.LBB2_4153:                             ;   Parent Loop BB2_47 Depth=1
                                        ;     Parent Loop BB2_2295 Depth=2
                                        ; =>    This Loop Header: Depth=3
                                        ;         Child Loop BB2_4190 Depth 4
	flat_load_ubyte v70, v[14:15] slc
	flat_load_ubyte v71, v[12:13] slc
	s_mov_b32 s16, -1
	s_waitcnt vmcnt(1) lgkmcnt(1)
	v_and_b32_e32 v69, 7, v70
	v_bfe_u32 v58, v70, 3, 4
	v_lshlrev_b32_e32 v59, 24, v70
	v_ffbh_u32_e32 v80, v69
	v_cmp_eq_u32_e32 vcc_lo, 0, v58
	v_min_u32_e32 v80, 32, v80
	v_subrev_nc_u32_e32 v81, 28, v80
	v_sub_nc_u32_e32 v80, 29, v80
	v_lshlrev_b32_e32 v81, v81, v70
	v_cndmask_b32_e32 v80, v58, v80, vcc_lo
	v_and_b32_e32 v81, 7, v81
	v_lshl_add_u32 v80, v80, 23, 0x3b800000
	v_cndmask_b32_e32 v69, v69, v81, vcc_lo
	v_and_b32_e32 v81, 0x80000000, v59
	s_and_b32 vcc_lo, exec_lo, s73
	v_lshlrev_b32_e32 v69, 20, v69
	v_or3_b32 v69, v81, v80, v69
                                        ; implicit-def: $vgpr80
	s_cbranch_vccz .LBB2_4167
; %bb.4154:                             ;   in Loop: Header=BB2_4153 Depth=3
	s_waitcnt vmcnt(0) lgkmcnt(0)
	v_cmp_gt_i16_sdwa s17, v71, v102 src0_sel:BYTE_0 src1_sel:DWORD
	s_mov_b32 s16, 0
	s_and_saveexec_b32 s18, s17
	s_xor_b32 s17, exec_lo, s18
	s_cbranch_execz .LBB2_4192
; %bb.4155:                             ;   in Loop: Header=BB2_4153 Depth=3
	v_cmp_eq_u16_sdwa s19, v71, v103 src0_sel:BYTE_0 src1_sel:DWORD
	s_mov_b32 s16, -1
	s_and_saveexec_b32 s18, s19
; %bb.4156:                             ;   in Loop: Header=BB2_4153 Depth=3
	s_xor_b32 s16, exec_lo, -1
; %bb.4157:                             ;   in Loop: Header=BB2_4153 Depth=3
	s_or_b32 exec_lo, exec_lo, s18
	s_and_b32 s16, s16, exec_lo
	s_or_saveexec_b32 s17, s17
	v_mov_b32_e32 v80, 0x7f800001
	s_xor_b32 exec_lo, exec_lo, s17
	s_cbranch_execnz .LBB2_4193
.LBB2_4158:                             ;   in Loop: Header=BB2_4153 Depth=3
	s_or_b32 exec_lo, exec_lo, s17
	s_and_saveexec_b32 s17, s16
	s_cbranch_execz .LBB2_4160
.LBB2_4159:                             ;   in Loop: Header=BB2_4153 Depth=3
	v_and_b32_e32 v80, 7, v71
	v_lshrrev_b16 v58, 3, v71
	v_lshlrev_b32_e32 v60, 24, v71
	v_ffbh_u32_e32 v81, v80
	v_and_b32_e32 v58, 15, v58
	v_min_u32_e32 v81, 32, v81
	v_cmp_eq_u32_e32 vcc_lo, 0, v58
	v_subrev_nc_u32_e32 v59, 28, v81
	v_sub_nc_u32_e32 v81, 29, v81
	v_lshlrev_b32_e32 v59, v59, v71
	v_cndmask_b32_e32 v81, v58, v81, vcc_lo
	v_and_b32_e32 v58, 0x80000000, v60
	v_and_b32_e32 v59, 7, v59
	v_lshl_add_u32 v81, v81, 23, 0x3b800000
	v_cndmask_b32_e32 v80, v80, v59, vcc_lo
	v_lshlrev_b32_e32 v80, 20, v80
	v_or3_b32 v80, v58, v81, v80
.LBB2_4160:                             ;   in Loop: Header=BB2_4153 Depth=3
	s_or_b32 exec_lo, exec_lo, s17
	v_cmp_gt_i16_sdwa s17, v70, v102 src0_sel:BYTE_0 src1_sel:DWORD
	s_mov_b32 s16, 0
	s_and_saveexec_b32 s18, s17
	s_xor_b32 s17, exec_lo, s18
	s_cbranch_execz .LBB2_4194
; %bb.4161:                             ;   in Loop: Header=BB2_4153 Depth=3
	v_cmp_eq_u16_sdwa s19, v70, v103 src0_sel:BYTE_0 src1_sel:DWORD
	s_mov_b32 s16, -1
	s_and_saveexec_b32 s18, s19
; %bb.4162:                             ;   in Loop: Header=BB2_4153 Depth=3
	s_xor_b32 s16, exec_lo, -1
; %bb.4163:                             ;   in Loop: Header=BB2_4153 Depth=3
	s_or_b32 exec_lo, exec_lo, s18
	s_and_b32 s16, s16, exec_lo
	s_or_saveexec_b32 s17, s17
	v_mov_b32_e32 v81, 0x7f800001
	s_xor_b32 exec_lo, exec_lo, s17
	s_cbranch_execnz .LBB2_4195
.LBB2_4164:                             ;   in Loop: Header=BB2_4153 Depth=3
	s_or_b32 exec_lo, exec_lo, s17
	s_and_saveexec_b32 s17, s16
.LBB2_4165:                             ;   in Loop: Header=BB2_4153 Depth=3
	v_mov_b32_e32 v81, v69
.LBB2_4166:                             ;   in Loop: Header=BB2_4153 Depth=3
	s_or_b32 exec_lo, exec_lo, s17
	v_max_f32_e32 v81, v81, v81
	v_max_f32_e32 v80, v80, v80
	s_mov_b32 s16, 0
	v_max_f32_e32 v80, v80, v81
.LBB2_4167:                             ;   in Loop: Header=BB2_4153 Depth=3
	s_and_b32 vcc_lo, exec_lo, s16
	s_cbranch_vccz .LBB2_4181
; %bb.4168:                             ;   in Loop: Header=BB2_4153 Depth=3
	s_waitcnt vmcnt(0) lgkmcnt(0)
	v_cmp_gt_i16_sdwa s17, v71, v102 src0_sel:BYTE_0 src1_sel:DWORD
	s_mov_b32 s16, 0
	s_and_saveexec_b32 s18, s17
	s_xor_b32 s17, exec_lo, s18
	s_cbranch_execz .LBB2_4196
; %bb.4169:                             ;   in Loop: Header=BB2_4153 Depth=3
	v_cmp_eq_u16_sdwa s19, v71, v103 src0_sel:BYTE_0 src1_sel:DWORD
	s_mov_b32 s16, -1
	s_and_saveexec_b32 s18, s19
; %bb.4170:                             ;   in Loop: Header=BB2_4153 Depth=3
	s_xor_b32 s16, exec_lo, -1
; %bb.4171:                             ;   in Loop: Header=BB2_4153 Depth=3
	s_or_b32 exec_lo, exec_lo, s18
	s_and_b32 s16, s16, exec_lo
	s_or_saveexec_b32 s17, s17
	v_mov_b32_e32 v80, 0x7f800001
	s_xor_b32 exec_lo, exec_lo, s17
	s_cbranch_execnz .LBB2_4197
.LBB2_4172:                             ;   in Loop: Header=BB2_4153 Depth=3
	s_or_b32 exec_lo, exec_lo, s17
	s_and_saveexec_b32 s17, s16
	s_cbranch_execz .LBB2_4174
.LBB2_4173:                             ;   in Loop: Header=BB2_4153 Depth=3
	v_and_b32_e32 v80, 7, v71
	v_lshrrev_b16 v58, 3, v71
	v_ffbh_u32_e32 v81, v80
	v_and_b32_e32 v58, 15, v58
	v_min_u32_e32 v81, 32, v81
	v_cmp_eq_u32_e32 vcc_lo, 0, v58
	v_subrev_nc_u32_e32 v59, 28, v81
	v_sub_nc_u32_e32 v81, 29, v81
	v_lshlrev_b32_e32 v59, v59, v71
	v_lshlrev_b32_e32 v71, 24, v71
	v_cndmask_b32_e32 v81, v58, v81, vcc_lo
	v_and_b32_e32 v59, 7, v59
	v_and_b32_e32 v71, 0x80000000, v71
	v_lshl_add_u32 v81, v81, 23, 0x3b800000
	v_cndmask_b32_e32 v80, v80, v59, vcc_lo
	v_lshlrev_b32_e32 v80, 20, v80
	v_or3_b32 v80, v71, v81, v80
.LBB2_4174:                             ;   in Loop: Header=BB2_4153 Depth=3
	s_or_b32 exec_lo, exec_lo, s17
	v_cmp_gt_i16_sdwa s17, v70, v102 src0_sel:BYTE_0 src1_sel:DWORD
	s_mov_b32 s16, 0
	s_and_saveexec_b32 s18, s17
	s_xor_b32 s17, exec_lo, s18
	s_cbranch_execz .LBB2_4198
; %bb.4175:                             ;   in Loop: Header=BB2_4153 Depth=3
	v_cmp_eq_u16_sdwa s19, v70, v103 src0_sel:BYTE_0 src1_sel:DWORD
	s_mov_b32 s16, -1
	s_and_saveexec_b32 s18, s19
; %bb.4176:                             ;   in Loop: Header=BB2_4153 Depth=3
	s_xor_b32 s16, exec_lo, -1
; %bb.4177:                             ;   in Loop: Header=BB2_4153 Depth=3
	s_or_b32 exec_lo, exec_lo, s18
	s_and_b32 s16, s16, exec_lo
                                        ; implicit-def: $vgpr70
	s_or_saveexec_b32 s17, s17
	v_mov_b32_e32 v71, 0x7f800001
	s_xor_b32 exec_lo, exec_lo, s17
	s_cbranch_execnz .LBB2_4199
.LBB2_4178:                             ;   in Loop: Header=BB2_4153 Depth=3
	s_or_b32 exec_lo, exec_lo, s17
	s_and_saveexec_b32 s17, s16
.LBB2_4179:                             ;   in Loop: Header=BB2_4153 Depth=3
	v_mov_b32_e32 v71, v69
.LBB2_4180:                             ;   in Loop: Header=BB2_4153 Depth=3
	s_or_b32 exec_lo, exec_lo, s17
	v_max_f32_e32 v69, v71, v71
	v_max_f32_e32 v70, v80, v80
	v_min_f32_e32 v80, v70, v69
.LBB2_4181:                             ;   in Loop: Header=BB2_4153 Depth=3
	v_and_b32_e32 v69, 0x7f800000, v80
	v_cmp_ne_u32_e32 vcc_lo, 0x7f800000, v69
	v_mov_b32_e32 v69, 0x80
	s_and_saveexec_b32 s17, vcc_lo
	s_cbranch_execz .LBB2_4189
; %bb.4182:                             ;   in Loop: Header=BB2_4153 Depth=3
	v_mov_b32_e32 v69, 0
	s_mov_b32 s18, exec_lo
	v_cmpx_ne_u32_e32 0, v80
	s_cbranch_execz .LBB2_4188
; %bb.4183:                             ;   in Loop: Header=BB2_4153 Depth=3
	v_bfe_u32 v69, v80, 23, 8
	v_and_b32_e32 v70, 0x7fffff, v80
	s_waitcnt vmcnt(0) lgkmcnt(0)
	v_sub_nc_u32_e32 v71, 0x78, v69
	v_cmp_gt_u32_e32 vcc_lo, 0x79, v69
	v_or_b32_e32 v81, 0x800000, v70
	v_cndmask_b32_e32 v71, 0, v71, vcc_lo
	v_cmp_eq_u32_e32 vcc_lo, 0, v69
	v_add_nc_u32_e32 v69, 0xffffff89, v69
	v_cndmask_b32_e64 v71, v71, 0x77, vcc_lo
	v_cndmask_b32_e32 v70, v81, v70, vcc_lo
	v_cndmask_b32_e64 v69, v69, 0xffffff8a, vcc_lo
	v_lshl_add_u32 v81, 0x100000, v71, -1
	v_lshrrev_b32_e32 v58, v71, v70
	v_lshlrev_b32_e64 v60, v71, 0x80000
	v_add_nc_u32_e32 v71, v71, v69
	v_and_b32_e32 v70, v81, v70
	v_bfe_u32 v59, v58, 20, 1
	v_cmp_eq_u32_e64 s16, v70, v60
	v_add_nc_u32_e32 v81, -1, v59
	v_cndmask_b32_e64 v70, 0, v81, s16
	v_lshrrev_b32_e32 v81, 23, v58
	s_mov_b32 s16, exec_lo
	v_add_nc_u32_e32 v70, v70, v58
	v_xor_b32_e32 v81, 1, v81
	v_and_b32_e32 v69, 0xfffff, v70
	v_add_nc_u32_e32 v70, v69, v58
                                        ; implicit-def: $vgpr69
	v_cmpx_ne_u32_e64 v71, v81
	s_xor_b32 s16, exec_lo, s16
; %bb.4184:                             ;   in Loop: Header=BB2_4153 Depth=3
	v_cmp_lt_u32_e32 vcc_lo, 0xffffff, v70
	v_sub_nc_u32_e32 v69, v71, v81
	v_cndmask_b32_e64 v71, 0, 1, vcc_lo
	v_add_co_ci_u32_e64 v69, null, 0, v69, vcc_lo
	v_lshrrev_b32_e32 v70, v71, v70
; %bb.4185:                             ;   in Loop: Header=BB2_4153 Depth=3
	s_andn2_saveexec_b32 s16, s16
; %bb.4186:                             ;   in Loop: Header=BB2_4153 Depth=3
	v_bfe_u32 v69, v70, 23, 1
; %bb.4187:                             ;   in Loop: Header=BB2_4153 Depth=3
	s_or_b32 exec_lo, exec_lo, s16
	v_lshrrev_b32_e32 v70, 20, v70
	v_cmp_gt_i32_e32 vcc_lo, 16, v69
	v_min_i32_e32 v71, 15, v69
	v_and_b32_sdwa v80, v80, v103 dst_sel:DWORD dst_unused:UNUSED_PAD src0_sel:BYTE_3 src1_sel:DWORD
	v_cndmask_b32_e32 v70, 7, v70, vcc_lo
	v_lshlrev_b32_e32 v71, 3, v71
	v_and_b32_e32 v81, 7, v70
	v_or_b32_e32 v69, v69, v70
	v_or3_b32 v70, v71, v80, v81
	v_cmp_ne_u32_e32 vcc_lo, 0, v69
	v_cndmask_b32_e32 v69, 0, v70, vcc_lo
.LBB2_4188:                             ;   in Loop: Header=BB2_4153 Depth=3
	s_or_b32 exec_lo, exec_lo, s18
.LBB2_4189:                             ;   in Loop: Header=BB2_4153 Depth=3
	s_or_b32 exec_lo, exec_lo, s17
	s_mov_b64 s[18:19], 0
	s_mov_b32 s74, -1
	.p2align	6
.LBB2_4190:                             ;   Parent Loop BB2_47 Depth=1
                                        ;     Parent Loop BB2_2295 Depth=2
                                        ;       Parent Loop BB2_4153 Depth=3
                                        ; =>      This Inner Loop Header: Depth=4
	s_cmp_eq_u32 s18, 1
	s_cselect_b32 vcc_lo, -1, 0
	s_cmp_eq_u32 s18, 0
	v_cndmask_b32_e32 v70, v8, v10, vcc_lo
	s_waitcnt vmcnt(0) lgkmcnt(0)
	v_cndmask_b32_e32 v71, v9, v11, vcc_lo
	s_mov_b64 s[18:19], 1
	v_add_co_u32 v80, s16, v70, 32
	v_add_co_ci_u32_e64 v81, null, 0, v71, s16
	s_cselect_b32 s16, -1, 0
	v_cndmask_b32_e32 v10, v10, v80, vcc_lo
	v_cndmask_b32_e64 v8, v8, v80, s16
	v_cndmask_b32_e32 v11, v11, v81, vcc_lo
	v_cndmask_b32_e64 v9, v9, v81, s16
	s_and_b32 s17, exec_lo, s74
	s_mov_b32 s74, 0
	s_mov_b32 vcc_lo, s17
	flat_store_byte v[70:71], v69 glc slc
	s_cbranch_vccnz .LBB2_4190
; %bb.4191:                             ;   in Loop: Header=BB2_4153 Depth=3
	v_add_co_u32 v12, vcc_lo, v12, v43
	v_sub_nc_u32_e32 v68, v68, v98
	v_add_co_ci_u32_e64 v13, null, v13, v44, vcc_lo
	v_add_co_u32 v14, vcc_lo, v14, v43
	v_add_co_ci_u32_e64 v15, null, v15, v44, vcc_lo
	v_add_co_u32 v8, vcc_lo, v8, v119
	v_add_co_ci_u32_e64 v9, null, v9, v41, vcc_lo
	v_cmp_gt_i32_e32 vcc_lo, 1, v68
	v_add_co_u32 v10, s16, v10, v119
	v_add_co_ci_u32_e64 v11, null, v11, v41, s16
	s_or_b32 s23, vcc_lo, s23
	s_andn2_b32 exec_lo, exec_lo, s23
	s_cbranch_execnz .LBB2_4153
	s_branch .LBB2_4200
.LBB2_4192:                             ;   in Loop: Header=BB2_4153 Depth=3
	s_or_saveexec_b32 s17, s17
	v_mov_b32_e32 v80, 0x7f800001
	s_xor_b32 exec_lo, exec_lo, s17
	s_cbranch_execz .LBB2_4158
.LBB2_4193:                             ;   in Loop: Header=BB2_4153 Depth=3
	v_cmp_ne_u16_sdwa s18, v71, v2 src0_sel:BYTE_0 src1_sel:DWORD
	v_mov_b32_e32 v80, 0
	s_andn2_b32 s16, s16, exec_lo
	s_and_b32 s18, s18, exec_lo
	s_or_b32 s16, s16, s18
	s_or_b32 exec_lo, exec_lo, s17
	s_and_saveexec_b32 s17, s16
	s_cbranch_execnz .LBB2_4159
	s_branch .LBB2_4160
.LBB2_4194:                             ;   in Loop: Header=BB2_4153 Depth=3
	s_or_saveexec_b32 s17, s17
	v_mov_b32_e32 v81, 0x7f800001
	s_xor_b32 exec_lo, exec_lo, s17
	s_cbranch_execz .LBB2_4164
.LBB2_4195:                             ;   in Loop: Header=BB2_4153 Depth=3
	v_cmp_ne_u16_sdwa s18, v70, v2 src0_sel:BYTE_0 src1_sel:DWORD
	v_mov_b32_e32 v81, 0
	s_andn2_b32 s16, s16, exec_lo
	s_and_b32 s18, s18, exec_lo
	s_or_b32 s16, s16, s18
	s_or_b32 exec_lo, exec_lo, s17
	s_and_saveexec_b32 s17, s16
	s_cbranch_execnz .LBB2_4165
	s_branch .LBB2_4166
.LBB2_4196:                             ;   in Loop: Header=BB2_4153 Depth=3
	s_or_saveexec_b32 s17, s17
	v_mov_b32_e32 v80, 0x7f800001
	s_xor_b32 exec_lo, exec_lo, s17
	s_cbranch_execz .LBB2_4172
.LBB2_4197:                             ;   in Loop: Header=BB2_4153 Depth=3
	v_cmp_ne_u16_sdwa s18, v71, v2 src0_sel:BYTE_0 src1_sel:DWORD
	v_mov_b32_e32 v80, 0
	s_andn2_b32 s16, s16, exec_lo
	s_and_b32 s18, s18, exec_lo
	s_or_b32 s16, s16, s18
	s_or_b32 exec_lo, exec_lo, s17
	s_and_saveexec_b32 s17, s16
	s_cbranch_execnz .LBB2_4173
	s_branch .LBB2_4174
.LBB2_4198:                             ;   in Loop: Header=BB2_4153 Depth=3
	s_or_saveexec_b32 s17, s17
	v_mov_b32_e32 v71, 0x7f800001
	s_xor_b32 exec_lo, exec_lo, s17
	s_cbranch_execz .LBB2_4178
.LBB2_4199:                             ;   in Loop: Header=BB2_4153 Depth=3
	v_cmp_ne_u16_sdwa s18, v70, v2 src0_sel:BYTE_0 src1_sel:DWORD
	v_mov_b32_e32 v71, 0
	s_andn2_b32 s16, s16, exec_lo
	s_and_b32 s18, s18, exec_lo
	s_or_b32 s16, s16, s18
	s_or_b32 exec_lo, exec_lo, s17
	s_and_saveexec_b32 s17, s16
	s_cbranch_execnz .LBB2_4179
	s_branch .LBB2_4180
.LBB2_4200:                             ;   in Loop: Header=BB2_2295 Depth=2
	s_or_b32 exec_lo, exec_lo, s22
	s_mov_b32 s16, 0
.LBB2_4201:                             ;   in Loop: Header=BB2_2295 Depth=2
	s_and_b32 vcc_lo, exec_lo, s16
	s_cbranch_vccz .LBB2_6032
; %bb.4202:                             ;   in Loop: Header=BB2_2295 Depth=2
	s_mov_b32 s16, -1
	s_and_saveexec_b32 s17, s14
	s_cbranch_execz .LBB2_4204
; %bb.4203:                             ;   in Loop: Header=BB2_2295 Depth=2
	ds_read_b32 v8, v0 offset:720
	s_waitcnt lgkmcnt(0)
	v_and_b32_e32 v8, 15, v8
	v_cmp_eq_u32_e32 vcc_lo, 0, v8
	s_orn2_b32 s16, vcc_lo, exec_lo
.LBB2_4204:                             ;   in Loop: Header=BB2_2295 Depth=2
	s_or_b32 exec_lo, exec_lo, s17
	s_and_saveexec_b32 s17, s12
	s_cbranch_execz .LBB2_4206
; %bb.4205:                             ;   in Loop: Header=BB2_2295 Depth=2
	ds_read_b32 v8, v0 offset:784
	s_waitcnt lgkmcnt(0)
	v_and_b32_e32 v8, 15, v8
	v_cmp_eq_u32_e32 vcc_lo, 0, v8
	s_and_b32 s18, s16, vcc_lo
	s_andn2_b32 s16, s16, exec_lo
	s_and_b32 s18, s18, exec_lo
	s_or_b32 s16, s16, s18
.LBB2_4206:                             ;   in Loop: Header=BB2_2295 Depth=2
	s_or_b32 exec_lo, exec_lo, s17
	s_xor_b32 s16, s16, -1
	v_mov_b32_e32 v14, 0
	v_cndmask_b32_e64 v8, 0, 1, s16
	v_mov_b32_e32 v15, v55
	v_mov_b32_e32 v68, v0
	s_mov_b32 s19, -1
	v_cmp_ne_u32_e32 vcc_lo, 0, v8
	s_cbranch_vccz .LBB2_4208
; %bb.4207:                             ;   in Loop: Header=BB2_2295 Depth=2
	s_and_saveexec_b32 s17, s19
	s_cbranch_execnz .LBB2_5627
	s_branch .LBB2_6031
.LBB2_4208:                             ;   in Loop: Header=BB2_2295 Depth=2
	v_ashrrev_i32_e32 v8, 31, v55
	v_sub_nc_u32_e32 v58, v55, v99
	s_mov_b32 s18, exec_lo
	v_lshrrev_b32_e32 v8, 23, v8
	v_add_nc_u32_e32 v8, v55, v8
	v_and_b32_e32 v59, 0xfffffe00, v8
	v_ashrrev_i32_e32 v8, 9, v8
	v_sub_nc_u32_e32 v60, v55, v59
	v_sub_nc_u32_e32 v8, v8, v97
	v_cmp_lt_i32_e64 s16, 15, v60
	v_add_co_ci_u32_e64 v61, null, 0, v8, s16
	v_cmpx_lt_i32_e32 15, v58
	s_cbranch_execz .LBB2_4916
; %bb.4209:                             ;   in Loop: Header=BB2_2295 Depth=2
	s_trap 2
	ds_read_b64 v[8:9], v0
	v_add_co_u32 v68, vcc_lo, v64, v99
	v_add_co_ci_u32_e64 v69, null, 0, v65, vcc_lo
	s_bitcmp1_b32 s72, 0
	s_mov_b32 s19, 0
	s_cselect_b32 s22, -1, 0
	s_waitcnt lgkmcnt(0)
	v_add_co_u32 v70, vcc_lo, v8, v99
	v_add_co_ci_u32_e64 v71, null, 0, v9, vcc_lo
	v_add_co_u32 v80, vcc_lo, v66, v99
	v_add_co_ci_u32_e64 v81, null, 0, v67, vcc_lo
	s_branch .LBB2_4213
.LBB2_4210:                             ;   in Loop: Header=BB2_4213 Depth=3
	s_or_b32 exec_lo, exec_lo, s17
	v_lshrrev_b32_e32 v10, 20, v10
	v_min_i32_e32 v11, 15, v9
	v_cmp_gt_i32_e32 vcc_lo, 16, v9
	v_and_b32_sdwa v8, v8, v103 dst_sel:DWORD dst_unused:UNUSED_PAD src0_sel:BYTE_3 src1_sel:DWORD
	v_lshlrev_b32_e32 v11, 3, v11
	v_cndmask_b32_e32 v10, 7, v10, vcc_lo
	v_and_b32_e32 v11, 0xf8, v11
	v_and_b32_e32 v15, 7, v10
	v_or_b32_e32 v9, v9, v10
	v_or3_b32 v8, v8, v11, v15
	v_cmp_ne_u32_e32 vcc_lo, 0, v9
	v_lshlrev_b32_e32 v8, 8, v8
	v_cndmask_b32_e32 v9, 0, v8, vcc_lo
.LBB2_4211:                             ;   in Loop: Header=BB2_4213 Depth=3
	s_or_b32 exec_lo, exec_lo, s73
.LBB2_4212:                             ;   in Loop: Header=BB2_4213 Depth=3
	s_or_b32 exec_lo, exec_lo, s23
	v_or_b32_sdwa v8, v13, v75 dst_sel:WORD_1 dst_unused:UNUSED_PAD src0_sel:DWORD src1_sel:DWORD
	v_or_b32_sdwa v10, v12, v72 dst_sel:WORD_1 dst_unused:UNUSED_PAD src0_sel:DWORD src1_sel:DWORD
	;; [unrolled: 1-line block ×4, first 2 shown]
	v_sub_nc_u32_e32 v58, v58, v117
	v_or3_b32 v9, v74, v73, v8
	v_or3_b32 v8, v63, v62, v10
	;; [unrolled: 1-line block ×4, first 2 shown]
	v_add_co_u32 v68, vcc_lo, v68, v117
	v_add_co_ci_u32_e64 v69, null, 0, v69, vcc_lo
	v_add_co_u32 v70, vcc_lo, v70, v117
	global_store_dwordx4 v[80:81], v[8:11], off glc slc
	v_add_co_ci_u32_e64 v71, null, 0, v71, vcc_lo
	v_cmp_gt_i32_e32 vcc_lo, 16, v58
	v_add_co_u32 v80, s17, v80, v117
	v_add_co_ci_u32_e64 v81, null, 0, v81, s17
	v_sub_nc_u32_e32 v61, v61, v87
	s_or_b32 s19, vcc_lo, s19
	s_andn2_b32 exec_lo, exec_lo, s19
	s_cbranch_execz .LBB2_4915
.LBB2_4213:                             ;   Parent Loop BB2_47 Depth=1
                                        ;     Parent Loop BB2_2295 Depth=2
                                        ; =>    This Inner Loop Header: Depth=3
	global_load_dwordx4 v[8:11], v[70:71], off slc
	global_load_dwordx4 v[12:15], v[68:69], off slc
	s_mov_b32 s17, -1
	s_waitcnt vmcnt(1)
	v_and_b32_e32 v62, 7, v8
	v_bfe_u32 v73, v8, 3, 4
	v_lshlrev_b32_e32 v74, 24, v8
	v_ffbh_u32_e32 v63, v62
	v_cmp_eq_u32_e32 vcc_lo, 0, v73
	v_min_u32_e32 v63, 32, v63
	v_subrev_nc_u32_e32 v72, 28, v63
	v_sub_nc_u32_e32 v63, 29, v63
	v_lshlrev_b32_e32 v72, v72, v8
	v_cndmask_b32_e32 v63, v73, v63, vcc_lo
	v_and_b32_e32 v72, 7, v72
	v_lshl_add_u32 v63, v63, 23, 0x3b800000
	v_cndmask_b32_e32 v62, v62, v72, vcc_lo
	v_and_b32_e32 v72, 0x80000000, v74
	s_and_b32 vcc_lo, exec_lo, s22
	v_lshlrev_b32_e32 v62, 20, v62
	v_or3_b32 v62, v72, v63, v62
                                        ; implicit-def: $vgpr63
	s_cbranch_vccz .LBB2_4227
; %bb.4214:                             ;   in Loop: Header=BB2_4213 Depth=3
	s_waitcnt vmcnt(0)
	v_cmp_gt_i16_sdwa s23, v12, v102 src0_sel:BYTE_0 src1_sel:DWORD
	s_mov_b32 s17, 0
	s_and_saveexec_b32 s73, s23
	s_xor_b32 s23, exec_lo, s73
	s_cbranch_execz .LBB2_4787
; %bb.4215:                             ;   in Loop: Header=BB2_4213 Depth=3
	v_cmp_eq_u16_sdwa s74, v12, v103 src0_sel:BYTE_0 src1_sel:DWORD
	s_mov_b32 s17, -1
	s_and_saveexec_b32 s73, s74
; %bb.4216:                             ;   in Loop: Header=BB2_4213 Depth=3
	s_xor_b32 s17, exec_lo, -1
; %bb.4217:                             ;   in Loop: Header=BB2_4213 Depth=3
	s_or_b32 exec_lo, exec_lo, s73
	s_and_b32 s17, s17, exec_lo
	s_or_saveexec_b32 s23, s23
	v_mov_b32_e32 v63, 0x7f800001
	s_xor_b32 exec_lo, exec_lo, s23
	s_cbranch_execnz .LBB2_4788
.LBB2_4218:                             ;   in Loop: Header=BB2_4213 Depth=3
	s_or_b32 exec_lo, exec_lo, s23
	s_and_saveexec_b32 s23, s17
	s_cbranch_execz .LBB2_4220
.LBB2_4219:                             ;   in Loop: Header=BB2_4213 Depth=3
	v_and_b32_e32 v63, 7, v12
	v_bfe_u32 v74, v12, 3, 4
	v_lshlrev_b32_e32 v75, 24, v12
	v_ffbh_u32_e32 v72, v63
	v_cmp_eq_u32_e32 vcc_lo, 0, v74
	v_min_u32_e32 v72, 32, v72
	v_subrev_nc_u32_e32 v73, 28, v72
	v_sub_nc_u32_e32 v72, 29, v72
	v_lshlrev_b32_e32 v73, v73, v12
	v_cndmask_b32_e32 v72, v74, v72, vcc_lo
	v_and_b32_e32 v73, 7, v73
	v_lshl_add_u32 v72, v72, 23, 0x3b800000
	v_cndmask_b32_e32 v63, v63, v73, vcc_lo
	v_and_b32_e32 v73, 0x80000000, v75
	v_lshlrev_b32_e32 v63, 20, v63
	v_or3_b32 v63, v73, v72, v63
.LBB2_4220:                             ;   in Loop: Header=BB2_4213 Depth=3
	s_or_b32 exec_lo, exec_lo, s23
	v_cmp_gt_i16_sdwa s23, v8, v102 src0_sel:BYTE_0 src1_sel:DWORD
	s_mov_b32 s17, 0
	s_and_saveexec_b32 s73, s23
	s_xor_b32 s23, exec_lo, s73
	s_cbranch_execz .LBB2_4789
; %bb.4221:                             ;   in Loop: Header=BB2_4213 Depth=3
	v_cmp_eq_u16_sdwa s74, v8, v103 src0_sel:BYTE_0 src1_sel:DWORD
	s_mov_b32 s17, -1
	s_and_saveexec_b32 s73, s74
; %bb.4222:                             ;   in Loop: Header=BB2_4213 Depth=3
	s_xor_b32 s17, exec_lo, -1
; %bb.4223:                             ;   in Loop: Header=BB2_4213 Depth=3
	s_or_b32 exec_lo, exec_lo, s73
	s_and_b32 s17, s17, exec_lo
	s_or_saveexec_b32 s23, s23
	v_mov_b32_e32 v72, 0x7f800001
	s_xor_b32 exec_lo, exec_lo, s23
	s_cbranch_execnz .LBB2_4790
.LBB2_4224:                             ;   in Loop: Header=BB2_4213 Depth=3
	s_or_b32 exec_lo, exec_lo, s23
	s_and_saveexec_b32 s23, s17
.LBB2_4225:                             ;   in Loop: Header=BB2_4213 Depth=3
	v_mov_b32_e32 v72, v62
.LBB2_4226:                             ;   in Loop: Header=BB2_4213 Depth=3
	s_or_b32 exec_lo, exec_lo, s23
	v_max_f32_e32 v72, v72, v72
	v_max_f32_e32 v63, v63, v63
	s_mov_b32 s17, 0
	v_max_f32_e32 v63, v63, v72
.LBB2_4227:                             ;   in Loop: Header=BB2_4213 Depth=3
	s_and_b32 vcc_lo, exec_lo, s17
	s_cbranch_vccz .LBB2_4241
; %bb.4228:                             ;   in Loop: Header=BB2_4213 Depth=3
	s_waitcnt vmcnt(0)
	v_cmp_gt_i16_sdwa s23, v12, v102 src0_sel:BYTE_0 src1_sel:DWORD
	s_mov_b32 s17, 0
	s_and_saveexec_b32 s73, s23
	s_xor_b32 s23, exec_lo, s73
	s_cbranch_execz .LBB2_4791
; %bb.4229:                             ;   in Loop: Header=BB2_4213 Depth=3
	v_cmp_eq_u16_sdwa s74, v12, v103 src0_sel:BYTE_0 src1_sel:DWORD
	s_mov_b32 s17, -1
	s_and_saveexec_b32 s73, s74
; %bb.4230:                             ;   in Loop: Header=BB2_4213 Depth=3
	s_xor_b32 s17, exec_lo, -1
; %bb.4231:                             ;   in Loop: Header=BB2_4213 Depth=3
	s_or_b32 exec_lo, exec_lo, s73
	s_and_b32 s17, s17, exec_lo
	s_or_saveexec_b32 s23, s23
	v_mov_b32_e32 v63, 0x7f800001
	s_xor_b32 exec_lo, exec_lo, s23
	s_cbranch_execnz .LBB2_4792
.LBB2_4232:                             ;   in Loop: Header=BB2_4213 Depth=3
	s_or_b32 exec_lo, exec_lo, s23
	s_and_saveexec_b32 s23, s17
	s_cbranch_execz .LBB2_4234
.LBB2_4233:                             ;   in Loop: Header=BB2_4213 Depth=3
	v_and_b32_e32 v63, 7, v12
	v_bfe_u32 v74, v12, 3, 4
	v_lshlrev_b32_e32 v75, 24, v12
	v_ffbh_u32_e32 v72, v63
	v_cmp_eq_u32_e32 vcc_lo, 0, v74
	v_min_u32_e32 v72, 32, v72
	v_subrev_nc_u32_e32 v73, 28, v72
	v_sub_nc_u32_e32 v72, 29, v72
	v_lshlrev_b32_e32 v73, v73, v12
	v_cndmask_b32_e32 v72, v74, v72, vcc_lo
	v_and_b32_e32 v73, 7, v73
	v_lshl_add_u32 v72, v72, 23, 0x3b800000
	v_cndmask_b32_e32 v63, v63, v73, vcc_lo
	v_and_b32_e32 v73, 0x80000000, v75
	v_lshlrev_b32_e32 v63, 20, v63
	v_or3_b32 v63, v73, v72, v63
.LBB2_4234:                             ;   in Loop: Header=BB2_4213 Depth=3
	s_or_b32 exec_lo, exec_lo, s23
	v_cmp_gt_i16_sdwa s23, v8, v102 src0_sel:BYTE_0 src1_sel:DWORD
	s_mov_b32 s17, 0
	s_and_saveexec_b32 s73, s23
	s_xor_b32 s23, exec_lo, s73
	s_cbranch_execz .LBB2_4793
; %bb.4235:                             ;   in Loop: Header=BB2_4213 Depth=3
	v_cmp_eq_u16_sdwa s74, v8, v103 src0_sel:BYTE_0 src1_sel:DWORD
	s_mov_b32 s17, -1
	s_and_saveexec_b32 s73, s74
; %bb.4236:                             ;   in Loop: Header=BB2_4213 Depth=3
	s_xor_b32 s17, exec_lo, -1
; %bb.4237:                             ;   in Loop: Header=BB2_4213 Depth=3
	s_or_b32 exec_lo, exec_lo, s73
	s_and_b32 s17, s17, exec_lo
	s_or_saveexec_b32 s23, s23
	v_mov_b32_e32 v72, 0x7f800001
	s_xor_b32 exec_lo, exec_lo, s23
	s_cbranch_execnz .LBB2_4794
.LBB2_4238:                             ;   in Loop: Header=BB2_4213 Depth=3
	s_or_b32 exec_lo, exec_lo, s23
	s_and_saveexec_b32 s23, s17
.LBB2_4239:                             ;   in Loop: Header=BB2_4213 Depth=3
	v_mov_b32_e32 v72, v62
.LBB2_4240:                             ;   in Loop: Header=BB2_4213 Depth=3
	s_or_b32 exec_lo, exec_lo, s23
	v_max_f32_e32 v62, v72, v72
	v_max_f32_e32 v63, v63, v63
	v_min_f32_e32 v63, v63, v62
.LBB2_4241:                             ;   in Loop: Header=BB2_4213 Depth=3
	v_and_b32_e32 v62, 0x7f800000, v63
	v_cmp_ne_u32_e32 vcc_lo, 0x7f800000, v62
	v_mov_b32_e32 v62, 0x80
	s_and_saveexec_b32 s23, vcc_lo
	s_cbranch_execz .LBB2_4249
; %bb.4242:                             ;   in Loop: Header=BB2_4213 Depth=3
	v_mov_b32_e32 v62, 0
	s_mov_b32 s73, exec_lo
	v_cmpx_ne_u32_e32 0, v63
	s_cbranch_execz .LBB2_4248
; %bb.4243:                             ;   in Loop: Header=BB2_4213 Depth=3
	v_bfe_u32 v62, v63, 23, 8
	v_and_b32_e32 v72, 0x7fffff, v63
	v_sub_nc_u32_e32 v73, 0x78, v62
	v_cmp_gt_u32_e32 vcc_lo, 0x79, v62
	v_or_b32_e32 v74, 0x800000, v72
	v_cndmask_b32_e32 v73, 0, v73, vcc_lo
	v_cmp_eq_u32_e32 vcc_lo, 0, v62
	v_add_nc_u32_e32 v62, 0xffffff89, v62
	v_cndmask_b32_e64 v73, v73, 0x77, vcc_lo
	v_cndmask_b32_e32 v72, v74, v72, vcc_lo
	v_cndmask_b32_e64 v62, v62, 0xffffff8a, vcc_lo
	v_lshl_add_u32 v74, 0x100000, v73, -1
	v_lshrrev_b32_e32 v75, v73, v72
	v_lshlrev_b32_e64 v77, v73, 0x80000
	v_add_nc_u32_e32 v73, v73, v62
	v_and_b32_e32 v72, v74, v72
	v_bfe_u32 v76, v75, 20, 1
	v_cmp_eq_u32_e64 s17, v72, v77
	v_add_nc_u32_e32 v74, -1, v76
	v_cndmask_b32_e64 v72, 0, v74, s17
	v_lshrrev_b32_e32 v74, 23, v75
	s_mov_b32 s17, exec_lo
	v_add_nc_u32_e32 v72, v72, v75
	v_xor_b32_e32 v74, 1, v74
	v_and_b32_e32 v62, 0xfffff, v72
	v_add_nc_u32_e32 v72, v62, v75
                                        ; implicit-def: $vgpr62
	v_cmpx_ne_u32_e64 v73, v74
	s_xor_b32 s17, exec_lo, s17
; %bb.4244:                             ;   in Loop: Header=BB2_4213 Depth=3
	v_cmp_lt_u32_e32 vcc_lo, 0xffffff, v72
	v_sub_nc_u32_e32 v62, v73, v74
	v_cndmask_b32_e64 v73, 0, 1, vcc_lo
	v_add_co_ci_u32_e64 v62, null, 0, v62, vcc_lo
	v_lshrrev_b32_e32 v72, v73, v72
; %bb.4245:                             ;   in Loop: Header=BB2_4213 Depth=3
	s_andn2_saveexec_b32 s17, s17
; %bb.4246:                             ;   in Loop: Header=BB2_4213 Depth=3
	v_bfe_u32 v62, v72, 23, 1
; %bb.4247:                             ;   in Loop: Header=BB2_4213 Depth=3
	s_or_b32 exec_lo, exec_lo, s17
	v_lshrrev_b32_e32 v72, 20, v72
	v_min_i32_e32 v73, 15, v62
	v_cmp_gt_i32_e32 vcc_lo, 16, v62
	v_and_b32_sdwa v63, v63, v103 dst_sel:DWORD dst_unused:UNUSED_PAD src0_sel:BYTE_3 src1_sel:DWORD
	v_lshlrev_b32_e32 v73, 3, v73
	v_cndmask_b32_e32 v72, 7, v72, vcc_lo
	v_and_b32_e32 v73, 0xf8, v73
	v_and_b32_e32 v74, 7, v72
	v_or_b32_e32 v62, v62, v72
	v_or3_b32 v63, v73, v63, v74
	v_cmp_ne_u32_e32 vcc_lo, 0, v62
	v_cndmask_b32_e32 v62, 0, v63, vcc_lo
.LBB2_4248:                             ;   in Loop: Header=BB2_4213 Depth=3
	s_or_b32 exec_lo, exec_lo, s73
.LBB2_4249:                             ;   in Loop: Header=BB2_4213 Depth=3
	s_or_b32 exec_lo, exec_lo, s23
	v_and_b32_sdwa v63, v112, v8 dst_sel:DWORD dst_unused:UNUSED_PAD src0_sel:DWORD src1_sel:BYTE_1
	s_mov_b32 s17, -1
	v_and_b32_e32 v72, 7, v63
	v_bfe_u32 v75, v63, 3, 4
	v_ffbh_u32_e32 v73, v72
	v_cmp_eq_u32_e32 vcc_lo, 0, v75
	v_min_u32_e32 v73, 32, v73
	v_subrev_nc_u32_e32 v74, 28, v73
	v_sub_nc_u32_e32 v73, 29, v73
	v_lshlrev_b32_e32 v63, v74, v63
	v_lshlrev_b32_sdwa v74, v113, v8 dst_sel:DWORD dst_unused:UNUSED_PAD src0_sel:DWORD src1_sel:BYTE_1
	v_cndmask_b32_e32 v73, v75, v73, vcc_lo
	v_and_b32_e32 v63, 7, v63
	v_lshl_add_u32 v73, v73, 23, 0x3b800000
	v_cndmask_b32_e32 v63, v72, v63, vcc_lo
	v_and_b32_e32 v72, 0x80000000, v74
	s_and_b32 vcc_lo, exec_lo, s22
	v_lshlrev_b32_e32 v63, 20, v63
	v_or3_b32 v63, v72, v73, v63
                                        ; implicit-def: $vgpr72
	s_cbranch_vccz .LBB2_4263
; %bb.4250:                             ;   in Loop: Header=BB2_4213 Depth=3
	s_waitcnt vmcnt(0)
	v_cmp_gt_i16_sdwa s23, v12, v102 src0_sel:BYTE_1 src1_sel:DWORD
	s_mov_b32 s17, 0
	s_and_saveexec_b32 s73, s23
	s_xor_b32 s23, exec_lo, s73
	s_cbranch_execz .LBB2_4795
; %bb.4251:                             ;   in Loop: Header=BB2_4213 Depth=3
	v_cmp_eq_u16_sdwa s74, v12, v103 src0_sel:BYTE_1 src1_sel:DWORD
	s_mov_b32 s17, -1
	s_and_saveexec_b32 s73, s74
; %bb.4252:                             ;   in Loop: Header=BB2_4213 Depth=3
	s_xor_b32 s17, exec_lo, -1
; %bb.4253:                             ;   in Loop: Header=BB2_4213 Depth=3
	s_or_b32 exec_lo, exec_lo, s73
	s_and_b32 s17, s17, exec_lo
	s_or_saveexec_b32 s23, s23
	v_mov_b32_e32 v72, 0x7f800001
	s_xor_b32 exec_lo, exec_lo, s23
	s_cbranch_execnz .LBB2_4796
.LBB2_4254:                             ;   in Loop: Header=BB2_4213 Depth=3
	s_or_b32 exec_lo, exec_lo, s23
	s_and_saveexec_b32 s23, s17
	s_cbranch_execz .LBB2_4256
.LBB2_4255:                             ;   in Loop: Header=BB2_4213 Depth=3
	v_and_b32_sdwa v72, v112, v12 dst_sel:DWORD dst_unused:UNUSED_PAD src0_sel:DWORD src1_sel:BYTE_1
	v_and_b32_e32 v73, 7, v72
	v_bfe_u32 v76, v72, 3, 4
	v_ffbh_u32_e32 v74, v73
	v_cmp_eq_u32_e32 vcc_lo, 0, v76
	v_min_u32_e32 v74, 32, v74
	v_subrev_nc_u32_e32 v75, 28, v74
	v_sub_nc_u32_e32 v74, 29, v74
	v_lshlrev_b32_e32 v72, v75, v72
	v_lshlrev_b32_e32 v75, 16, v12
	v_cndmask_b32_e32 v74, v76, v74, vcc_lo
	v_and_b32_e32 v72, 7, v72
	v_lshl_add_u32 v74, v74, 23, 0x3b800000
	v_cndmask_b32_e32 v72, v73, v72, vcc_lo
	v_and_b32_e32 v73, 0x80000000, v75
	v_lshlrev_b32_e32 v72, 20, v72
	v_or3_b32 v72, v73, v74, v72
.LBB2_4256:                             ;   in Loop: Header=BB2_4213 Depth=3
	s_or_b32 exec_lo, exec_lo, s23
	v_cmp_gt_i16_sdwa s23, v8, v102 src0_sel:BYTE_1 src1_sel:DWORD
	s_mov_b32 s17, 0
	s_and_saveexec_b32 s73, s23
	s_xor_b32 s23, exec_lo, s73
	s_cbranch_execz .LBB2_4797
; %bb.4257:                             ;   in Loop: Header=BB2_4213 Depth=3
	v_cmp_eq_u16_sdwa s74, v8, v103 src0_sel:BYTE_1 src1_sel:DWORD
	s_mov_b32 s17, -1
	s_and_saveexec_b32 s73, s74
; %bb.4258:                             ;   in Loop: Header=BB2_4213 Depth=3
	s_xor_b32 s17, exec_lo, -1
; %bb.4259:                             ;   in Loop: Header=BB2_4213 Depth=3
	s_or_b32 exec_lo, exec_lo, s73
	s_and_b32 s17, s17, exec_lo
	s_or_saveexec_b32 s23, s23
	v_mov_b32_e32 v73, 0x7f800001
	s_xor_b32 exec_lo, exec_lo, s23
	s_cbranch_execnz .LBB2_4798
.LBB2_4260:                             ;   in Loop: Header=BB2_4213 Depth=3
	s_or_b32 exec_lo, exec_lo, s23
	s_and_saveexec_b32 s23, s17
.LBB2_4261:                             ;   in Loop: Header=BB2_4213 Depth=3
	v_mov_b32_e32 v73, v63
.LBB2_4262:                             ;   in Loop: Header=BB2_4213 Depth=3
	s_or_b32 exec_lo, exec_lo, s23
	v_max_f32_e32 v73, v73, v73
	v_max_f32_e32 v72, v72, v72
	s_mov_b32 s17, 0
	v_max_f32_e32 v72, v72, v73
.LBB2_4263:                             ;   in Loop: Header=BB2_4213 Depth=3
	s_and_b32 vcc_lo, exec_lo, s17
	s_cbranch_vccz .LBB2_4277
; %bb.4264:                             ;   in Loop: Header=BB2_4213 Depth=3
	s_waitcnt vmcnt(0)
	v_cmp_gt_i16_sdwa s23, v12, v102 src0_sel:BYTE_1 src1_sel:DWORD
	s_mov_b32 s17, 0
	s_and_saveexec_b32 s73, s23
	s_xor_b32 s23, exec_lo, s73
	s_cbranch_execz .LBB2_4799
; %bb.4265:                             ;   in Loop: Header=BB2_4213 Depth=3
	v_cmp_eq_u16_sdwa s74, v12, v103 src0_sel:BYTE_1 src1_sel:DWORD
	s_mov_b32 s17, -1
	s_and_saveexec_b32 s73, s74
; %bb.4266:                             ;   in Loop: Header=BB2_4213 Depth=3
	s_xor_b32 s17, exec_lo, -1
; %bb.4267:                             ;   in Loop: Header=BB2_4213 Depth=3
	s_or_b32 exec_lo, exec_lo, s73
	s_and_b32 s17, s17, exec_lo
	s_or_saveexec_b32 s23, s23
	v_mov_b32_e32 v72, 0x7f800001
	s_xor_b32 exec_lo, exec_lo, s23
	s_cbranch_execnz .LBB2_4800
.LBB2_4268:                             ;   in Loop: Header=BB2_4213 Depth=3
	s_or_b32 exec_lo, exec_lo, s23
	s_and_saveexec_b32 s23, s17
	s_cbranch_execz .LBB2_4270
.LBB2_4269:                             ;   in Loop: Header=BB2_4213 Depth=3
	v_and_b32_sdwa v72, v112, v12 dst_sel:DWORD dst_unused:UNUSED_PAD src0_sel:DWORD src1_sel:BYTE_1
	v_and_b32_e32 v73, 7, v72
	v_bfe_u32 v76, v72, 3, 4
	v_ffbh_u32_e32 v74, v73
	v_cmp_eq_u32_e32 vcc_lo, 0, v76
	v_min_u32_e32 v74, 32, v74
	v_subrev_nc_u32_e32 v75, 28, v74
	v_sub_nc_u32_e32 v74, 29, v74
	v_lshlrev_b32_e32 v72, v75, v72
	v_lshlrev_b32_e32 v75, 16, v12
	v_cndmask_b32_e32 v74, v76, v74, vcc_lo
	v_and_b32_e32 v72, 7, v72
	v_lshl_add_u32 v74, v74, 23, 0x3b800000
	v_cndmask_b32_e32 v72, v73, v72, vcc_lo
	v_and_b32_e32 v73, 0x80000000, v75
	v_lshlrev_b32_e32 v72, 20, v72
	v_or3_b32 v72, v73, v74, v72
.LBB2_4270:                             ;   in Loop: Header=BB2_4213 Depth=3
	s_or_b32 exec_lo, exec_lo, s23
	v_cmp_gt_i16_sdwa s23, v8, v102 src0_sel:BYTE_1 src1_sel:DWORD
	s_mov_b32 s17, 0
	s_and_saveexec_b32 s73, s23
	s_xor_b32 s23, exec_lo, s73
	s_cbranch_execz .LBB2_4801
; %bb.4271:                             ;   in Loop: Header=BB2_4213 Depth=3
	v_cmp_eq_u16_sdwa s74, v8, v103 src0_sel:BYTE_1 src1_sel:DWORD
	s_mov_b32 s17, -1
	s_and_saveexec_b32 s73, s74
; %bb.4272:                             ;   in Loop: Header=BB2_4213 Depth=3
	s_xor_b32 s17, exec_lo, -1
; %bb.4273:                             ;   in Loop: Header=BB2_4213 Depth=3
	s_or_b32 exec_lo, exec_lo, s73
	s_and_b32 s17, s17, exec_lo
	s_or_saveexec_b32 s23, s23
	v_mov_b32_e32 v73, 0x7f800001
	s_xor_b32 exec_lo, exec_lo, s23
	s_cbranch_execnz .LBB2_4802
.LBB2_4274:                             ;   in Loop: Header=BB2_4213 Depth=3
	s_or_b32 exec_lo, exec_lo, s23
	s_and_saveexec_b32 s23, s17
.LBB2_4275:                             ;   in Loop: Header=BB2_4213 Depth=3
	v_mov_b32_e32 v73, v63
.LBB2_4276:                             ;   in Loop: Header=BB2_4213 Depth=3
	s_or_b32 exec_lo, exec_lo, s23
	v_max_f32_e32 v63, v73, v73
	v_max_f32_e32 v72, v72, v72
	v_min_f32_e32 v72, v72, v63
.LBB2_4277:                             ;   in Loop: Header=BB2_4213 Depth=3
	v_and_b32_e32 v63, 0x7f800000, v72
	v_cmp_ne_u32_e32 vcc_lo, 0x7f800000, v63
	v_mov_b32_e32 v63, 0x8000
	s_and_saveexec_b32 s23, vcc_lo
	s_cbranch_execz .LBB2_4285
; %bb.4278:                             ;   in Loop: Header=BB2_4213 Depth=3
	v_mov_b32_e32 v63, 0
	s_mov_b32 s73, exec_lo
	v_cmpx_ne_u32_e32 0, v72
	s_cbranch_execz .LBB2_4284
; %bb.4279:                             ;   in Loop: Header=BB2_4213 Depth=3
	v_bfe_u32 v63, v72, 23, 8
	v_and_b32_e32 v73, 0x7fffff, v72
	v_sub_nc_u32_e32 v74, 0x78, v63
	v_cmp_gt_u32_e32 vcc_lo, 0x79, v63
	v_or_b32_e32 v75, 0x800000, v73
	v_cndmask_b32_e32 v74, 0, v74, vcc_lo
	v_cmp_eq_u32_e32 vcc_lo, 0, v63
	v_add_nc_u32_e32 v63, 0xffffff89, v63
	v_cndmask_b32_e64 v74, v74, 0x77, vcc_lo
	v_cndmask_b32_e32 v73, v75, v73, vcc_lo
	v_cndmask_b32_e64 v63, v63, 0xffffff8a, vcc_lo
	v_lshl_add_u32 v75, 0x100000, v74, -1
	v_lshrrev_b32_e32 v76, v74, v73
	v_lshlrev_b32_e64 v78, v74, 0x80000
	v_add_nc_u32_e32 v74, v74, v63
	v_and_b32_e32 v73, v75, v73
	v_bfe_u32 v77, v76, 20, 1
	v_cmp_eq_u32_e64 s17, v73, v78
	v_add_nc_u32_e32 v75, -1, v77
	v_cndmask_b32_e64 v73, 0, v75, s17
	v_lshrrev_b32_e32 v75, 23, v76
	s_mov_b32 s17, exec_lo
	v_add_nc_u32_e32 v73, v73, v76
	v_xor_b32_e32 v75, 1, v75
	v_and_b32_e32 v63, 0xfffff, v73
	v_add_nc_u32_e32 v73, v63, v76
                                        ; implicit-def: $vgpr63
	v_cmpx_ne_u32_e64 v74, v75
	s_xor_b32 s17, exec_lo, s17
; %bb.4280:                             ;   in Loop: Header=BB2_4213 Depth=3
	v_cmp_lt_u32_e32 vcc_lo, 0xffffff, v73
	v_sub_nc_u32_e32 v63, v74, v75
	v_cndmask_b32_e64 v74, 0, 1, vcc_lo
	v_add_co_ci_u32_e64 v63, null, 0, v63, vcc_lo
	v_lshrrev_b32_e32 v73, v74, v73
; %bb.4281:                             ;   in Loop: Header=BB2_4213 Depth=3
	s_andn2_saveexec_b32 s17, s17
; %bb.4282:                             ;   in Loop: Header=BB2_4213 Depth=3
	v_bfe_u32 v63, v73, 23, 1
; %bb.4283:                             ;   in Loop: Header=BB2_4213 Depth=3
	s_or_b32 exec_lo, exec_lo, s17
	v_lshrrev_b32_e32 v73, 20, v73
	v_min_i32_e32 v74, 15, v63
	v_cmp_gt_i32_e32 vcc_lo, 16, v63
	v_and_b32_sdwa v72, v72, v103 dst_sel:DWORD dst_unused:UNUSED_PAD src0_sel:BYTE_3 src1_sel:DWORD
	v_lshlrev_b32_e32 v74, 3, v74
	v_cndmask_b32_e32 v73, 7, v73, vcc_lo
	v_and_b32_e32 v74, 0xf8, v74
	v_and_b32_e32 v75, 7, v73
	v_or_b32_e32 v63, v63, v73
	v_or3_b32 v72, v72, v74, v75
	v_cmp_ne_u32_e32 vcc_lo, 0, v63
	v_lshlrev_b32_e32 v72, 8, v72
	v_cndmask_b32_e32 v63, 0, v72, vcc_lo
.LBB2_4284:                             ;   in Loop: Header=BB2_4213 Depth=3
	s_or_b32 exec_lo, exec_lo, s73
.LBB2_4285:                             ;   in Loop: Header=BB2_4213 Depth=3
	s_or_b32 exec_lo, exec_lo, s23
	v_bfe_u32 v72, v8, 16, 3
	v_bfe_u32 v75, v8, 19, 4
	v_lshlrev_b32_e32 v76, 8, v8
	s_mov_b32 s17, -1
	v_ffbh_u32_e32 v73, v72
	v_cmp_eq_u32_e32 vcc_lo, 0, v75
	v_min_u32_e32 v73, 32, v73
	v_subrev_nc_u32_e32 v74, 28, v73
	v_sub_nc_u32_e32 v73, 29, v73
	v_lshlrev_b32_sdwa v74, v74, v8 dst_sel:DWORD dst_unused:UNUSED_PAD src0_sel:DWORD src1_sel:WORD_1
	v_cndmask_b32_e32 v73, v75, v73, vcc_lo
	v_and_b32_e32 v74, 7, v74
	v_lshl_add_u32 v73, v73, 23, 0x3b800000
	v_cndmask_b32_e32 v72, v72, v74, vcc_lo
	v_and_b32_e32 v74, 0x80000000, v76
	s_and_b32 vcc_lo, exec_lo, s22
	v_lshlrev_b32_e32 v72, 20, v72
	v_or3_b32 v72, v74, v73, v72
                                        ; implicit-def: $vgpr73
	s_cbranch_vccz .LBB2_4299
; %bb.4286:                             ;   in Loop: Header=BB2_4213 Depth=3
	s_waitcnt vmcnt(0)
	v_and_b32_sdwa v74, v12, v114 dst_sel:DWORD dst_unused:UNUSED_PAD src0_sel:WORD_1 src1_sel:DWORD
	s_mov_b32 s17, 0
	s_mov_b32 s23, exec_lo
	v_cmpx_lt_i16_e32 0x7f, v74
	s_xor_b32 s23, exec_lo, s23
	s_cbranch_execz .LBB2_4803
; %bb.4287:                             ;   in Loop: Header=BB2_4213 Depth=3
	s_mov_b32 s17, -1
	s_mov_b32 s73, exec_lo
	v_cmpx_eq_u16_e32 0x80, v74
; %bb.4288:                             ;   in Loop: Header=BB2_4213 Depth=3
	s_xor_b32 s17, exec_lo, -1
; %bb.4289:                             ;   in Loop: Header=BB2_4213 Depth=3
	s_or_b32 exec_lo, exec_lo, s73
	s_and_b32 s17, s17, exec_lo
                                        ; implicit-def: $vgpr74
	s_or_saveexec_b32 s23, s23
	v_mov_b32_e32 v73, 0x7f800001
	s_xor_b32 exec_lo, exec_lo, s23
	s_cbranch_execnz .LBB2_4804
.LBB2_4290:                             ;   in Loop: Header=BB2_4213 Depth=3
	s_or_b32 exec_lo, exec_lo, s23
	s_and_saveexec_b32 s23, s17
	s_cbranch_execz .LBB2_4292
.LBB2_4291:                             ;   in Loop: Header=BB2_4213 Depth=3
	v_bfe_u32 v73, v12, 16, 3
	v_bfe_u32 v76, v12, 19, 4
	v_lshlrev_b32_sdwa v77, v113, v12 dst_sel:DWORD dst_unused:UNUSED_PAD src0_sel:DWORD src1_sel:WORD_1
	v_ffbh_u32_e32 v74, v73
	v_cmp_eq_u32_e32 vcc_lo, 0, v76
	v_min_u32_e32 v74, 32, v74
	v_subrev_nc_u32_e32 v75, 28, v74
	v_sub_nc_u32_e32 v74, 29, v74
	v_lshlrev_b32_sdwa v75, v75, v12 dst_sel:DWORD dst_unused:UNUSED_PAD src0_sel:DWORD src1_sel:WORD_1
	v_cndmask_b32_e32 v74, v76, v74, vcc_lo
	v_and_b32_e32 v75, 7, v75
	v_lshl_add_u32 v74, v74, 23, 0x3b800000
	v_cndmask_b32_e32 v73, v73, v75, vcc_lo
	v_and_b32_e32 v75, 0x80000000, v77
	v_lshlrev_b32_e32 v73, 20, v73
	v_or3_b32 v73, v75, v74, v73
.LBB2_4292:                             ;   in Loop: Header=BB2_4213 Depth=3
	s_or_b32 exec_lo, exec_lo, s23
	v_and_b32_sdwa v75, v8, v114 dst_sel:DWORD dst_unused:UNUSED_PAD src0_sel:WORD_1 src1_sel:DWORD
	s_mov_b32 s17, 0
	s_mov_b32 s23, exec_lo
	v_cmpx_lt_i16_e32 0x7f, v75
	s_xor_b32 s23, exec_lo, s23
	s_cbranch_execz .LBB2_4805
; %bb.4293:                             ;   in Loop: Header=BB2_4213 Depth=3
	s_mov_b32 s17, -1
	s_mov_b32 s73, exec_lo
	v_cmpx_eq_u16_e32 0x80, v75
; %bb.4294:                             ;   in Loop: Header=BB2_4213 Depth=3
	s_xor_b32 s17, exec_lo, -1
; %bb.4295:                             ;   in Loop: Header=BB2_4213 Depth=3
	s_or_b32 exec_lo, exec_lo, s73
	s_and_b32 s17, s17, exec_lo
                                        ; implicit-def: $vgpr75
	s_or_saveexec_b32 s23, s23
	v_mov_b32_e32 v74, 0x7f800001
	s_xor_b32 exec_lo, exec_lo, s23
	s_cbranch_execnz .LBB2_4806
.LBB2_4296:                             ;   in Loop: Header=BB2_4213 Depth=3
	s_or_b32 exec_lo, exec_lo, s23
	s_and_saveexec_b32 s23, s17
.LBB2_4297:                             ;   in Loop: Header=BB2_4213 Depth=3
	v_mov_b32_e32 v74, v72
.LBB2_4298:                             ;   in Loop: Header=BB2_4213 Depth=3
	s_or_b32 exec_lo, exec_lo, s23
	v_max_f32_e32 v74, v74, v74
	v_max_f32_e32 v73, v73, v73
	s_mov_b32 s17, 0
	v_max_f32_e32 v73, v73, v74
.LBB2_4299:                             ;   in Loop: Header=BB2_4213 Depth=3
	s_and_b32 vcc_lo, exec_lo, s17
	s_cbranch_vccz .LBB2_4313
; %bb.4300:                             ;   in Loop: Header=BB2_4213 Depth=3
	s_waitcnt vmcnt(0)
	v_and_b32_sdwa v74, v12, v114 dst_sel:DWORD dst_unused:UNUSED_PAD src0_sel:WORD_1 src1_sel:DWORD
	s_mov_b32 s17, 0
	s_mov_b32 s23, exec_lo
	v_cmpx_lt_i16_e32 0x7f, v74
	s_xor_b32 s23, exec_lo, s23
	s_cbranch_execz .LBB2_4807
; %bb.4301:                             ;   in Loop: Header=BB2_4213 Depth=3
	s_mov_b32 s17, -1
	s_mov_b32 s73, exec_lo
	v_cmpx_eq_u16_e32 0x80, v74
; %bb.4302:                             ;   in Loop: Header=BB2_4213 Depth=3
	s_xor_b32 s17, exec_lo, -1
; %bb.4303:                             ;   in Loop: Header=BB2_4213 Depth=3
	s_or_b32 exec_lo, exec_lo, s73
	s_and_b32 s17, s17, exec_lo
                                        ; implicit-def: $vgpr74
	s_or_saveexec_b32 s23, s23
	v_mov_b32_e32 v73, 0x7f800001
	s_xor_b32 exec_lo, exec_lo, s23
	s_cbranch_execnz .LBB2_4808
.LBB2_4304:                             ;   in Loop: Header=BB2_4213 Depth=3
	s_or_b32 exec_lo, exec_lo, s23
	s_and_saveexec_b32 s23, s17
	s_cbranch_execz .LBB2_4306
.LBB2_4305:                             ;   in Loop: Header=BB2_4213 Depth=3
	v_bfe_u32 v73, v12, 16, 3
	v_bfe_u32 v76, v12, 19, 4
	v_lshlrev_b32_sdwa v77, v113, v12 dst_sel:DWORD dst_unused:UNUSED_PAD src0_sel:DWORD src1_sel:WORD_1
	v_ffbh_u32_e32 v74, v73
	v_cmp_eq_u32_e32 vcc_lo, 0, v76
	v_min_u32_e32 v74, 32, v74
	v_subrev_nc_u32_e32 v75, 28, v74
	v_sub_nc_u32_e32 v74, 29, v74
	v_lshlrev_b32_sdwa v75, v75, v12 dst_sel:DWORD dst_unused:UNUSED_PAD src0_sel:DWORD src1_sel:WORD_1
	v_cndmask_b32_e32 v74, v76, v74, vcc_lo
	v_and_b32_e32 v75, 7, v75
	v_lshl_add_u32 v74, v74, 23, 0x3b800000
	v_cndmask_b32_e32 v73, v73, v75, vcc_lo
	v_and_b32_e32 v75, 0x80000000, v77
	v_lshlrev_b32_e32 v73, 20, v73
	v_or3_b32 v73, v75, v74, v73
.LBB2_4306:                             ;   in Loop: Header=BB2_4213 Depth=3
	s_or_b32 exec_lo, exec_lo, s23
	v_and_b32_sdwa v75, v8, v114 dst_sel:DWORD dst_unused:UNUSED_PAD src0_sel:WORD_1 src1_sel:DWORD
	s_mov_b32 s17, 0
	s_mov_b32 s23, exec_lo
	v_cmpx_lt_i16_e32 0x7f, v75
	s_xor_b32 s23, exec_lo, s23
	s_cbranch_execz .LBB2_4809
; %bb.4307:                             ;   in Loop: Header=BB2_4213 Depth=3
	s_mov_b32 s17, -1
	s_mov_b32 s73, exec_lo
	v_cmpx_eq_u16_e32 0x80, v75
; %bb.4308:                             ;   in Loop: Header=BB2_4213 Depth=3
	s_xor_b32 s17, exec_lo, -1
; %bb.4309:                             ;   in Loop: Header=BB2_4213 Depth=3
	s_or_b32 exec_lo, exec_lo, s73
	s_and_b32 s17, s17, exec_lo
                                        ; implicit-def: $vgpr75
	s_or_saveexec_b32 s23, s23
	v_mov_b32_e32 v74, 0x7f800001
	s_xor_b32 exec_lo, exec_lo, s23
	s_cbranch_execnz .LBB2_4810
.LBB2_4310:                             ;   in Loop: Header=BB2_4213 Depth=3
	s_or_b32 exec_lo, exec_lo, s23
	s_and_saveexec_b32 s23, s17
.LBB2_4311:                             ;   in Loop: Header=BB2_4213 Depth=3
	v_mov_b32_e32 v74, v72
.LBB2_4312:                             ;   in Loop: Header=BB2_4213 Depth=3
	s_or_b32 exec_lo, exec_lo, s23
	v_max_f32_e32 v72, v74, v74
	v_max_f32_e32 v73, v73, v73
	v_min_f32_e32 v73, v73, v72
.LBB2_4313:                             ;   in Loop: Header=BB2_4213 Depth=3
	v_and_b32_e32 v72, 0x7f800000, v73
	v_cmp_ne_u32_e32 vcc_lo, 0x7f800000, v72
	v_mov_b32_e32 v72, 0x80
	s_and_saveexec_b32 s23, vcc_lo
	s_cbranch_execz .LBB2_4321
; %bb.4314:                             ;   in Loop: Header=BB2_4213 Depth=3
	v_mov_b32_e32 v72, 0
	s_mov_b32 s73, exec_lo
	v_cmpx_ne_u32_e32 0, v73
	s_cbranch_execz .LBB2_4320
; %bb.4315:                             ;   in Loop: Header=BB2_4213 Depth=3
	v_bfe_u32 v72, v73, 23, 8
	v_and_b32_e32 v74, 0x7fffff, v73
	v_sub_nc_u32_e32 v75, 0x78, v72
	v_cmp_gt_u32_e32 vcc_lo, 0x79, v72
	v_or_b32_e32 v76, 0x800000, v74
	v_cndmask_b32_e32 v75, 0, v75, vcc_lo
	v_cmp_eq_u32_e32 vcc_lo, 0, v72
	v_add_nc_u32_e32 v72, 0xffffff89, v72
	v_cndmask_b32_e64 v75, v75, 0x77, vcc_lo
	v_cndmask_b32_e32 v74, v76, v74, vcc_lo
	v_cndmask_b32_e64 v72, v72, 0xffffff8a, vcc_lo
	v_lshl_add_u32 v76, 0x100000, v75, -1
	v_lshrrev_b32_e32 v77, v75, v74
	v_lshlrev_b32_e64 v79, v75, 0x80000
	v_add_nc_u32_e32 v75, v75, v72
	v_and_b32_e32 v74, v76, v74
	v_bfe_u32 v78, v77, 20, 1
	v_cmp_eq_u32_e64 s17, v74, v79
	v_add_nc_u32_e32 v76, -1, v78
	v_cndmask_b32_e64 v74, 0, v76, s17
	v_lshrrev_b32_e32 v76, 23, v77
	s_mov_b32 s17, exec_lo
	v_add_nc_u32_e32 v74, v74, v77
	v_xor_b32_e32 v76, 1, v76
	v_and_b32_e32 v72, 0xfffff, v74
	v_add_nc_u32_e32 v74, v72, v77
                                        ; implicit-def: $vgpr72
	v_cmpx_ne_u32_e64 v75, v76
	s_xor_b32 s17, exec_lo, s17
; %bb.4316:                             ;   in Loop: Header=BB2_4213 Depth=3
	v_cmp_lt_u32_e32 vcc_lo, 0xffffff, v74
	v_sub_nc_u32_e32 v72, v75, v76
	v_cndmask_b32_e64 v75, 0, 1, vcc_lo
	v_add_co_ci_u32_e64 v72, null, 0, v72, vcc_lo
	v_lshrrev_b32_e32 v74, v75, v74
; %bb.4317:                             ;   in Loop: Header=BB2_4213 Depth=3
	s_andn2_saveexec_b32 s17, s17
; %bb.4318:                             ;   in Loop: Header=BB2_4213 Depth=3
	v_bfe_u32 v72, v74, 23, 1
; %bb.4319:                             ;   in Loop: Header=BB2_4213 Depth=3
	s_or_b32 exec_lo, exec_lo, s17
	v_lshrrev_b32_e32 v74, 20, v74
	v_min_i32_e32 v75, 15, v72
	v_cmp_gt_i32_e32 vcc_lo, 16, v72
	v_and_b32_sdwa v73, v73, v103 dst_sel:DWORD dst_unused:UNUSED_PAD src0_sel:BYTE_3 src1_sel:DWORD
	v_lshlrev_b32_e32 v75, 3, v75
	v_cndmask_b32_e32 v74, 7, v74, vcc_lo
	v_and_b32_e32 v75, 0xf8, v75
	v_and_b32_e32 v76, 7, v74
	v_or_b32_e32 v72, v72, v74
	v_or3_b32 v73, v75, v73, v76
	v_cmp_ne_u32_e32 vcc_lo, 0, v72
	v_cndmask_b32_e32 v72, 0, v73, vcc_lo
.LBB2_4320:                             ;   in Loop: Header=BB2_4213 Depth=3
	s_or_b32 exec_lo, exec_lo, s73
.LBB2_4321:                             ;   in Loop: Header=BB2_4213 Depth=3
	s_or_b32 exec_lo, exec_lo, s23
	v_bfe_u32 v73, v8, 24, 3
	v_bfe_u32 v76, v8, 27, 4
	s_mov_b32 s17, -1
	v_ffbh_u32_e32 v74, v73
	v_cmp_eq_u32_e32 vcc_lo, 0, v76
	v_min_u32_e32 v74, 32, v74
	v_subrev_nc_u32_e32 v75, 28, v74
	v_sub_nc_u32_e32 v74, 29, v74
	v_lshlrev_b32_sdwa v75, v75, v8 dst_sel:DWORD dst_unused:UNUSED_PAD src0_sel:DWORD src1_sel:BYTE_3
	v_cndmask_b32_e32 v74, v76, v74, vcc_lo
	v_and_b32_e32 v75, 7, v75
	v_lshl_add_u32 v74, v74, 23, 0x3b800000
	v_cndmask_b32_e32 v73, v73, v75, vcc_lo
	v_and_b32_e32 v75, 0x80000000, v8
	s_and_b32 vcc_lo, exec_lo, s22
	v_lshlrev_b32_e32 v73, 20, v73
	v_or3_b32 v73, v75, v74, v73
                                        ; implicit-def: $vgpr74
	s_cbranch_vccz .LBB2_4335
; %bb.4322:                             ;   in Loop: Header=BB2_4213 Depth=3
	s_waitcnt vmcnt(0)
	v_cmp_gt_i16_sdwa s23, v12, v102 src0_sel:BYTE_3 src1_sel:DWORD
	s_mov_b32 s17, 0
	s_and_saveexec_b32 s73, s23
	s_xor_b32 s23, exec_lo, s73
	s_cbranch_execz .LBB2_4811
; %bb.4323:                             ;   in Loop: Header=BB2_4213 Depth=3
	v_cmp_eq_u16_sdwa s74, v12, v103 src0_sel:BYTE_3 src1_sel:DWORD
	s_mov_b32 s17, -1
	s_and_saveexec_b32 s73, s74
; %bb.4324:                             ;   in Loop: Header=BB2_4213 Depth=3
	s_xor_b32 s17, exec_lo, -1
; %bb.4325:                             ;   in Loop: Header=BB2_4213 Depth=3
	s_or_b32 exec_lo, exec_lo, s73
	s_and_b32 s17, s17, exec_lo
	s_or_saveexec_b32 s23, s23
	v_mov_b32_e32 v74, 0x7f800001
	s_xor_b32 exec_lo, exec_lo, s23
	s_cbranch_execnz .LBB2_4812
.LBB2_4326:                             ;   in Loop: Header=BB2_4213 Depth=3
	s_or_b32 exec_lo, exec_lo, s23
	s_and_saveexec_b32 s23, s17
	s_cbranch_execz .LBB2_4328
.LBB2_4327:                             ;   in Loop: Header=BB2_4213 Depth=3
	v_bfe_u32 v74, v12, 24, 3
	v_bfe_u32 v77, v12, 27, 4
	v_ffbh_u32_e32 v75, v74
	v_cmp_eq_u32_e32 vcc_lo, 0, v77
	v_min_u32_e32 v75, 32, v75
	v_subrev_nc_u32_e32 v76, 28, v75
	v_sub_nc_u32_e32 v75, 29, v75
	v_lshlrev_b32_sdwa v76, v76, v12 dst_sel:DWORD dst_unused:UNUSED_PAD src0_sel:DWORD src1_sel:BYTE_3
	v_cndmask_b32_e32 v75, v77, v75, vcc_lo
	v_and_b32_e32 v76, 7, v76
	v_lshl_add_u32 v75, v75, 23, 0x3b800000
	v_cndmask_b32_e32 v74, v74, v76, vcc_lo
	v_and_b32_e32 v76, 0x80000000, v12
	v_lshlrev_b32_e32 v74, 20, v74
	v_or3_b32 v74, v76, v75, v74
.LBB2_4328:                             ;   in Loop: Header=BB2_4213 Depth=3
	s_or_b32 exec_lo, exec_lo, s23
	v_cmp_gt_i16_sdwa s23, v8, v102 src0_sel:BYTE_3 src1_sel:DWORD
	s_mov_b32 s17, 0
	s_and_saveexec_b32 s73, s23
	s_xor_b32 s23, exec_lo, s73
	s_cbranch_execz .LBB2_4813
; %bb.4329:                             ;   in Loop: Header=BB2_4213 Depth=3
	v_cmp_eq_u16_sdwa s74, v8, v103 src0_sel:BYTE_3 src1_sel:DWORD
	s_mov_b32 s17, -1
	s_and_saveexec_b32 s73, s74
; %bb.4330:                             ;   in Loop: Header=BB2_4213 Depth=3
	s_xor_b32 s17, exec_lo, -1
; %bb.4331:                             ;   in Loop: Header=BB2_4213 Depth=3
	s_or_b32 exec_lo, exec_lo, s73
	s_and_b32 s17, s17, exec_lo
	s_or_saveexec_b32 s23, s23
	v_mov_b32_e32 v75, 0x7f800001
	s_xor_b32 exec_lo, exec_lo, s23
	s_cbranch_execnz .LBB2_4814
.LBB2_4332:                             ;   in Loop: Header=BB2_4213 Depth=3
	s_or_b32 exec_lo, exec_lo, s23
	s_and_saveexec_b32 s23, s17
.LBB2_4333:                             ;   in Loop: Header=BB2_4213 Depth=3
	v_mov_b32_e32 v75, v73
.LBB2_4334:                             ;   in Loop: Header=BB2_4213 Depth=3
	s_or_b32 exec_lo, exec_lo, s23
	v_max_f32_e32 v75, v75, v75
	v_max_f32_e32 v74, v74, v74
	s_mov_b32 s17, 0
	v_max_f32_e32 v74, v74, v75
.LBB2_4335:                             ;   in Loop: Header=BB2_4213 Depth=3
	s_and_b32 vcc_lo, exec_lo, s17
	s_cbranch_vccz .LBB2_4349
; %bb.4336:                             ;   in Loop: Header=BB2_4213 Depth=3
	s_waitcnt vmcnt(0)
	v_cmp_gt_i16_sdwa s23, v12, v102 src0_sel:BYTE_3 src1_sel:DWORD
	s_mov_b32 s17, 0
	s_and_saveexec_b32 s73, s23
	s_xor_b32 s23, exec_lo, s73
	s_cbranch_execz .LBB2_4815
; %bb.4337:                             ;   in Loop: Header=BB2_4213 Depth=3
	v_cmp_eq_u16_sdwa s74, v12, v103 src0_sel:BYTE_3 src1_sel:DWORD
	s_mov_b32 s17, -1
	s_and_saveexec_b32 s73, s74
; %bb.4338:                             ;   in Loop: Header=BB2_4213 Depth=3
	s_xor_b32 s17, exec_lo, -1
; %bb.4339:                             ;   in Loop: Header=BB2_4213 Depth=3
	s_or_b32 exec_lo, exec_lo, s73
	s_and_b32 s17, s17, exec_lo
	s_or_saveexec_b32 s23, s23
	v_mov_b32_e32 v74, 0x7f800001
	s_xor_b32 exec_lo, exec_lo, s23
	s_cbranch_execnz .LBB2_4816
.LBB2_4340:                             ;   in Loop: Header=BB2_4213 Depth=3
	s_or_b32 exec_lo, exec_lo, s23
	s_and_saveexec_b32 s23, s17
	s_cbranch_execz .LBB2_4342
.LBB2_4341:                             ;   in Loop: Header=BB2_4213 Depth=3
	v_bfe_u32 v74, v12, 24, 3
	v_bfe_u32 v77, v12, 27, 4
	v_ffbh_u32_e32 v75, v74
	v_cmp_eq_u32_e32 vcc_lo, 0, v77
	v_min_u32_e32 v75, 32, v75
	v_subrev_nc_u32_e32 v76, 28, v75
	v_sub_nc_u32_e32 v75, 29, v75
	v_lshlrev_b32_sdwa v76, v76, v12 dst_sel:DWORD dst_unused:UNUSED_PAD src0_sel:DWORD src1_sel:BYTE_3
	v_cndmask_b32_e32 v75, v77, v75, vcc_lo
	v_and_b32_e32 v12, 0x80000000, v12
	v_and_b32_e32 v76, 7, v76
	v_lshl_add_u32 v75, v75, 23, 0x3b800000
	v_cndmask_b32_e32 v74, v74, v76, vcc_lo
	v_lshlrev_b32_e32 v74, 20, v74
	v_or3_b32 v74, v12, v75, v74
.LBB2_4342:                             ;   in Loop: Header=BB2_4213 Depth=3
	s_or_b32 exec_lo, exec_lo, s23
	v_cmp_gt_i16_sdwa s23, v8, v102 src0_sel:BYTE_3 src1_sel:DWORD
	s_mov_b32 s17, 0
	s_and_saveexec_b32 s73, s23
	s_xor_b32 s23, exec_lo, s73
	s_cbranch_execz .LBB2_4817
; %bb.4343:                             ;   in Loop: Header=BB2_4213 Depth=3
	v_cmp_eq_u16_sdwa s74, v8, v103 src0_sel:BYTE_3 src1_sel:DWORD
	s_mov_b32 s17, -1
	s_and_saveexec_b32 s73, s74
; %bb.4344:                             ;   in Loop: Header=BB2_4213 Depth=3
	s_xor_b32 s17, exec_lo, -1
; %bb.4345:                             ;   in Loop: Header=BB2_4213 Depth=3
	s_or_b32 exec_lo, exec_lo, s73
	s_and_b32 s17, s17, exec_lo
	s_or_saveexec_b32 s23, s23
	v_mov_b32_e32 v12, 0x7f800001
	s_xor_b32 exec_lo, exec_lo, s23
	s_cbranch_execnz .LBB2_4818
.LBB2_4346:                             ;   in Loop: Header=BB2_4213 Depth=3
	s_or_b32 exec_lo, exec_lo, s23
	s_and_saveexec_b32 s23, s17
.LBB2_4347:                             ;   in Loop: Header=BB2_4213 Depth=3
	v_mov_b32_e32 v12, v73
.LBB2_4348:                             ;   in Loop: Header=BB2_4213 Depth=3
	s_or_b32 exec_lo, exec_lo, s23
	v_max_f32_e32 v8, v12, v12
	v_max_f32_e32 v12, v74, v74
	v_min_f32_e32 v74, v12, v8
.LBB2_4349:                             ;   in Loop: Header=BB2_4213 Depth=3
	v_and_b32_e32 v8, 0x7f800000, v74
	s_waitcnt vmcnt(0)
	v_mov_b32_e32 v12, 0x8000
	s_mov_b32 s23, exec_lo
	v_cmpx_ne_u32_e32 0x7f800000, v8
	s_cbranch_execz .LBB2_4357
; %bb.4350:                             ;   in Loop: Header=BB2_4213 Depth=3
	v_mov_b32_e32 v12, 0
	s_mov_b32 s73, exec_lo
	v_cmpx_ne_u32_e32 0, v74
	s_cbranch_execz .LBB2_4356
; %bb.4351:                             ;   in Loop: Header=BB2_4213 Depth=3
	v_bfe_u32 v8, v74, 23, 8
	v_and_b32_e32 v12, 0x7fffff, v74
	v_sub_nc_u32_e32 v73, 0x78, v8
	v_cmp_gt_u32_e32 vcc_lo, 0x79, v8
	v_or_b32_e32 v75, 0x800000, v12
	v_cndmask_b32_e32 v73, 0, v73, vcc_lo
	v_cmp_eq_u32_e32 vcc_lo, 0, v8
	v_add_nc_u32_e32 v8, 0xffffff89, v8
	v_cndmask_b32_e64 v73, v73, 0x77, vcc_lo
	v_cndmask_b32_e32 v12, v75, v12, vcc_lo
	v_cndmask_b32_e64 v8, v8, 0xffffff8a, vcc_lo
	v_lshl_add_u32 v75, 0x100000, v73, -1
	v_lshrrev_b32_e32 v76, v73, v12
	v_lshlrev_b32_e64 v78, v73, 0x80000
	v_add_nc_u32_e32 v73, v73, v8
	v_and_b32_e32 v12, v75, v12
	v_bfe_u32 v77, v76, 20, 1
	v_cmp_eq_u32_e64 s17, v12, v78
	v_add_nc_u32_e32 v75, -1, v77
	v_cndmask_b32_e64 v12, 0, v75, s17
	v_lshrrev_b32_e32 v75, 23, v76
	s_mov_b32 s17, exec_lo
	v_add_nc_u32_e32 v12, v12, v76
	v_xor_b32_e32 v75, 1, v75
	v_and_b32_e32 v8, 0xfffff, v12
	v_add_nc_u32_e32 v12, v8, v76
                                        ; implicit-def: $vgpr8
	v_cmpx_ne_u32_e64 v73, v75
	s_xor_b32 s17, exec_lo, s17
; %bb.4352:                             ;   in Loop: Header=BB2_4213 Depth=3
	v_cmp_lt_u32_e32 vcc_lo, 0xffffff, v12
	v_sub_nc_u32_e32 v8, v73, v75
	v_cndmask_b32_e64 v73, 0, 1, vcc_lo
	v_add_co_ci_u32_e64 v8, null, 0, v8, vcc_lo
	v_lshrrev_b32_e32 v12, v73, v12
; %bb.4353:                             ;   in Loop: Header=BB2_4213 Depth=3
	s_andn2_saveexec_b32 s17, s17
; %bb.4354:                             ;   in Loop: Header=BB2_4213 Depth=3
	v_bfe_u32 v8, v12, 23, 1
; %bb.4355:                             ;   in Loop: Header=BB2_4213 Depth=3
	s_or_b32 exec_lo, exec_lo, s17
	v_lshrrev_b32_e32 v12, 20, v12
	v_min_i32_e32 v73, 15, v8
	v_cmp_gt_i32_e32 vcc_lo, 16, v8
	v_and_b32_sdwa v74, v74, v103 dst_sel:DWORD dst_unused:UNUSED_PAD src0_sel:BYTE_3 src1_sel:DWORD
	v_lshlrev_b32_e32 v73, 3, v73
	v_cndmask_b32_e32 v12, 7, v12, vcc_lo
	v_and_b32_e32 v73, 0xf8, v73
	v_and_b32_e32 v75, 7, v12
	v_or_b32_e32 v8, v8, v12
	v_or3_b32 v73, v74, v73, v75
	v_cmp_ne_u32_e32 vcc_lo, 0, v8
	v_lshlrev_b32_e32 v12, 8, v73
	v_cndmask_b32_e32 v12, 0, v12, vcc_lo
.LBB2_4356:                             ;   in Loop: Header=BB2_4213 Depth=3
	s_or_b32 exec_lo, exec_lo, s73
.LBB2_4357:                             ;   in Loop: Header=BB2_4213 Depth=3
	s_or_b32 exec_lo, exec_lo, s23
	v_and_b32_e32 v8, 7, v9
	v_bfe_u32 v75, v9, 3, 4
	v_lshlrev_b32_e32 v76, 24, v9
	s_mov_b32 s17, -1
	v_ffbh_u32_e32 v73, v8
	v_cmp_eq_u32_e32 vcc_lo, 0, v75
	v_min_u32_e32 v73, 32, v73
	v_subrev_nc_u32_e32 v74, 28, v73
	v_sub_nc_u32_e32 v73, 29, v73
	v_lshlrev_b32_e32 v74, v74, v9
	v_cndmask_b32_e32 v73, v75, v73, vcc_lo
	v_and_b32_e32 v74, 7, v74
	v_lshl_add_u32 v73, v73, 23, 0x3b800000
	v_cndmask_b32_e32 v8, v8, v74, vcc_lo
	v_and_b32_e32 v74, 0x80000000, v76
	s_and_b32 vcc_lo, exec_lo, s22
	v_lshlrev_b32_e32 v8, 20, v8
	v_or3_b32 v8, v74, v73, v8
                                        ; implicit-def: $vgpr74
	s_cbranch_vccz .LBB2_4371
; %bb.4358:                             ;   in Loop: Header=BB2_4213 Depth=3
	v_cmp_gt_i16_sdwa s23, v13, v102 src0_sel:BYTE_0 src1_sel:DWORD
	s_mov_b32 s17, 0
	s_and_saveexec_b32 s73, s23
	s_xor_b32 s23, exec_lo, s73
	s_cbranch_execz .LBB2_4819
; %bb.4359:                             ;   in Loop: Header=BB2_4213 Depth=3
	v_cmp_eq_u16_sdwa s74, v13, v103 src0_sel:BYTE_0 src1_sel:DWORD
	s_mov_b32 s17, -1
	s_and_saveexec_b32 s73, s74
; %bb.4360:                             ;   in Loop: Header=BB2_4213 Depth=3
	s_xor_b32 s17, exec_lo, -1
; %bb.4361:                             ;   in Loop: Header=BB2_4213 Depth=3
	s_or_b32 exec_lo, exec_lo, s73
	s_and_b32 s17, s17, exec_lo
	s_or_saveexec_b32 s23, s23
	v_mov_b32_e32 v73, 0x7f800001
	s_xor_b32 exec_lo, exec_lo, s23
	s_cbranch_execnz .LBB2_4820
.LBB2_4362:                             ;   in Loop: Header=BB2_4213 Depth=3
	s_or_b32 exec_lo, exec_lo, s23
	s_and_saveexec_b32 s23, s17
	s_cbranch_execz .LBB2_4364
.LBB2_4363:                             ;   in Loop: Header=BB2_4213 Depth=3
	v_and_b32_e32 v73, 7, v13
	v_bfe_u32 v76, v13, 3, 4
	v_lshlrev_b32_e32 v77, 24, v13
	v_ffbh_u32_e32 v74, v73
	v_cmp_eq_u32_e32 vcc_lo, 0, v76
	v_min_u32_e32 v74, 32, v74
	v_subrev_nc_u32_e32 v75, 28, v74
	v_sub_nc_u32_e32 v74, 29, v74
	v_lshlrev_b32_e32 v75, v75, v13
	v_cndmask_b32_e32 v74, v76, v74, vcc_lo
	v_and_b32_e32 v75, 7, v75
	v_lshl_add_u32 v74, v74, 23, 0x3b800000
	v_cndmask_b32_e32 v73, v73, v75, vcc_lo
	v_and_b32_e32 v75, 0x80000000, v77
	v_lshlrev_b32_e32 v73, 20, v73
	v_or3_b32 v73, v75, v74, v73
.LBB2_4364:                             ;   in Loop: Header=BB2_4213 Depth=3
	s_or_b32 exec_lo, exec_lo, s23
	v_cmp_gt_i16_sdwa s23, v9, v102 src0_sel:BYTE_0 src1_sel:DWORD
	s_mov_b32 s17, 0
	s_and_saveexec_b32 s73, s23
	s_xor_b32 s23, exec_lo, s73
	s_cbranch_execz .LBB2_4821
; %bb.4365:                             ;   in Loop: Header=BB2_4213 Depth=3
	v_cmp_eq_u16_sdwa s74, v9, v103 src0_sel:BYTE_0 src1_sel:DWORD
	s_mov_b32 s17, -1
	s_and_saveexec_b32 s73, s74
; %bb.4366:                             ;   in Loop: Header=BB2_4213 Depth=3
	s_xor_b32 s17, exec_lo, -1
; %bb.4367:                             ;   in Loop: Header=BB2_4213 Depth=3
	s_or_b32 exec_lo, exec_lo, s73
	s_and_b32 s17, s17, exec_lo
	s_or_saveexec_b32 s23, s23
	v_mov_b32_e32 v74, 0x7f800001
	s_xor_b32 exec_lo, exec_lo, s23
	s_cbranch_execnz .LBB2_4822
.LBB2_4368:                             ;   in Loop: Header=BB2_4213 Depth=3
	s_or_b32 exec_lo, exec_lo, s23
	s_and_saveexec_b32 s23, s17
.LBB2_4369:                             ;   in Loop: Header=BB2_4213 Depth=3
	v_mov_b32_e32 v74, v8
.LBB2_4370:                             ;   in Loop: Header=BB2_4213 Depth=3
	s_or_b32 exec_lo, exec_lo, s23
	v_max_f32_e32 v74, v74, v74
	v_max_f32_e32 v73, v73, v73
	s_mov_b32 s17, 0
	v_max_f32_e32 v74, v73, v74
.LBB2_4371:                             ;   in Loop: Header=BB2_4213 Depth=3
	s_and_b32 vcc_lo, exec_lo, s17
	s_cbranch_vccz .LBB2_4385
; %bb.4372:                             ;   in Loop: Header=BB2_4213 Depth=3
	v_cmp_gt_i16_sdwa s23, v13, v102 src0_sel:BYTE_0 src1_sel:DWORD
	s_mov_b32 s17, 0
	s_and_saveexec_b32 s73, s23
	s_xor_b32 s23, exec_lo, s73
	s_cbranch_execz .LBB2_4823
; %bb.4373:                             ;   in Loop: Header=BB2_4213 Depth=3
	v_cmp_eq_u16_sdwa s74, v13, v103 src0_sel:BYTE_0 src1_sel:DWORD
	s_mov_b32 s17, -1
	s_and_saveexec_b32 s73, s74
; %bb.4374:                             ;   in Loop: Header=BB2_4213 Depth=3
	s_xor_b32 s17, exec_lo, -1
; %bb.4375:                             ;   in Loop: Header=BB2_4213 Depth=3
	s_or_b32 exec_lo, exec_lo, s73
	s_and_b32 s17, s17, exec_lo
	s_or_saveexec_b32 s23, s23
	v_mov_b32_e32 v73, 0x7f800001
	s_xor_b32 exec_lo, exec_lo, s23
	s_cbranch_execnz .LBB2_4824
.LBB2_4376:                             ;   in Loop: Header=BB2_4213 Depth=3
	s_or_b32 exec_lo, exec_lo, s23
	s_and_saveexec_b32 s23, s17
	s_cbranch_execz .LBB2_4378
.LBB2_4377:                             ;   in Loop: Header=BB2_4213 Depth=3
	v_and_b32_e32 v73, 7, v13
	v_bfe_u32 v76, v13, 3, 4
	v_lshlrev_b32_e32 v77, 24, v13
	v_ffbh_u32_e32 v74, v73
	v_cmp_eq_u32_e32 vcc_lo, 0, v76
	v_min_u32_e32 v74, 32, v74
	v_subrev_nc_u32_e32 v75, 28, v74
	v_sub_nc_u32_e32 v74, 29, v74
	v_lshlrev_b32_e32 v75, v75, v13
	v_cndmask_b32_e32 v74, v76, v74, vcc_lo
	v_and_b32_e32 v75, 7, v75
	v_lshl_add_u32 v74, v74, 23, 0x3b800000
	v_cndmask_b32_e32 v73, v73, v75, vcc_lo
	v_and_b32_e32 v75, 0x80000000, v77
	v_lshlrev_b32_e32 v73, 20, v73
	v_or3_b32 v73, v75, v74, v73
.LBB2_4378:                             ;   in Loop: Header=BB2_4213 Depth=3
	s_or_b32 exec_lo, exec_lo, s23
	v_cmp_gt_i16_sdwa s23, v9, v102 src0_sel:BYTE_0 src1_sel:DWORD
	s_mov_b32 s17, 0
	s_and_saveexec_b32 s73, s23
	s_xor_b32 s23, exec_lo, s73
	s_cbranch_execz .LBB2_4825
; %bb.4379:                             ;   in Loop: Header=BB2_4213 Depth=3
	v_cmp_eq_u16_sdwa s74, v9, v103 src0_sel:BYTE_0 src1_sel:DWORD
	s_mov_b32 s17, -1
	s_and_saveexec_b32 s73, s74
; %bb.4380:                             ;   in Loop: Header=BB2_4213 Depth=3
	s_xor_b32 s17, exec_lo, -1
; %bb.4381:                             ;   in Loop: Header=BB2_4213 Depth=3
	s_or_b32 exec_lo, exec_lo, s73
	s_and_b32 s17, s17, exec_lo
	s_or_saveexec_b32 s23, s23
	v_mov_b32_e32 v74, 0x7f800001
	s_xor_b32 exec_lo, exec_lo, s23
	s_cbranch_execnz .LBB2_4826
.LBB2_4382:                             ;   in Loop: Header=BB2_4213 Depth=3
	s_or_b32 exec_lo, exec_lo, s23
	s_and_saveexec_b32 s23, s17
.LBB2_4383:                             ;   in Loop: Header=BB2_4213 Depth=3
	v_mov_b32_e32 v74, v8
.LBB2_4384:                             ;   in Loop: Header=BB2_4213 Depth=3
	s_or_b32 exec_lo, exec_lo, s23
	v_max_f32_e32 v8, v74, v74
	v_max_f32_e32 v73, v73, v73
	v_min_f32_e32 v74, v73, v8
.LBB2_4385:                             ;   in Loop: Header=BB2_4213 Depth=3
	v_and_b32_e32 v8, 0x7f800000, v74
	v_mov_b32_e32 v73, 0x80
	s_mov_b32 s23, exec_lo
	v_cmpx_ne_u32_e32 0x7f800000, v8
	s_cbranch_execz .LBB2_4393
; %bb.4386:                             ;   in Loop: Header=BB2_4213 Depth=3
	v_mov_b32_e32 v73, 0
	s_mov_b32 s73, exec_lo
	v_cmpx_ne_u32_e32 0, v74
	s_cbranch_execz .LBB2_4392
; %bb.4387:                             ;   in Loop: Header=BB2_4213 Depth=3
	v_bfe_u32 v8, v74, 23, 8
	v_and_b32_e32 v73, 0x7fffff, v74
	v_sub_nc_u32_e32 v75, 0x78, v8
	v_cmp_gt_u32_e32 vcc_lo, 0x79, v8
	v_or_b32_e32 v76, 0x800000, v73
	v_cndmask_b32_e32 v75, 0, v75, vcc_lo
	v_cmp_eq_u32_e32 vcc_lo, 0, v8
	v_add_nc_u32_e32 v8, 0xffffff89, v8
	v_cndmask_b32_e64 v75, v75, 0x77, vcc_lo
	v_cndmask_b32_e32 v73, v76, v73, vcc_lo
	v_cndmask_b32_e64 v8, v8, 0xffffff8a, vcc_lo
	v_lshl_add_u32 v76, 0x100000, v75, -1
	v_lshrrev_b32_e32 v77, v75, v73
	v_lshlrev_b32_e64 v79, v75, 0x80000
	v_add_nc_u32_e32 v75, v75, v8
	v_and_b32_e32 v73, v76, v73
	v_bfe_u32 v78, v77, 20, 1
	v_cmp_eq_u32_e64 s17, v73, v79
	v_add_nc_u32_e32 v76, -1, v78
	v_cndmask_b32_e64 v73, 0, v76, s17
	v_lshrrev_b32_e32 v76, 23, v77
	s_mov_b32 s17, exec_lo
	v_add_nc_u32_e32 v73, v73, v77
	v_xor_b32_e32 v76, 1, v76
	v_and_b32_e32 v8, 0xfffff, v73
	v_add_nc_u32_e32 v73, v8, v77
                                        ; implicit-def: $vgpr8
	v_cmpx_ne_u32_e64 v75, v76
	s_xor_b32 s17, exec_lo, s17
; %bb.4388:                             ;   in Loop: Header=BB2_4213 Depth=3
	v_cmp_lt_u32_e32 vcc_lo, 0xffffff, v73
	v_sub_nc_u32_e32 v8, v75, v76
	v_cndmask_b32_e64 v75, 0, 1, vcc_lo
	v_add_co_ci_u32_e64 v8, null, 0, v8, vcc_lo
	v_lshrrev_b32_e32 v73, v75, v73
; %bb.4389:                             ;   in Loop: Header=BB2_4213 Depth=3
	s_andn2_saveexec_b32 s17, s17
; %bb.4390:                             ;   in Loop: Header=BB2_4213 Depth=3
	v_bfe_u32 v8, v73, 23, 1
; %bb.4391:                             ;   in Loop: Header=BB2_4213 Depth=3
	s_or_b32 exec_lo, exec_lo, s17
	v_lshrrev_b32_e32 v73, 20, v73
	v_min_i32_e32 v75, 15, v8
	v_cmp_gt_i32_e32 vcc_lo, 16, v8
	v_and_b32_sdwa v74, v74, v103 dst_sel:DWORD dst_unused:UNUSED_PAD src0_sel:BYTE_3 src1_sel:DWORD
	v_lshlrev_b32_e32 v75, 3, v75
	v_cndmask_b32_e32 v73, 7, v73, vcc_lo
	v_and_b32_e32 v75, 0xf8, v75
	v_and_b32_e32 v76, 7, v73
	v_or_b32_e32 v8, v8, v73
	v_or3_b32 v73, v75, v74, v76
	v_cmp_ne_u32_e32 vcc_lo, 0, v8
	v_cndmask_b32_e32 v73, 0, v73, vcc_lo
.LBB2_4392:                             ;   in Loop: Header=BB2_4213 Depth=3
	s_or_b32 exec_lo, exec_lo, s73
.LBB2_4393:                             ;   in Loop: Header=BB2_4213 Depth=3
	s_or_b32 exec_lo, exec_lo, s23
	v_and_b32_sdwa v8, v112, v9 dst_sel:DWORD dst_unused:UNUSED_PAD src0_sel:DWORD src1_sel:BYTE_1
	s_mov_b32 s17, -1
	v_and_b32_e32 v74, 7, v8
	v_bfe_u32 v77, v8, 3, 4
	v_ffbh_u32_e32 v75, v74
	v_cmp_eq_u32_e32 vcc_lo, 0, v77
	v_min_u32_e32 v75, 32, v75
	v_subrev_nc_u32_e32 v76, 28, v75
	v_sub_nc_u32_e32 v75, 29, v75
	v_lshlrev_b32_e32 v8, v76, v8
	v_lshlrev_b32_sdwa v76, v113, v9 dst_sel:DWORD dst_unused:UNUSED_PAD src0_sel:DWORD src1_sel:BYTE_1
	v_cndmask_b32_e32 v75, v77, v75, vcc_lo
	v_and_b32_e32 v8, 7, v8
	v_lshl_add_u32 v75, v75, 23, 0x3b800000
	v_cndmask_b32_e32 v8, v74, v8, vcc_lo
	v_and_b32_e32 v74, 0x80000000, v76
	s_and_b32 vcc_lo, exec_lo, s22
	v_lshlrev_b32_e32 v8, 20, v8
	v_or3_b32 v8, v74, v75, v8
                                        ; implicit-def: $vgpr75
	s_cbranch_vccz .LBB2_4407
; %bb.4394:                             ;   in Loop: Header=BB2_4213 Depth=3
	v_cmp_gt_i16_sdwa s23, v13, v102 src0_sel:BYTE_1 src1_sel:DWORD
	s_mov_b32 s17, 0
	s_and_saveexec_b32 s73, s23
	s_xor_b32 s23, exec_lo, s73
	s_cbranch_execz .LBB2_4827
; %bb.4395:                             ;   in Loop: Header=BB2_4213 Depth=3
	v_cmp_eq_u16_sdwa s74, v13, v103 src0_sel:BYTE_1 src1_sel:DWORD
	s_mov_b32 s17, -1
	s_and_saveexec_b32 s73, s74
; %bb.4396:                             ;   in Loop: Header=BB2_4213 Depth=3
	s_xor_b32 s17, exec_lo, -1
; %bb.4397:                             ;   in Loop: Header=BB2_4213 Depth=3
	s_or_b32 exec_lo, exec_lo, s73
	s_and_b32 s17, s17, exec_lo
	s_or_saveexec_b32 s23, s23
	v_mov_b32_e32 v74, 0x7f800001
	s_xor_b32 exec_lo, exec_lo, s23
	s_cbranch_execnz .LBB2_4828
.LBB2_4398:                             ;   in Loop: Header=BB2_4213 Depth=3
	s_or_b32 exec_lo, exec_lo, s23
	s_and_saveexec_b32 s23, s17
	s_cbranch_execz .LBB2_4400
.LBB2_4399:                             ;   in Loop: Header=BB2_4213 Depth=3
	v_and_b32_sdwa v74, v112, v13 dst_sel:DWORD dst_unused:UNUSED_PAD src0_sel:DWORD src1_sel:BYTE_1
	v_and_b32_e32 v75, 7, v74
	v_bfe_u32 v78, v74, 3, 4
	v_ffbh_u32_e32 v76, v75
	v_cmp_eq_u32_e32 vcc_lo, 0, v78
	v_min_u32_e32 v76, 32, v76
	v_subrev_nc_u32_e32 v77, 28, v76
	v_sub_nc_u32_e32 v76, 29, v76
	v_lshlrev_b32_e32 v74, v77, v74
	v_lshlrev_b32_e32 v77, 16, v13
	v_cndmask_b32_e32 v76, v78, v76, vcc_lo
	v_and_b32_e32 v74, 7, v74
	v_lshl_add_u32 v76, v76, 23, 0x3b800000
	v_cndmask_b32_e32 v74, v75, v74, vcc_lo
	v_and_b32_e32 v75, 0x80000000, v77
	v_lshlrev_b32_e32 v74, 20, v74
	v_or3_b32 v74, v75, v76, v74
.LBB2_4400:                             ;   in Loop: Header=BB2_4213 Depth=3
	s_or_b32 exec_lo, exec_lo, s23
	v_cmp_gt_i16_sdwa s23, v9, v102 src0_sel:BYTE_1 src1_sel:DWORD
	s_mov_b32 s17, 0
	s_and_saveexec_b32 s73, s23
	s_xor_b32 s23, exec_lo, s73
	s_cbranch_execz .LBB2_4829
; %bb.4401:                             ;   in Loop: Header=BB2_4213 Depth=3
	v_cmp_eq_u16_sdwa s74, v9, v103 src0_sel:BYTE_1 src1_sel:DWORD
	s_mov_b32 s17, -1
	s_and_saveexec_b32 s73, s74
; %bb.4402:                             ;   in Loop: Header=BB2_4213 Depth=3
	s_xor_b32 s17, exec_lo, -1
; %bb.4403:                             ;   in Loop: Header=BB2_4213 Depth=3
	s_or_b32 exec_lo, exec_lo, s73
	s_and_b32 s17, s17, exec_lo
	s_or_saveexec_b32 s23, s23
	v_mov_b32_e32 v75, 0x7f800001
	s_xor_b32 exec_lo, exec_lo, s23
	s_cbranch_execnz .LBB2_4830
.LBB2_4404:                             ;   in Loop: Header=BB2_4213 Depth=3
	s_or_b32 exec_lo, exec_lo, s23
	s_and_saveexec_b32 s23, s17
.LBB2_4405:                             ;   in Loop: Header=BB2_4213 Depth=3
	v_mov_b32_e32 v75, v8
.LBB2_4406:                             ;   in Loop: Header=BB2_4213 Depth=3
	s_or_b32 exec_lo, exec_lo, s23
	v_max_f32_e32 v75, v75, v75
	v_max_f32_e32 v74, v74, v74
	s_mov_b32 s17, 0
	v_max_f32_e32 v75, v74, v75
.LBB2_4407:                             ;   in Loop: Header=BB2_4213 Depth=3
	s_and_b32 vcc_lo, exec_lo, s17
	s_cbranch_vccz .LBB2_4421
; %bb.4408:                             ;   in Loop: Header=BB2_4213 Depth=3
	v_cmp_gt_i16_sdwa s23, v13, v102 src0_sel:BYTE_1 src1_sel:DWORD
	s_mov_b32 s17, 0
	s_and_saveexec_b32 s73, s23
	s_xor_b32 s23, exec_lo, s73
	s_cbranch_execz .LBB2_4831
; %bb.4409:                             ;   in Loop: Header=BB2_4213 Depth=3
	v_cmp_eq_u16_sdwa s74, v13, v103 src0_sel:BYTE_1 src1_sel:DWORD
	s_mov_b32 s17, -1
	s_and_saveexec_b32 s73, s74
; %bb.4410:                             ;   in Loop: Header=BB2_4213 Depth=3
	s_xor_b32 s17, exec_lo, -1
; %bb.4411:                             ;   in Loop: Header=BB2_4213 Depth=3
	s_or_b32 exec_lo, exec_lo, s73
	s_and_b32 s17, s17, exec_lo
	s_or_saveexec_b32 s23, s23
	v_mov_b32_e32 v74, 0x7f800001
	s_xor_b32 exec_lo, exec_lo, s23
	s_cbranch_execnz .LBB2_4832
.LBB2_4412:                             ;   in Loop: Header=BB2_4213 Depth=3
	s_or_b32 exec_lo, exec_lo, s23
	s_and_saveexec_b32 s23, s17
	s_cbranch_execz .LBB2_4414
.LBB2_4413:                             ;   in Loop: Header=BB2_4213 Depth=3
	v_and_b32_sdwa v74, v112, v13 dst_sel:DWORD dst_unused:UNUSED_PAD src0_sel:DWORD src1_sel:BYTE_1
	v_and_b32_e32 v75, 7, v74
	v_bfe_u32 v78, v74, 3, 4
	v_ffbh_u32_e32 v76, v75
	v_cmp_eq_u32_e32 vcc_lo, 0, v78
	v_min_u32_e32 v76, 32, v76
	v_subrev_nc_u32_e32 v77, 28, v76
	v_sub_nc_u32_e32 v76, 29, v76
	v_lshlrev_b32_e32 v74, v77, v74
	v_lshlrev_b32_e32 v77, 16, v13
	v_cndmask_b32_e32 v76, v78, v76, vcc_lo
	v_and_b32_e32 v74, 7, v74
	v_lshl_add_u32 v76, v76, 23, 0x3b800000
	v_cndmask_b32_e32 v74, v75, v74, vcc_lo
	v_and_b32_e32 v75, 0x80000000, v77
	v_lshlrev_b32_e32 v74, 20, v74
	v_or3_b32 v74, v75, v76, v74
.LBB2_4414:                             ;   in Loop: Header=BB2_4213 Depth=3
	s_or_b32 exec_lo, exec_lo, s23
	v_cmp_gt_i16_sdwa s23, v9, v102 src0_sel:BYTE_1 src1_sel:DWORD
	s_mov_b32 s17, 0
	s_and_saveexec_b32 s73, s23
	s_xor_b32 s23, exec_lo, s73
	s_cbranch_execz .LBB2_4833
; %bb.4415:                             ;   in Loop: Header=BB2_4213 Depth=3
	v_cmp_eq_u16_sdwa s74, v9, v103 src0_sel:BYTE_1 src1_sel:DWORD
	s_mov_b32 s17, -1
	s_and_saveexec_b32 s73, s74
; %bb.4416:                             ;   in Loop: Header=BB2_4213 Depth=3
	s_xor_b32 s17, exec_lo, -1
; %bb.4417:                             ;   in Loop: Header=BB2_4213 Depth=3
	s_or_b32 exec_lo, exec_lo, s73
	s_and_b32 s17, s17, exec_lo
	s_or_saveexec_b32 s23, s23
	v_mov_b32_e32 v75, 0x7f800001
	s_xor_b32 exec_lo, exec_lo, s23
	s_cbranch_execnz .LBB2_4834
.LBB2_4418:                             ;   in Loop: Header=BB2_4213 Depth=3
	s_or_b32 exec_lo, exec_lo, s23
	s_and_saveexec_b32 s23, s17
.LBB2_4419:                             ;   in Loop: Header=BB2_4213 Depth=3
	v_mov_b32_e32 v75, v8
.LBB2_4420:                             ;   in Loop: Header=BB2_4213 Depth=3
	s_or_b32 exec_lo, exec_lo, s23
	v_max_f32_e32 v8, v75, v75
	v_max_f32_e32 v74, v74, v74
	v_min_f32_e32 v75, v74, v8
.LBB2_4421:                             ;   in Loop: Header=BB2_4213 Depth=3
	v_and_b32_e32 v8, 0x7f800000, v75
	v_mov_b32_e32 v74, 0x8000
	s_mov_b32 s23, exec_lo
	v_cmpx_ne_u32_e32 0x7f800000, v8
	s_cbranch_execz .LBB2_4429
; %bb.4422:                             ;   in Loop: Header=BB2_4213 Depth=3
	v_mov_b32_e32 v74, 0
	s_mov_b32 s73, exec_lo
	v_cmpx_ne_u32_e32 0, v75
	s_cbranch_execz .LBB2_4428
; %bb.4423:                             ;   in Loop: Header=BB2_4213 Depth=3
	v_bfe_u32 v8, v75, 23, 8
	v_and_b32_e32 v74, 0x7fffff, v75
	v_sub_nc_u32_e32 v76, 0x78, v8
	v_cmp_gt_u32_e32 vcc_lo, 0x79, v8
	v_or_b32_e32 v77, 0x800000, v74
	v_cndmask_b32_e32 v76, 0, v76, vcc_lo
	v_cmp_eq_u32_e32 vcc_lo, 0, v8
	v_add_nc_u32_e32 v8, 0xffffff89, v8
	v_cndmask_b32_e64 v76, v76, 0x77, vcc_lo
	v_cndmask_b32_e32 v74, v77, v74, vcc_lo
	v_cndmask_b32_e64 v8, v8, 0xffffff8a, vcc_lo
	v_lshl_add_u32 v77, 0x100000, v76, -1
	v_lshrrev_b32_e32 v78, v76, v74
	v_lshlrev_b32_e64 v88, v76, 0x80000
	v_add_nc_u32_e32 v76, v76, v8
	v_and_b32_e32 v74, v77, v74
	v_bfe_u32 v79, v78, 20, 1
	v_cmp_eq_u32_e64 s17, v74, v88
	v_add_nc_u32_e32 v77, -1, v79
	v_cndmask_b32_e64 v74, 0, v77, s17
	v_lshrrev_b32_e32 v77, 23, v78
	s_mov_b32 s17, exec_lo
	v_add_nc_u32_e32 v74, v74, v78
	v_xor_b32_e32 v77, 1, v77
	v_and_b32_e32 v8, 0xfffff, v74
	v_add_nc_u32_e32 v74, v8, v78
                                        ; implicit-def: $vgpr8
	v_cmpx_ne_u32_e64 v76, v77
	s_xor_b32 s17, exec_lo, s17
; %bb.4424:                             ;   in Loop: Header=BB2_4213 Depth=3
	v_cmp_lt_u32_e32 vcc_lo, 0xffffff, v74
	v_sub_nc_u32_e32 v8, v76, v77
	v_cndmask_b32_e64 v76, 0, 1, vcc_lo
	v_add_co_ci_u32_e64 v8, null, 0, v8, vcc_lo
	v_lshrrev_b32_e32 v74, v76, v74
; %bb.4425:                             ;   in Loop: Header=BB2_4213 Depth=3
	s_andn2_saveexec_b32 s17, s17
; %bb.4426:                             ;   in Loop: Header=BB2_4213 Depth=3
	v_bfe_u32 v8, v74, 23, 1
; %bb.4427:                             ;   in Loop: Header=BB2_4213 Depth=3
	s_or_b32 exec_lo, exec_lo, s17
	v_lshrrev_b32_e32 v74, 20, v74
	v_min_i32_e32 v76, 15, v8
	v_cmp_gt_i32_e32 vcc_lo, 16, v8
	v_and_b32_sdwa v75, v75, v103 dst_sel:DWORD dst_unused:UNUSED_PAD src0_sel:BYTE_3 src1_sel:DWORD
	v_lshlrev_b32_e32 v76, 3, v76
	v_cndmask_b32_e32 v74, 7, v74, vcc_lo
	v_and_b32_e32 v76, 0xf8, v76
	v_and_b32_e32 v77, 7, v74
	v_or_b32_e32 v8, v8, v74
	v_or3_b32 v75, v75, v76, v77
	v_cmp_ne_u32_e32 vcc_lo, 0, v8
	v_lshlrev_b32_e32 v74, 8, v75
	v_cndmask_b32_e32 v74, 0, v74, vcc_lo
.LBB2_4428:                             ;   in Loop: Header=BB2_4213 Depth=3
	s_or_b32 exec_lo, exec_lo, s73
.LBB2_4429:                             ;   in Loop: Header=BB2_4213 Depth=3
	s_or_b32 exec_lo, exec_lo, s23
	v_bfe_u32 v8, v9, 16, 3
	v_bfe_u32 v77, v9, 19, 4
	v_lshlrev_b32_e32 v78, 8, v9
	s_mov_b32 s17, -1
	v_ffbh_u32_e32 v75, v8
	v_cmp_eq_u32_e32 vcc_lo, 0, v77
	v_min_u32_e32 v75, 32, v75
	v_subrev_nc_u32_e32 v76, 28, v75
	v_sub_nc_u32_e32 v75, 29, v75
	v_lshlrev_b32_sdwa v76, v76, v9 dst_sel:DWORD dst_unused:UNUSED_PAD src0_sel:DWORD src1_sel:WORD_1
	v_cndmask_b32_e32 v75, v77, v75, vcc_lo
	v_and_b32_e32 v76, 7, v76
	v_lshl_add_u32 v75, v75, 23, 0x3b800000
	v_cndmask_b32_e32 v8, v8, v76, vcc_lo
	v_and_b32_e32 v76, 0x80000000, v78
	s_and_b32 vcc_lo, exec_lo, s22
	v_lshlrev_b32_e32 v8, 20, v8
	v_or3_b32 v8, v76, v75, v8
                                        ; implicit-def: $vgpr76
	s_cbranch_vccz .LBB2_4443
; %bb.4430:                             ;   in Loop: Header=BB2_4213 Depth=3
	v_and_b32_sdwa v76, v13, v114 dst_sel:DWORD dst_unused:UNUSED_PAD src0_sel:WORD_1 src1_sel:DWORD
	s_mov_b32 s17, 0
	s_mov_b32 s23, exec_lo
	v_cmpx_lt_i16_e32 0x7f, v76
	s_xor_b32 s23, exec_lo, s23
	s_cbranch_execz .LBB2_4835
; %bb.4431:                             ;   in Loop: Header=BB2_4213 Depth=3
	s_mov_b32 s17, -1
	s_mov_b32 s73, exec_lo
	v_cmpx_eq_u16_e32 0x80, v76
; %bb.4432:                             ;   in Loop: Header=BB2_4213 Depth=3
	s_xor_b32 s17, exec_lo, -1
; %bb.4433:                             ;   in Loop: Header=BB2_4213 Depth=3
	s_or_b32 exec_lo, exec_lo, s73
	s_and_b32 s17, s17, exec_lo
                                        ; implicit-def: $vgpr76
	s_or_saveexec_b32 s23, s23
	v_mov_b32_e32 v75, 0x7f800001
	s_xor_b32 exec_lo, exec_lo, s23
	s_cbranch_execnz .LBB2_4836
.LBB2_4434:                             ;   in Loop: Header=BB2_4213 Depth=3
	s_or_b32 exec_lo, exec_lo, s23
	s_and_saveexec_b32 s23, s17
	s_cbranch_execz .LBB2_4436
.LBB2_4435:                             ;   in Loop: Header=BB2_4213 Depth=3
	v_bfe_u32 v75, v13, 16, 3
	v_bfe_u32 v78, v13, 19, 4
	v_lshlrev_b32_sdwa v79, v113, v13 dst_sel:DWORD dst_unused:UNUSED_PAD src0_sel:DWORD src1_sel:WORD_1
	v_ffbh_u32_e32 v76, v75
	v_cmp_eq_u32_e32 vcc_lo, 0, v78
	v_min_u32_e32 v76, 32, v76
	v_subrev_nc_u32_e32 v77, 28, v76
	v_sub_nc_u32_e32 v76, 29, v76
	v_lshlrev_b32_sdwa v77, v77, v13 dst_sel:DWORD dst_unused:UNUSED_PAD src0_sel:DWORD src1_sel:WORD_1
	v_cndmask_b32_e32 v76, v78, v76, vcc_lo
	v_and_b32_e32 v77, 7, v77
	v_lshl_add_u32 v76, v76, 23, 0x3b800000
	v_cndmask_b32_e32 v75, v75, v77, vcc_lo
	v_and_b32_e32 v77, 0x80000000, v79
	v_lshlrev_b32_e32 v75, 20, v75
	v_or3_b32 v75, v77, v76, v75
.LBB2_4436:                             ;   in Loop: Header=BB2_4213 Depth=3
	s_or_b32 exec_lo, exec_lo, s23
	v_and_b32_sdwa v77, v9, v114 dst_sel:DWORD dst_unused:UNUSED_PAD src0_sel:WORD_1 src1_sel:DWORD
	s_mov_b32 s17, 0
	s_mov_b32 s23, exec_lo
	v_cmpx_lt_i16_e32 0x7f, v77
	s_xor_b32 s23, exec_lo, s23
	s_cbranch_execz .LBB2_4837
; %bb.4437:                             ;   in Loop: Header=BB2_4213 Depth=3
	s_mov_b32 s17, -1
	s_mov_b32 s73, exec_lo
	v_cmpx_eq_u16_e32 0x80, v77
; %bb.4438:                             ;   in Loop: Header=BB2_4213 Depth=3
	s_xor_b32 s17, exec_lo, -1
; %bb.4439:                             ;   in Loop: Header=BB2_4213 Depth=3
	s_or_b32 exec_lo, exec_lo, s73
	s_and_b32 s17, s17, exec_lo
                                        ; implicit-def: $vgpr77
	s_or_saveexec_b32 s23, s23
	v_mov_b32_e32 v76, 0x7f800001
	s_xor_b32 exec_lo, exec_lo, s23
	s_cbranch_execnz .LBB2_4838
.LBB2_4440:                             ;   in Loop: Header=BB2_4213 Depth=3
	s_or_b32 exec_lo, exec_lo, s23
	s_and_saveexec_b32 s23, s17
.LBB2_4441:                             ;   in Loop: Header=BB2_4213 Depth=3
	v_mov_b32_e32 v76, v8
.LBB2_4442:                             ;   in Loop: Header=BB2_4213 Depth=3
	s_or_b32 exec_lo, exec_lo, s23
	v_max_f32_e32 v76, v76, v76
	v_max_f32_e32 v75, v75, v75
	s_mov_b32 s17, 0
	v_max_f32_e32 v76, v75, v76
.LBB2_4443:                             ;   in Loop: Header=BB2_4213 Depth=3
	s_and_b32 vcc_lo, exec_lo, s17
	s_cbranch_vccz .LBB2_4457
; %bb.4444:                             ;   in Loop: Header=BB2_4213 Depth=3
	v_and_b32_sdwa v76, v13, v114 dst_sel:DWORD dst_unused:UNUSED_PAD src0_sel:WORD_1 src1_sel:DWORD
	s_mov_b32 s17, 0
	s_mov_b32 s23, exec_lo
	v_cmpx_lt_i16_e32 0x7f, v76
	s_xor_b32 s23, exec_lo, s23
	s_cbranch_execz .LBB2_4839
; %bb.4445:                             ;   in Loop: Header=BB2_4213 Depth=3
	s_mov_b32 s17, -1
	s_mov_b32 s73, exec_lo
	v_cmpx_eq_u16_e32 0x80, v76
; %bb.4446:                             ;   in Loop: Header=BB2_4213 Depth=3
	s_xor_b32 s17, exec_lo, -1
; %bb.4447:                             ;   in Loop: Header=BB2_4213 Depth=3
	s_or_b32 exec_lo, exec_lo, s73
	s_and_b32 s17, s17, exec_lo
                                        ; implicit-def: $vgpr76
	s_or_saveexec_b32 s23, s23
	v_mov_b32_e32 v75, 0x7f800001
	s_xor_b32 exec_lo, exec_lo, s23
	s_cbranch_execnz .LBB2_4840
.LBB2_4448:                             ;   in Loop: Header=BB2_4213 Depth=3
	s_or_b32 exec_lo, exec_lo, s23
	s_and_saveexec_b32 s23, s17
	s_cbranch_execz .LBB2_4450
.LBB2_4449:                             ;   in Loop: Header=BB2_4213 Depth=3
	v_bfe_u32 v75, v13, 16, 3
	v_bfe_u32 v78, v13, 19, 4
	v_lshlrev_b32_sdwa v79, v113, v13 dst_sel:DWORD dst_unused:UNUSED_PAD src0_sel:DWORD src1_sel:WORD_1
	v_ffbh_u32_e32 v76, v75
	v_cmp_eq_u32_e32 vcc_lo, 0, v78
	v_min_u32_e32 v76, 32, v76
	v_subrev_nc_u32_e32 v77, 28, v76
	v_sub_nc_u32_e32 v76, 29, v76
	v_lshlrev_b32_sdwa v77, v77, v13 dst_sel:DWORD dst_unused:UNUSED_PAD src0_sel:DWORD src1_sel:WORD_1
	v_cndmask_b32_e32 v76, v78, v76, vcc_lo
	v_and_b32_e32 v77, 7, v77
	v_lshl_add_u32 v76, v76, 23, 0x3b800000
	v_cndmask_b32_e32 v75, v75, v77, vcc_lo
	v_and_b32_e32 v77, 0x80000000, v79
	v_lshlrev_b32_e32 v75, 20, v75
	v_or3_b32 v75, v77, v76, v75
.LBB2_4450:                             ;   in Loop: Header=BB2_4213 Depth=3
	s_or_b32 exec_lo, exec_lo, s23
	v_and_b32_sdwa v77, v9, v114 dst_sel:DWORD dst_unused:UNUSED_PAD src0_sel:WORD_1 src1_sel:DWORD
	s_mov_b32 s17, 0
	s_mov_b32 s23, exec_lo
	v_cmpx_lt_i16_e32 0x7f, v77
	s_xor_b32 s23, exec_lo, s23
	s_cbranch_execz .LBB2_4841
; %bb.4451:                             ;   in Loop: Header=BB2_4213 Depth=3
	s_mov_b32 s17, -1
	s_mov_b32 s73, exec_lo
	v_cmpx_eq_u16_e32 0x80, v77
; %bb.4452:                             ;   in Loop: Header=BB2_4213 Depth=3
	s_xor_b32 s17, exec_lo, -1
; %bb.4453:                             ;   in Loop: Header=BB2_4213 Depth=3
	s_or_b32 exec_lo, exec_lo, s73
	s_and_b32 s17, s17, exec_lo
                                        ; implicit-def: $vgpr77
	s_or_saveexec_b32 s23, s23
	v_mov_b32_e32 v76, 0x7f800001
	s_xor_b32 exec_lo, exec_lo, s23
	s_cbranch_execnz .LBB2_4842
.LBB2_4454:                             ;   in Loop: Header=BB2_4213 Depth=3
	s_or_b32 exec_lo, exec_lo, s23
	s_and_saveexec_b32 s23, s17
.LBB2_4455:                             ;   in Loop: Header=BB2_4213 Depth=3
	v_mov_b32_e32 v76, v8
.LBB2_4456:                             ;   in Loop: Header=BB2_4213 Depth=3
	s_or_b32 exec_lo, exec_lo, s23
	v_max_f32_e32 v8, v76, v76
	v_max_f32_e32 v75, v75, v75
	v_min_f32_e32 v76, v75, v8
.LBB2_4457:                             ;   in Loop: Header=BB2_4213 Depth=3
	v_and_b32_e32 v8, 0x7f800000, v76
	v_mov_b32_e32 v75, 0x80
	s_mov_b32 s23, exec_lo
	v_cmpx_ne_u32_e32 0x7f800000, v8
	s_cbranch_execz .LBB2_4465
; %bb.4458:                             ;   in Loop: Header=BB2_4213 Depth=3
	v_mov_b32_e32 v75, 0
	s_mov_b32 s73, exec_lo
	v_cmpx_ne_u32_e32 0, v76
	s_cbranch_execz .LBB2_4464
; %bb.4459:                             ;   in Loop: Header=BB2_4213 Depth=3
	v_bfe_u32 v8, v76, 23, 8
	v_and_b32_e32 v75, 0x7fffff, v76
	v_sub_nc_u32_e32 v77, 0x78, v8
	v_cmp_gt_u32_e32 vcc_lo, 0x79, v8
	v_or_b32_e32 v78, 0x800000, v75
	v_cndmask_b32_e32 v77, 0, v77, vcc_lo
	v_cmp_eq_u32_e32 vcc_lo, 0, v8
	v_add_nc_u32_e32 v8, 0xffffff89, v8
	v_cndmask_b32_e64 v77, v77, 0x77, vcc_lo
	v_cndmask_b32_e32 v75, v78, v75, vcc_lo
	v_cndmask_b32_e64 v8, v8, 0xffffff8a, vcc_lo
	v_lshl_add_u32 v78, 0x100000, v77, -1
	v_lshrrev_b32_e32 v79, v77, v75
	v_lshlrev_b32_e64 v89, v77, 0x80000
	v_add_nc_u32_e32 v77, v77, v8
	v_and_b32_e32 v75, v78, v75
	v_bfe_u32 v88, v79, 20, 1
	v_cmp_eq_u32_e64 s17, v75, v89
	v_add_nc_u32_e32 v78, -1, v88
	v_cndmask_b32_e64 v75, 0, v78, s17
	v_lshrrev_b32_e32 v78, 23, v79
	s_mov_b32 s17, exec_lo
	v_add_nc_u32_e32 v75, v75, v79
	v_xor_b32_e32 v78, 1, v78
	v_and_b32_e32 v8, 0xfffff, v75
	v_add_nc_u32_e32 v75, v8, v79
                                        ; implicit-def: $vgpr8
	v_cmpx_ne_u32_e64 v77, v78
	s_xor_b32 s17, exec_lo, s17
; %bb.4460:                             ;   in Loop: Header=BB2_4213 Depth=3
	v_cmp_lt_u32_e32 vcc_lo, 0xffffff, v75
	v_sub_nc_u32_e32 v8, v77, v78
	v_cndmask_b32_e64 v77, 0, 1, vcc_lo
	v_add_co_ci_u32_e64 v8, null, 0, v8, vcc_lo
	v_lshrrev_b32_e32 v75, v77, v75
; %bb.4461:                             ;   in Loop: Header=BB2_4213 Depth=3
	s_andn2_saveexec_b32 s17, s17
; %bb.4462:                             ;   in Loop: Header=BB2_4213 Depth=3
	v_bfe_u32 v8, v75, 23, 1
; %bb.4463:                             ;   in Loop: Header=BB2_4213 Depth=3
	s_or_b32 exec_lo, exec_lo, s17
	v_lshrrev_b32_e32 v75, 20, v75
	v_min_i32_e32 v77, 15, v8
	v_cmp_gt_i32_e32 vcc_lo, 16, v8
	v_and_b32_sdwa v76, v76, v103 dst_sel:DWORD dst_unused:UNUSED_PAD src0_sel:BYTE_3 src1_sel:DWORD
	v_lshlrev_b32_e32 v77, 3, v77
	v_cndmask_b32_e32 v75, 7, v75, vcc_lo
	v_and_b32_e32 v77, 0xf8, v77
	v_and_b32_e32 v78, 7, v75
	v_or_b32_e32 v8, v8, v75
	v_or3_b32 v75, v77, v76, v78
	v_cmp_ne_u32_e32 vcc_lo, 0, v8
	v_cndmask_b32_e32 v75, 0, v75, vcc_lo
.LBB2_4464:                             ;   in Loop: Header=BB2_4213 Depth=3
	s_or_b32 exec_lo, exec_lo, s73
.LBB2_4465:                             ;   in Loop: Header=BB2_4213 Depth=3
	s_or_b32 exec_lo, exec_lo, s23
	v_bfe_u32 v8, v9, 24, 3
	v_bfe_u32 v78, v9, 27, 4
	s_mov_b32 s17, -1
	v_ffbh_u32_e32 v76, v8
	v_cmp_eq_u32_e32 vcc_lo, 0, v78
	v_min_u32_e32 v76, 32, v76
	v_subrev_nc_u32_e32 v77, 28, v76
	v_sub_nc_u32_e32 v76, 29, v76
	v_lshlrev_b32_sdwa v77, v77, v9 dst_sel:DWORD dst_unused:UNUSED_PAD src0_sel:DWORD src1_sel:BYTE_3
	v_cndmask_b32_e32 v76, v78, v76, vcc_lo
	v_and_b32_e32 v77, 7, v77
	v_lshl_add_u32 v76, v76, 23, 0x3b800000
	v_cndmask_b32_e32 v8, v8, v77, vcc_lo
	v_and_b32_e32 v77, 0x80000000, v9
	s_and_b32 vcc_lo, exec_lo, s22
	v_lshlrev_b32_e32 v8, 20, v8
	v_or3_b32 v8, v77, v76, v8
                                        ; implicit-def: $vgpr76
	s_cbranch_vccz .LBB2_4479
; %bb.4466:                             ;   in Loop: Header=BB2_4213 Depth=3
	v_cmp_gt_i16_sdwa s23, v13, v102 src0_sel:BYTE_3 src1_sel:DWORD
	s_mov_b32 s17, 0
	s_and_saveexec_b32 s73, s23
	s_xor_b32 s23, exec_lo, s73
	s_cbranch_execz .LBB2_4843
; %bb.4467:                             ;   in Loop: Header=BB2_4213 Depth=3
	v_cmp_eq_u16_sdwa s74, v13, v103 src0_sel:BYTE_3 src1_sel:DWORD
	s_mov_b32 s17, -1
	s_and_saveexec_b32 s73, s74
; %bb.4468:                             ;   in Loop: Header=BB2_4213 Depth=3
	s_xor_b32 s17, exec_lo, -1
; %bb.4469:                             ;   in Loop: Header=BB2_4213 Depth=3
	s_or_b32 exec_lo, exec_lo, s73
	s_and_b32 s17, s17, exec_lo
	s_or_saveexec_b32 s23, s23
	v_mov_b32_e32 v76, 0x7f800001
	s_xor_b32 exec_lo, exec_lo, s23
	s_cbranch_execnz .LBB2_4844
.LBB2_4470:                             ;   in Loop: Header=BB2_4213 Depth=3
	s_or_b32 exec_lo, exec_lo, s23
	s_and_saveexec_b32 s23, s17
	s_cbranch_execz .LBB2_4472
.LBB2_4471:                             ;   in Loop: Header=BB2_4213 Depth=3
	v_bfe_u32 v76, v13, 24, 3
	v_bfe_u32 v79, v13, 27, 4
	v_ffbh_u32_e32 v77, v76
	v_cmp_eq_u32_e32 vcc_lo, 0, v79
	v_min_u32_e32 v77, 32, v77
	v_subrev_nc_u32_e32 v78, 28, v77
	v_sub_nc_u32_e32 v77, 29, v77
	v_lshlrev_b32_sdwa v78, v78, v13 dst_sel:DWORD dst_unused:UNUSED_PAD src0_sel:DWORD src1_sel:BYTE_3
	v_cndmask_b32_e32 v77, v79, v77, vcc_lo
	v_and_b32_e32 v78, 7, v78
	v_lshl_add_u32 v77, v77, 23, 0x3b800000
	v_cndmask_b32_e32 v76, v76, v78, vcc_lo
	v_and_b32_e32 v78, 0x80000000, v13
	v_lshlrev_b32_e32 v76, 20, v76
	v_or3_b32 v76, v78, v77, v76
.LBB2_4472:                             ;   in Loop: Header=BB2_4213 Depth=3
	s_or_b32 exec_lo, exec_lo, s23
	v_cmp_gt_i16_sdwa s23, v9, v102 src0_sel:BYTE_3 src1_sel:DWORD
	s_mov_b32 s17, 0
	s_and_saveexec_b32 s73, s23
	s_xor_b32 s23, exec_lo, s73
	s_cbranch_execz .LBB2_4845
; %bb.4473:                             ;   in Loop: Header=BB2_4213 Depth=3
	v_cmp_eq_u16_sdwa s74, v9, v103 src0_sel:BYTE_3 src1_sel:DWORD
	s_mov_b32 s17, -1
	s_and_saveexec_b32 s73, s74
; %bb.4474:                             ;   in Loop: Header=BB2_4213 Depth=3
	s_xor_b32 s17, exec_lo, -1
; %bb.4475:                             ;   in Loop: Header=BB2_4213 Depth=3
	s_or_b32 exec_lo, exec_lo, s73
	s_and_b32 s17, s17, exec_lo
	s_or_saveexec_b32 s23, s23
	v_mov_b32_e32 v77, 0x7f800001
	s_xor_b32 exec_lo, exec_lo, s23
	s_cbranch_execnz .LBB2_4846
.LBB2_4476:                             ;   in Loop: Header=BB2_4213 Depth=3
	s_or_b32 exec_lo, exec_lo, s23
	s_and_saveexec_b32 s23, s17
.LBB2_4477:                             ;   in Loop: Header=BB2_4213 Depth=3
	v_mov_b32_e32 v77, v8
.LBB2_4478:                             ;   in Loop: Header=BB2_4213 Depth=3
	s_or_b32 exec_lo, exec_lo, s23
	v_max_f32_e32 v77, v77, v77
	v_max_f32_e32 v76, v76, v76
	s_mov_b32 s17, 0
	v_max_f32_e32 v76, v76, v77
.LBB2_4479:                             ;   in Loop: Header=BB2_4213 Depth=3
	s_and_b32 vcc_lo, exec_lo, s17
	s_cbranch_vccz .LBB2_4493
; %bb.4480:                             ;   in Loop: Header=BB2_4213 Depth=3
	v_cmp_gt_i16_sdwa s23, v13, v102 src0_sel:BYTE_3 src1_sel:DWORD
	s_mov_b32 s17, 0
	s_and_saveexec_b32 s73, s23
	s_xor_b32 s23, exec_lo, s73
	s_cbranch_execz .LBB2_4847
; %bb.4481:                             ;   in Loop: Header=BB2_4213 Depth=3
	v_cmp_eq_u16_sdwa s74, v13, v103 src0_sel:BYTE_3 src1_sel:DWORD
	s_mov_b32 s17, -1
	s_and_saveexec_b32 s73, s74
; %bb.4482:                             ;   in Loop: Header=BB2_4213 Depth=3
	s_xor_b32 s17, exec_lo, -1
; %bb.4483:                             ;   in Loop: Header=BB2_4213 Depth=3
	s_or_b32 exec_lo, exec_lo, s73
	s_and_b32 s17, s17, exec_lo
	s_or_saveexec_b32 s23, s23
	v_mov_b32_e32 v76, 0x7f800001
	s_xor_b32 exec_lo, exec_lo, s23
	s_cbranch_execnz .LBB2_4848
.LBB2_4484:                             ;   in Loop: Header=BB2_4213 Depth=3
	s_or_b32 exec_lo, exec_lo, s23
	s_and_saveexec_b32 s23, s17
	s_cbranch_execz .LBB2_4486
.LBB2_4485:                             ;   in Loop: Header=BB2_4213 Depth=3
	v_bfe_u32 v76, v13, 24, 3
	v_bfe_u32 v79, v13, 27, 4
	v_ffbh_u32_e32 v77, v76
	v_cmp_eq_u32_e32 vcc_lo, 0, v79
	v_min_u32_e32 v77, 32, v77
	v_subrev_nc_u32_e32 v78, 28, v77
	v_sub_nc_u32_e32 v77, 29, v77
	v_lshlrev_b32_sdwa v78, v78, v13 dst_sel:DWORD dst_unused:UNUSED_PAD src0_sel:DWORD src1_sel:BYTE_3
	v_cndmask_b32_e32 v77, v79, v77, vcc_lo
	v_and_b32_e32 v13, 0x80000000, v13
	v_and_b32_e32 v78, 7, v78
	v_lshl_add_u32 v77, v77, 23, 0x3b800000
	v_cndmask_b32_e32 v76, v76, v78, vcc_lo
	v_lshlrev_b32_e32 v76, 20, v76
	v_or3_b32 v76, v13, v77, v76
.LBB2_4486:                             ;   in Loop: Header=BB2_4213 Depth=3
	s_or_b32 exec_lo, exec_lo, s23
	v_cmp_gt_i16_sdwa s23, v9, v102 src0_sel:BYTE_3 src1_sel:DWORD
	s_mov_b32 s17, 0
	s_and_saveexec_b32 s73, s23
	s_xor_b32 s23, exec_lo, s73
	s_cbranch_execz .LBB2_4849
; %bb.4487:                             ;   in Loop: Header=BB2_4213 Depth=3
	v_cmp_eq_u16_sdwa s74, v9, v103 src0_sel:BYTE_3 src1_sel:DWORD
	s_mov_b32 s17, -1
	s_and_saveexec_b32 s73, s74
; %bb.4488:                             ;   in Loop: Header=BB2_4213 Depth=3
	s_xor_b32 s17, exec_lo, -1
; %bb.4489:                             ;   in Loop: Header=BB2_4213 Depth=3
	s_or_b32 exec_lo, exec_lo, s73
	s_and_b32 s17, s17, exec_lo
	s_or_saveexec_b32 s23, s23
	v_mov_b32_e32 v13, 0x7f800001
	s_xor_b32 exec_lo, exec_lo, s23
	s_cbranch_execnz .LBB2_4850
.LBB2_4490:                             ;   in Loop: Header=BB2_4213 Depth=3
	s_or_b32 exec_lo, exec_lo, s23
	s_and_saveexec_b32 s23, s17
.LBB2_4491:                             ;   in Loop: Header=BB2_4213 Depth=3
	v_mov_b32_e32 v13, v8
.LBB2_4492:                             ;   in Loop: Header=BB2_4213 Depth=3
	s_or_b32 exec_lo, exec_lo, s23
	v_max_f32_e32 v8, v13, v13
	v_max_f32_e32 v9, v76, v76
	v_min_f32_e32 v76, v9, v8
.LBB2_4493:                             ;   in Loop: Header=BB2_4213 Depth=3
	v_and_b32_e32 v8, 0x7f800000, v76
	v_mov_b32_e32 v13, 0x8000
	s_mov_b32 s23, exec_lo
	v_cmpx_ne_u32_e32 0x7f800000, v8
	s_cbranch_execz .LBB2_4501
; %bb.4494:                             ;   in Loop: Header=BB2_4213 Depth=3
	v_mov_b32_e32 v13, 0
	s_mov_b32 s73, exec_lo
	v_cmpx_ne_u32_e32 0, v76
	s_cbranch_execz .LBB2_4500
; %bb.4495:                             ;   in Loop: Header=BB2_4213 Depth=3
	v_bfe_u32 v8, v76, 23, 8
	v_and_b32_e32 v9, 0x7fffff, v76
	v_sub_nc_u32_e32 v13, 0x78, v8
	v_cmp_gt_u32_e32 vcc_lo, 0x79, v8
	v_or_b32_e32 v77, 0x800000, v9
	v_cndmask_b32_e32 v13, 0, v13, vcc_lo
	v_cmp_eq_u32_e32 vcc_lo, 0, v8
	v_add_nc_u32_e32 v8, 0xffffff89, v8
	v_cndmask_b32_e64 v13, v13, 0x77, vcc_lo
	v_cndmask_b32_e32 v9, v77, v9, vcc_lo
	v_cndmask_b32_e64 v8, v8, 0xffffff8a, vcc_lo
	v_lshl_add_u32 v77, 0x100000, v13, -1
	v_lshrrev_b32_e32 v78, v13, v9
	v_lshlrev_b32_e64 v88, v13, 0x80000
	v_add_nc_u32_e32 v13, v13, v8
	v_and_b32_e32 v9, v77, v9
	v_bfe_u32 v79, v78, 20, 1
	v_cmp_eq_u32_e64 s17, v9, v88
	v_add_nc_u32_e32 v77, -1, v79
	v_cndmask_b32_e64 v9, 0, v77, s17
	v_lshrrev_b32_e32 v77, 23, v78
	s_mov_b32 s17, exec_lo
	v_add_nc_u32_e32 v9, v9, v78
	v_xor_b32_e32 v77, 1, v77
	v_and_b32_e32 v8, 0xfffff, v9
	v_add_nc_u32_e32 v9, v8, v78
                                        ; implicit-def: $vgpr8
	v_cmpx_ne_u32_e64 v13, v77
	s_xor_b32 s17, exec_lo, s17
; %bb.4496:                             ;   in Loop: Header=BB2_4213 Depth=3
	v_cmp_lt_u32_e32 vcc_lo, 0xffffff, v9
	v_sub_nc_u32_e32 v8, v13, v77
	v_cndmask_b32_e64 v13, 0, 1, vcc_lo
	v_add_co_ci_u32_e64 v8, null, 0, v8, vcc_lo
	v_lshrrev_b32_e32 v9, v13, v9
; %bb.4497:                             ;   in Loop: Header=BB2_4213 Depth=3
	s_andn2_saveexec_b32 s17, s17
; %bb.4498:                             ;   in Loop: Header=BB2_4213 Depth=3
	v_bfe_u32 v8, v9, 23, 1
; %bb.4499:                             ;   in Loop: Header=BB2_4213 Depth=3
	s_or_b32 exec_lo, exec_lo, s17
	v_lshrrev_b32_e32 v9, 20, v9
	v_min_i32_e32 v13, 15, v8
	v_cmp_gt_i32_e32 vcc_lo, 16, v8
	v_and_b32_sdwa v76, v76, v103 dst_sel:DWORD dst_unused:UNUSED_PAD src0_sel:BYTE_3 src1_sel:DWORD
	v_lshlrev_b32_e32 v13, 3, v13
	v_cndmask_b32_e32 v9, 7, v9, vcc_lo
	v_and_b32_e32 v13, 0xf8, v13
	v_and_b32_e32 v77, 7, v9
	v_or_b32_e32 v8, v8, v9
	v_or3_b32 v13, v76, v13, v77
	v_cmp_ne_u32_e32 vcc_lo, 0, v8
	v_lshlrev_b32_e32 v9, 8, v13
	v_cndmask_b32_e32 v13, 0, v9, vcc_lo
.LBB2_4500:                             ;   in Loop: Header=BB2_4213 Depth=3
	s_or_b32 exec_lo, exec_lo, s73
.LBB2_4501:                             ;   in Loop: Header=BB2_4213 Depth=3
	s_or_b32 exec_lo, exec_lo, s23
	v_and_b32_e32 v8, 7, v10
	v_bfe_u32 v77, v10, 3, 4
	v_lshlrev_b32_e32 v78, 24, v10
	s_mov_b32 s17, -1
	v_ffbh_u32_e32 v9, v8
	v_cmp_eq_u32_e32 vcc_lo, 0, v77
	v_min_u32_e32 v9, 32, v9
	v_subrev_nc_u32_e32 v76, 28, v9
	v_sub_nc_u32_e32 v9, 29, v9
	v_lshlrev_b32_e32 v76, v76, v10
	v_cndmask_b32_e32 v9, v77, v9, vcc_lo
	v_and_b32_e32 v76, 7, v76
	v_lshl_add_u32 v9, v9, 23, 0x3b800000
	v_cndmask_b32_e32 v8, v8, v76, vcc_lo
	v_and_b32_e32 v76, 0x80000000, v78
	s_and_b32 vcc_lo, exec_lo, s22
	v_lshlrev_b32_e32 v8, 20, v8
	v_or3_b32 v8, v76, v9, v8
                                        ; implicit-def: $vgpr9
	s_cbranch_vccz .LBB2_4515
; %bb.4502:                             ;   in Loop: Header=BB2_4213 Depth=3
	v_cmp_gt_i16_sdwa s23, v14, v102 src0_sel:BYTE_0 src1_sel:DWORD
	s_mov_b32 s17, 0
	s_and_saveexec_b32 s73, s23
	s_xor_b32 s23, exec_lo, s73
	s_cbranch_execz .LBB2_4851
; %bb.4503:                             ;   in Loop: Header=BB2_4213 Depth=3
	v_cmp_eq_u16_sdwa s74, v14, v103 src0_sel:BYTE_0 src1_sel:DWORD
	s_mov_b32 s17, -1
	s_and_saveexec_b32 s73, s74
; %bb.4504:                             ;   in Loop: Header=BB2_4213 Depth=3
	s_xor_b32 s17, exec_lo, -1
; %bb.4505:                             ;   in Loop: Header=BB2_4213 Depth=3
	s_or_b32 exec_lo, exec_lo, s73
	s_and_b32 s17, s17, exec_lo
	s_or_saveexec_b32 s23, s23
	v_mov_b32_e32 v9, 0x7f800001
	s_xor_b32 exec_lo, exec_lo, s23
	s_cbranch_execnz .LBB2_4852
.LBB2_4506:                             ;   in Loop: Header=BB2_4213 Depth=3
	s_or_b32 exec_lo, exec_lo, s23
	s_and_saveexec_b32 s23, s17
	s_cbranch_execz .LBB2_4508
.LBB2_4507:                             ;   in Loop: Header=BB2_4213 Depth=3
	v_and_b32_e32 v9, 7, v14
	v_bfe_u32 v78, v14, 3, 4
	v_lshlrev_b32_e32 v79, 24, v14
	v_ffbh_u32_e32 v76, v9
	v_cmp_eq_u32_e32 vcc_lo, 0, v78
	v_min_u32_e32 v76, 32, v76
	v_subrev_nc_u32_e32 v77, 28, v76
	v_sub_nc_u32_e32 v76, 29, v76
	v_lshlrev_b32_e32 v77, v77, v14
	v_cndmask_b32_e32 v76, v78, v76, vcc_lo
	v_and_b32_e32 v77, 7, v77
	v_lshl_add_u32 v76, v76, 23, 0x3b800000
	v_cndmask_b32_e32 v9, v9, v77, vcc_lo
	v_and_b32_e32 v77, 0x80000000, v79
	v_lshlrev_b32_e32 v9, 20, v9
	v_or3_b32 v9, v77, v76, v9
.LBB2_4508:                             ;   in Loop: Header=BB2_4213 Depth=3
	s_or_b32 exec_lo, exec_lo, s23
	v_cmp_gt_i16_sdwa s23, v10, v102 src0_sel:BYTE_0 src1_sel:DWORD
	s_mov_b32 s17, 0
	s_and_saveexec_b32 s73, s23
	s_xor_b32 s23, exec_lo, s73
	s_cbranch_execz .LBB2_4853
; %bb.4509:                             ;   in Loop: Header=BB2_4213 Depth=3
	v_cmp_eq_u16_sdwa s74, v10, v103 src0_sel:BYTE_0 src1_sel:DWORD
	s_mov_b32 s17, -1
	s_and_saveexec_b32 s73, s74
; %bb.4510:                             ;   in Loop: Header=BB2_4213 Depth=3
	s_xor_b32 s17, exec_lo, -1
; %bb.4511:                             ;   in Loop: Header=BB2_4213 Depth=3
	s_or_b32 exec_lo, exec_lo, s73
	s_and_b32 s17, s17, exec_lo
	s_or_saveexec_b32 s23, s23
	v_mov_b32_e32 v76, 0x7f800001
	s_xor_b32 exec_lo, exec_lo, s23
	s_cbranch_execnz .LBB2_4854
.LBB2_4512:                             ;   in Loop: Header=BB2_4213 Depth=3
	s_or_b32 exec_lo, exec_lo, s23
	s_and_saveexec_b32 s23, s17
.LBB2_4513:                             ;   in Loop: Header=BB2_4213 Depth=3
	v_mov_b32_e32 v76, v8
.LBB2_4514:                             ;   in Loop: Header=BB2_4213 Depth=3
	s_or_b32 exec_lo, exec_lo, s23
	v_max_f32_e32 v76, v76, v76
	v_max_f32_e32 v9, v9, v9
	s_mov_b32 s17, 0
	v_max_f32_e32 v9, v9, v76
.LBB2_4515:                             ;   in Loop: Header=BB2_4213 Depth=3
	s_and_b32 vcc_lo, exec_lo, s17
	s_cbranch_vccz .LBB2_4529
; %bb.4516:                             ;   in Loop: Header=BB2_4213 Depth=3
	v_cmp_gt_i16_sdwa s23, v14, v102 src0_sel:BYTE_0 src1_sel:DWORD
	s_mov_b32 s17, 0
	s_and_saveexec_b32 s73, s23
	s_xor_b32 s23, exec_lo, s73
	s_cbranch_execz .LBB2_4855
; %bb.4517:                             ;   in Loop: Header=BB2_4213 Depth=3
	v_cmp_eq_u16_sdwa s74, v14, v103 src0_sel:BYTE_0 src1_sel:DWORD
	s_mov_b32 s17, -1
	s_and_saveexec_b32 s73, s74
; %bb.4518:                             ;   in Loop: Header=BB2_4213 Depth=3
	s_xor_b32 s17, exec_lo, -1
; %bb.4519:                             ;   in Loop: Header=BB2_4213 Depth=3
	s_or_b32 exec_lo, exec_lo, s73
	s_and_b32 s17, s17, exec_lo
	s_or_saveexec_b32 s23, s23
	v_mov_b32_e32 v9, 0x7f800001
	s_xor_b32 exec_lo, exec_lo, s23
	s_cbranch_execnz .LBB2_4856
.LBB2_4520:                             ;   in Loop: Header=BB2_4213 Depth=3
	s_or_b32 exec_lo, exec_lo, s23
	s_and_saveexec_b32 s23, s17
	s_cbranch_execz .LBB2_4522
.LBB2_4521:                             ;   in Loop: Header=BB2_4213 Depth=3
	v_and_b32_e32 v9, 7, v14
	v_bfe_u32 v78, v14, 3, 4
	v_lshlrev_b32_e32 v79, 24, v14
	v_ffbh_u32_e32 v76, v9
	v_cmp_eq_u32_e32 vcc_lo, 0, v78
	v_min_u32_e32 v76, 32, v76
	v_subrev_nc_u32_e32 v77, 28, v76
	v_sub_nc_u32_e32 v76, 29, v76
	v_lshlrev_b32_e32 v77, v77, v14
	v_cndmask_b32_e32 v76, v78, v76, vcc_lo
	v_and_b32_e32 v77, 7, v77
	v_lshl_add_u32 v76, v76, 23, 0x3b800000
	v_cndmask_b32_e32 v9, v9, v77, vcc_lo
	v_and_b32_e32 v77, 0x80000000, v79
	v_lshlrev_b32_e32 v9, 20, v9
	v_or3_b32 v9, v77, v76, v9
.LBB2_4522:                             ;   in Loop: Header=BB2_4213 Depth=3
	s_or_b32 exec_lo, exec_lo, s23
	v_cmp_gt_i16_sdwa s23, v10, v102 src0_sel:BYTE_0 src1_sel:DWORD
	s_mov_b32 s17, 0
	s_and_saveexec_b32 s73, s23
	s_xor_b32 s23, exec_lo, s73
	s_cbranch_execz .LBB2_4857
; %bb.4523:                             ;   in Loop: Header=BB2_4213 Depth=3
	v_cmp_eq_u16_sdwa s74, v10, v103 src0_sel:BYTE_0 src1_sel:DWORD
	s_mov_b32 s17, -1
	s_and_saveexec_b32 s73, s74
; %bb.4524:                             ;   in Loop: Header=BB2_4213 Depth=3
	s_xor_b32 s17, exec_lo, -1
; %bb.4525:                             ;   in Loop: Header=BB2_4213 Depth=3
	s_or_b32 exec_lo, exec_lo, s73
	s_and_b32 s17, s17, exec_lo
	s_or_saveexec_b32 s23, s23
	v_mov_b32_e32 v76, 0x7f800001
	s_xor_b32 exec_lo, exec_lo, s23
	s_cbranch_execnz .LBB2_4858
.LBB2_4526:                             ;   in Loop: Header=BB2_4213 Depth=3
	s_or_b32 exec_lo, exec_lo, s23
	s_and_saveexec_b32 s23, s17
.LBB2_4527:                             ;   in Loop: Header=BB2_4213 Depth=3
	v_mov_b32_e32 v76, v8
.LBB2_4528:                             ;   in Loop: Header=BB2_4213 Depth=3
	s_or_b32 exec_lo, exec_lo, s23
	v_max_f32_e32 v8, v76, v76
	v_max_f32_e32 v9, v9, v9
	v_min_f32_e32 v9, v9, v8
.LBB2_4529:                             ;   in Loop: Header=BB2_4213 Depth=3
	v_and_b32_e32 v8, 0x7f800000, v9
	v_mov_b32_e32 v76, 0x80
	s_mov_b32 s23, exec_lo
	v_cmpx_ne_u32_e32 0x7f800000, v8
	s_cbranch_execz .LBB2_4537
; %bb.4530:                             ;   in Loop: Header=BB2_4213 Depth=3
	v_mov_b32_e32 v76, 0
	s_mov_b32 s73, exec_lo
	v_cmpx_ne_u32_e32 0, v9
	s_cbranch_execz .LBB2_4536
; %bb.4531:                             ;   in Loop: Header=BB2_4213 Depth=3
	v_bfe_u32 v8, v9, 23, 8
	v_and_b32_e32 v76, 0x7fffff, v9
	v_sub_nc_u32_e32 v77, 0x78, v8
	v_cmp_gt_u32_e32 vcc_lo, 0x79, v8
	v_or_b32_e32 v78, 0x800000, v76
	v_cndmask_b32_e32 v77, 0, v77, vcc_lo
	v_cmp_eq_u32_e32 vcc_lo, 0, v8
	v_add_nc_u32_e32 v8, 0xffffff89, v8
	v_cndmask_b32_e64 v77, v77, 0x77, vcc_lo
	v_cndmask_b32_e32 v76, v78, v76, vcc_lo
	v_cndmask_b32_e64 v8, v8, 0xffffff8a, vcc_lo
	v_lshl_add_u32 v78, 0x100000, v77, -1
	v_lshrrev_b32_e32 v79, v77, v76
	v_lshlrev_b32_e64 v89, v77, 0x80000
	v_add_nc_u32_e32 v77, v77, v8
	v_and_b32_e32 v76, v78, v76
	v_bfe_u32 v88, v79, 20, 1
	v_cmp_eq_u32_e64 s17, v76, v89
	v_add_nc_u32_e32 v78, -1, v88
	v_cndmask_b32_e64 v76, 0, v78, s17
	v_lshrrev_b32_e32 v78, 23, v79
	s_mov_b32 s17, exec_lo
	v_add_nc_u32_e32 v76, v76, v79
	v_xor_b32_e32 v78, 1, v78
	v_and_b32_e32 v8, 0xfffff, v76
	v_add_nc_u32_e32 v76, v8, v79
                                        ; implicit-def: $vgpr8
	v_cmpx_ne_u32_e64 v77, v78
	s_xor_b32 s17, exec_lo, s17
; %bb.4532:                             ;   in Loop: Header=BB2_4213 Depth=3
	v_cmp_lt_u32_e32 vcc_lo, 0xffffff, v76
	v_sub_nc_u32_e32 v8, v77, v78
	v_cndmask_b32_e64 v77, 0, 1, vcc_lo
	v_add_co_ci_u32_e64 v8, null, 0, v8, vcc_lo
	v_lshrrev_b32_e32 v76, v77, v76
; %bb.4533:                             ;   in Loop: Header=BB2_4213 Depth=3
	s_andn2_saveexec_b32 s17, s17
; %bb.4534:                             ;   in Loop: Header=BB2_4213 Depth=3
	v_bfe_u32 v8, v76, 23, 1
; %bb.4535:                             ;   in Loop: Header=BB2_4213 Depth=3
	s_or_b32 exec_lo, exec_lo, s17
	v_lshrrev_b32_e32 v76, 20, v76
	v_min_i32_e32 v77, 15, v8
	v_cmp_gt_i32_e32 vcc_lo, 16, v8
	v_and_b32_sdwa v9, v9, v103 dst_sel:DWORD dst_unused:UNUSED_PAD src0_sel:BYTE_3 src1_sel:DWORD
	v_lshlrev_b32_e32 v77, 3, v77
	v_cndmask_b32_e32 v76, 7, v76, vcc_lo
	v_and_b32_e32 v77, 0xf8, v77
	v_and_b32_e32 v78, 7, v76
	v_or_b32_e32 v8, v8, v76
	v_or3_b32 v9, v77, v9, v78
	v_cmp_ne_u32_e32 vcc_lo, 0, v8
	v_cndmask_b32_e32 v76, 0, v9, vcc_lo
.LBB2_4536:                             ;   in Loop: Header=BB2_4213 Depth=3
	s_or_b32 exec_lo, exec_lo, s73
.LBB2_4537:                             ;   in Loop: Header=BB2_4213 Depth=3
	s_or_b32 exec_lo, exec_lo, s23
	v_and_b32_sdwa v8, v112, v10 dst_sel:DWORD dst_unused:UNUSED_PAD src0_sel:DWORD src1_sel:BYTE_1
	s_mov_b32 s17, -1
	v_and_b32_e32 v9, 7, v8
	v_bfe_u32 v79, v8, 3, 4
	v_ffbh_u32_e32 v77, v9
	v_cmp_eq_u32_e32 vcc_lo, 0, v79
	v_min_u32_e32 v77, 32, v77
	v_subrev_nc_u32_e32 v78, 28, v77
	v_sub_nc_u32_e32 v77, 29, v77
	v_lshlrev_b32_e32 v8, v78, v8
	v_lshlrev_b32_sdwa v78, v113, v10 dst_sel:DWORD dst_unused:UNUSED_PAD src0_sel:DWORD src1_sel:BYTE_1
	v_cndmask_b32_e32 v77, v79, v77, vcc_lo
	v_and_b32_e32 v8, 7, v8
	v_lshl_add_u32 v77, v77, 23, 0x3b800000
	v_cndmask_b32_e32 v8, v9, v8, vcc_lo
	v_and_b32_e32 v9, 0x80000000, v78
	s_and_b32 vcc_lo, exec_lo, s22
	v_lshlrev_b32_e32 v8, 20, v8
	v_or3_b32 v8, v9, v77, v8
                                        ; implicit-def: $vgpr9
	s_cbranch_vccz .LBB2_4551
; %bb.4538:                             ;   in Loop: Header=BB2_4213 Depth=3
	v_cmp_gt_i16_sdwa s23, v14, v102 src0_sel:BYTE_1 src1_sel:DWORD
	s_mov_b32 s17, 0
	s_and_saveexec_b32 s73, s23
	s_xor_b32 s23, exec_lo, s73
	s_cbranch_execz .LBB2_4859
; %bb.4539:                             ;   in Loop: Header=BB2_4213 Depth=3
	v_cmp_eq_u16_sdwa s74, v14, v103 src0_sel:BYTE_1 src1_sel:DWORD
	s_mov_b32 s17, -1
	s_and_saveexec_b32 s73, s74
; %bb.4540:                             ;   in Loop: Header=BB2_4213 Depth=3
	s_xor_b32 s17, exec_lo, -1
; %bb.4541:                             ;   in Loop: Header=BB2_4213 Depth=3
	s_or_b32 exec_lo, exec_lo, s73
	s_and_b32 s17, s17, exec_lo
	s_or_saveexec_b32 s23, s23
	v_mov_b32_e32 v9, 0x7f800001
	s_xor_b32 exec_lo, exec_lo, s23
	s_cbranch_execnz .LBB2_4860
.LBB2_4542:                             ;   in Loop: Header=BB2_4213 Depth=3
	s_or_b32 exec_lo, exec_lo, s23
	s_and_saveexec_b32 s23, s17
	s_cbranch_execz .LBB2_4544
.LBB2_4543:                             ;   in Loop: Header=BB2_4213 Depth=3
	v_and_b32_sdwa v9, v112, v14 dst_sel:DWORD dst_unused:UNUSED_PAD src0_sel:DWORD src1_sel:BYTE_1
	v_and_b32_e32 v77, 7, v9
	v_bfe_u32 v88, v9, 3, 4
	v_ffbh_u32_e32 v78, v77
	v_cmp_eq_u32_e32 vcc_lo, 0, v88
	v_min_u32_e32 v78, 32, v78
	v_subrev_nc_u32_e32 v79, 28, v78
	v_sub_nc_u32_e32 v78, 29, v78
	v_lshlrev_b32_e32 v9, v79, v9
	v_lshlrev_b32_e32 v79, 16, v14
	v_cndmask_b32_e32 v78, v88, v78, vcc_lo
	v_and_b32_e32 v9, 7, v9
	v_lshl_add_u32 v78, v78, 23, 0x3b800000
	v_cndmask_b32_e32 v9, v77, v9, vcc_lo
	v_and_b32_e32 v77, 0x80000000, v79
	v_lshlrev_b32_e32 v9, 20, v9
	v_or3_b32 v9, v77, v78, v9
.LBB2_4544:                             ;   in Loop: Header=BB2_4213 Depth=3
	s_or_b32 exec_lo, exec_lo, s23
	v_cmp_gt_i16_sdwa s23, v10, v102 src0_sel:BYTE_1 src1_sel:DWORD
	s_mov_b32 s17, 0
	s_and_saveexec_b32 s73, s23
	s_xor_b32 s23, exec_lo, s73
	s_cbranch_execz .LBB2_4861
; %bb.4545:                             ;   in Loop: Header=BB2_4213 Depth=3
	v_cmp_eq_u16_sdwa s74, v10, v103 src0_sel:BYTE_1 src1_sel:DWORD
	s_mov_b32 s17, -1
	s_and_saveexec_b32 s73, s74
; %bb.4546:                             ;   in Loop: Header=BB2_4213 Depth=3
	s_xor_b32 s17, exec_lo, -1
; %bb.4547:                             ;   in Loop: Header=BB2_4213 Depth=3
	s_or_b32 exec_lo, exec_lo, s73
	s_and_b32 s17, s17, exec_lo
	s_or_saveexec_b32 s23, s23
	v_mov_b32_e32 v77, 0x7f800001
	s_xor_b32 exec_lo, exec_lo, s23
	s_cbranch_execnz .LBB2_4862
.LBB2_4548:                             ;   in Loop: Header=BB2_4213 Depth=3
	s_or_b32 exec_lo, exec_lo, s23
	s_and_saveexec_b32 s23, s17
.LBB2_4549:                             ;   in Loop: Header=BB2_4213 Depth=3
	v_mov_b32_e32 v77, v8
.LBB2_4550:                             ;   in Loop: Header=BB2_4213 Depth=3
	s_or_b32 exec_lo, exec_lo, s23
	v_max_f32_e32 v77, v77, v77
	v_max_f32_e32 v9, v9, v9
	s_mov_b32 s17, 0
	v_max_f32_e32 v9, v9, v77
.LBB2_4551:                             ;   in Loop: Header=BB2_4213 Depth=3
	s_and_b32 vcc_lo, exec_lo, s17
	s_cbranch_vccz .LBB2_4565
; %bb.4552:                             ;   in Loop: Header=BB2_4213 Depth=3
	v_cmp_gt_i16_sdwa s23, v14, v102 src0_sel:BYTE_1 src1_sel:DWORD
	s_mov_b32 s17, 0
	s_and_saveexec_b32 s73, s23
	s_xor_b32 s23, exec_lo, s73
	s_cbranch_execz .LBB2_4863
; %bb.4553:                             ;   in Loop: Header=BB2_4213 Depth=3
	v_cmp_eq_u16_sdwa s74, v14, v103 src0_sel:BYTE_1 src1_sel:DWORD
	s_mov_b32 s17, -1
	s_and_saveexec_b32 s73, s74
; %bb.4554:                             ;   in Loop: Header=BB2_4213 Depth=3
	s_xor_b32 s17, exec_lo, -1
; %bb.4555:                             ;   in Loop: Header=BB2_4213 Depth=3
	s_or_b32 exec_lo, exec_lo, s73
	s_and_b32 s17, s17, exec_lo
	s_or_saveexec_b32 s23, s23
	v_mov_b32_e32 v9, 0x7f800001
	s_xor_b32 exec_lo, exec_lo, s23
	s_cbranch_execnz .LBB2_4864
.LBB2_4556:                             ;   in Loop: Header=BB2_4213 Depth=3
	s_or_b32 exec_lo, exec_lo, s23
	s_and_saveexec_b32 s23, s17
	s_cbranch_execz .LBB2_4558
.LBB2_4557:                             ;   in Loop: Header=BB2_4213 Depth=3
	v_and_b32_sdwa v9, v112, v14 dst_sel:DWORD dst_unused:UNUSED_PAD src0_sel:DWORD src1_sel:BYTE_1
	v_and_b32_e32 v77, 7, v9
	v_bfe_u32 v88, v9, 3, 4
	v_ffbh_u32_e32 v78, v77
	v_cmp_eq_u32_e32 vcc_lo, 0, v88
	v_min_u32_e32 v78, 32, v78
	v_subrev_nc_u32_e32 v79, 28, v78
	v_sub_nc_u32_e32 v78, 29, v78
	v_lshlrev_b32_e32 v9, v79, v9
	v_lshlrev_b32_e32 v79, 16, v14
	v_cndmask_b32_e32 v78, v88, v78, vcc_lo
	v_and_b32_e32 v9, 7, v9
	v_lshl_add_u32 v78, v78, 23, 0x3b800000
	v_cndmask_b32_e32 v9, v77, v9, vcc_lo
	v_and_b32_e32 v77, 0x80000000, v79
	v_lshlrev_b32_e32 v9, 20, v9
	v_or3_b32 v9, v77, v78, v9
.LBB2_4558:                             ;   in Loop: Header=BB2_4213 Depth=3
	s_or_b32 exec_lo, exec_lo, s23
	v_cmp_gt_i16_sdwa s23, v10, v102 src0_sel:BYTE_1 src1_sel:DWORD
	s_mov_b32 s17, 0
	s_and_saveexec_b32 s73, s23
	s_xor_b32 s23, exec_lo, s73
	s_cbranch_execz .LBB2_4865
; %bb.4559:                             ;   in Loop: Header=BB2_4213 Depth=3
	v_cmp_eq_u16_sdwa s74, v10, v103 src0_sel:BYTE_1 src1_sel:DWORD
	s_mov_b32 s17, -1
	s_and_saveexec_b32 s73, s74
; %bb.4560:                             ;   in Loop: Header=BB2_4213 Depth=3
	s_xor_b32 s17, exec_lo, -1
; %bb.4561:                             ;   in Loop: Header=BB2_4213 Depth=3
	s_or_b32 exec_lo, exec_lo, s73
	s_and_b32 s17, s17, exec_lo
	s_or_saveexec_b32 s23, s23
	v_mov_b32_e32 v77, 0x7f800001
	s_xor_b32 exec_lo, exec_lo, s23
	s_cbranch_execnz .LBB2_4866
.LBB2_4562:                             ;   in Loop: Header=BB2_4213 Depth=3
	s_or_b32 exec_lo, exec_lo, s23
	s_and_saveexec_b32 s23, s17
.LBB2_4563:                             ;   in Loop: Header=BB2_4213 Depth=3
	v_mov_b32_e32 v77, v8
.LBB2_4564:                             ;   in Loop: Header=BB2_4213 Depth=3
	s_or_b32 exec_lo, exec_lo, s23
	v_max_f32_e32 v8, v77, v77
	v_max_f32_e32 v9, v9, v9
	v_min_f32_e32 v9, v9, v8
.LBB2_4565:                             ;   in Loop: Header=BB2_4213 Depth=3
	v_and_b32_e32 v8, 0x7f800000, v9
	v_mov_b32_e32 v77, 0x8000
	s_mov_b32 s23, exec_lo
	v_cmpx_ne_u32_e32 0x7f800000, v8
	s_cbranch_execz .LBB2_4573
; %bb.4566:                             ;   in Loop: Header=BB2_4213 Depth=3
	v_mov_b32_e32 v77, 0
	s_mov_b32 s73, exec_lo
	v_cmpx_ne_u32_e32 0, v9
	s_cbranch_execz .LBB2_4572
; %bb.4567:                             ;   in Loop: Header=BB2_4213 Depth=3
	v_bfe_u32 v8, v9, 23, 8
	v_and_b32_e32 v77, 0x7fffff, v9
	v_sub_nc_u32_e32 v78, 0x78, v8
	v_cmp_gt_u32_e32 vcc_lo, 0x79, v8
	v_or_b32_e32 v79, 0x800000, v77
	v_cndmask_b32_e32 v78, 0, v78, vcc_lo
	v_cmp_eq_u32_e32 vcc_lo, 0, v8
	v_add_nc_u32_e32 v8, 0xffffff89, v8
	v_cndmask_b32_e64 v78, v78, 0x77, vcc_lo
	v_cndmask_b32_e32 v77, v79, v77, vcc_lo
	v_cndmask_b32_e64 v8, v8, 0xffffff8a, vcc_lo
	v_lshl_add_u32 v79, 0x100000, v78, -1
	v_lshrrev_b32_e32 v88, v78, v77
	v_lshlrev_b32_e64 v90, v78, 0x80000
	v_add_nc_u32_e32 v78, v78, v8
	v_and_b32_e32 v77, v79, v77
	v_bfe_u32 v89, v88, 20, 1
	v_cmp_eq_u32_e64 s17, v77, v90
	v_add_nc_u32_e32 v79, -1, v89
	v_cndmask_b32_e64 v77, 0, v79, s17
	v_lshrrev_b32_e32 v79, 23, v88
	s_mov_b32 s17, exec_lo
	v_add_nc_u32_e32 v77, v77, v88
	v_xor_b32_e32 v79, 1, v79
	v_and_b32_e32 v8, 0xfffff, v77
	v_add_nc_u32_e32 v77, v8, v88
                                        ; implicit-def: $vgpr8
	v_cmpx_ne_u32_e64 v78, v79
	s_xor_b32 s17, exec_lo, s17
; %bb.4568:                             ;   in Loop: Header=BB2_4213 Depth=3
	v_cmp_lt_u32_e32 vcc_lo, 0xffffff, v77
	v_sub_nc_u32_e32 v8, v78, v79
	v_cndmask_b32_e64 v78, 0, 1, vcc_lo
	v_add_co_ci_u32_e64 v8, null, 0, v8, vcc_lo
	v_lshrrev_b32_e32 v77, v78, v77
; %bb.4569:                             ;   in Loop: Header=BB2_4213 Depth=3
	s_andn2_saveexec_b32 s17, s17
; %bb.4570:                             ;   in Loop: Header=BB2_4213 Depth=3
	v_bfe_u32 v8, v77, 23, 1
; %bb.4571:                             ;   in Loop: Header=BB2_4213 Depth=3
	s_or_b32 exec_lo, exec_lo, s17
	v_lshrrev_b32_e32 v77, 20, v77
	v_min_i32_e32 v78, 15, v8
	v_cmp_gt_i32_e32 vcc_lo, 16, v8
	v_and_b32_sdwa v9, v9, v103 dst_sel:DWORD dst_unused:UNUSED_PAD src0_sel:BYTE_3 src1_sel:DWORD
	v_lshlrev_b32_e32 v78, 3, v78
	v_cndmask_b32_e32 v77, 7, v77, vcc_lo
	v_and_b32_e32 v78, 0xf8, v78
	v_and_b32_e32 v79, 7, v77
	v_or_b32_e32 v8, v8, v77
	v_or3_b32 v9, v9, v78, v79
	v_cmp_ne_u32_e32 vcc_lo, 0, v8
	v_lshlrev_b32_e32 v9, 8, v9
	v_cndmask_b32_e32 v77, 0, v9, vcc_lo
.LBB2_4572:                             ;   in Loop: Header=BB2_4213 Depth=3
	s_or_b32 exec_lo, exec_lo, s73
.LBB2_4573:                             ;   in Loop: Header=BB2_4213 Depth=3
	s_or_b32 exec_lo, exec_lo, s23
	v_bfe_u32 v8, v10, 16, 3
	v_bfe_u32 v79, v10, 19, 4
	v_lshlrev_b32_e32 v88, 8, v10
	s_mov_b32 s17, -1
	v_ffbh_u32_e32 v9, v8
	v_cmp_eq_u32_e32 vcc_lo, 0, v79
	v_min_u32_e32 v9, 32, v9
	v_subrev_nc_u32_e32 v78, 28, v9
	v_sub_nc_u32_e32 v9, 29, v9
	v_lshlrev_b32_sdwa v78, v78, v10 dst_sel:DWORD dst_unused:UNUSED_PAD src0_sel:DWORD src1_sel:WORD_1
	v_cndmask_b32_e32 v9, v79, v9, vcc_lo
	v_and_b32_e32 v78, 7, v78
	v_lshl_add_u32 v9, v9, 23, 0x3b800000
	v_cndmask_b32_e32 v8, v8, v78, vcc_lo
	v_and_b32_e32 v78, 0x80000000, v88
	s_and_b32 vcc_lo, exec_lo, s22
	v_lshlrev_b32_e32 v8, 20, v8
	v_or3_b32 v8, v78, v9, v8
                                        ; implicit-def: $vgpr9
	s_cbranch_vccz .LBB2_4587
; %bb.4574:                             ;   in Loop: Header=BB2_4213 Depth=3
	v_and_b32_sdwa v78, v14, v114 dst_sel:DWORD dst_unused:UNUSED_PAD src0_sel:WORD_1 src1_sel:DWORD
	s_mov_b32 s17, 0
	s_mov_b32 s23, exec_lo
	v_cmpx_lt_i16_e32 0x7f, v78
	s_xor_b32 s23, exec_lo, s23
	s_cbranch_execz .LBB2_4867
; %bb.4575:                             ;   in Loop: Header=BB2_4213 Depth=3
	s_mov_b32 s17, -1
	s_mov_b32 s73, exec_lo
	v_cmpx_eq_u16_e32 0x80, v78
; %bb.4576:                             ;   in Loop: Header=BB2_4213 Depth=3
	s_xor_b32 s17, exec_lo, -1
; %bb.4577:                             ;   in Loop: Header=BB2_4213 Depth=3
	s_or_b32 exec_lo, exec_lo, s73
	s_and_b32 s17, s17, exec_lo
                                        ; implicit-def: $vgpr78
	s_or_saveexec_b32 s23, s23
	v_mov_b32_e32 v9, 0x7f800001
	s_xor_b32 exec_lo, exec_lo, s23
	s_cbranch_execnz .LBB2_4868
.LBB2_4578:                             ;   in Loop: Header=BB2_4213 Depth=3
	s_or_b32 exec_lo, exec_lo, s23
	s_and_saveexec_b32 s23, s17
	s_cbranch_execz .LBB2_4580
.LBB2_4579:                             ;   in Loop: Header=BB2_4213 Depth=3
	v_bfe_u32 v9, v14, 16, 3
	v_bfe_u32 v88, v14, 19, 4
	v_lshlrev_b32_sdwa v89, v113, v14 dst_sel:DWORD dst_unused:UNUSED_PAD src0_sel:DWORD src1_sel:WORD_1
	v_ffbh_u32_e32 v78, v9
	v_cmp_eq_u32_e32 vcc_lo, 0, v88
	v_min_u32_e32 v78, 32, v78
	v_subrev_nc_u32_e32 v79, 28, v78
	v_sub_nc_u32_e32 v78, 29, v78
	v_lshlrev_b32_sdwa v79, v79, v14 dst_sel:DWORD dst_unused:UNUSED_PAD src0_sel:DWORD src1_sel:WORD_1
	v_cndmask_b32_e32 v78, v88, v78, vcc_lo
	v_and_b32_e32 v79, 7, v79
	v_lshl_add_u32 v78, v78, 23, 0x3b800000
	v_cndmask_b32_e32 v9, v9, v79, vcc_lo
	v_and_b32_e32 v79, 0x80000000, v89
	v_lshlrev_b32_e32 v9, 20, v9
	v_or3_b32 v9, v79, v78, v9
.LBB2_4580:                             ;   in Loop: Header=BB2_4213 Depth=3
	s_or_b32 exec_lo, exec_lo, s23
	v_and_b32_sdwa v79, v10, v114 dst_sel:DWORD dst_unused:UNUSED_PAD src0_sel:WORD_1 src1_sel:DWORD
	s_mov_b32 s17, 0
	s_mov_b32 s23, exec_lo
	v_cmpx_lt_i16_e32 0x7f, v79
	s_xor_b32 s23, exec_lo, s23
	s_cbranch_execz .LBB2_4869
; %bb.4581:                             ;   in Loop: Header=BB2_4213 Depth=3
	s_mov_b32 s17, -1
	s_mov_b32 s73, exec_lo
	v_cmpx_eq_u16_e32 0x80, v79
; %bb.4582:                             ;   in Loop: Header=BB2_4213 Depth=3
	s_xor_b32 s17, exec_lo, -1
; %bb.4583:                             ;   in Loop: Header=BB2_4213 Depth=3
	s_or_b32 exec_lo, exec_lo, s73
	s_and_b32 s17, s17, exec_lo
                                        ; implicit-def: $vgpr79
	s_or_saveexec_b32 s23, s23
	v_mov_b32_e32 v78, 0x7f800001
	s_xor_b32 exec_lo, exec_lo, s23
	s_cbranch_execnz .LBB2_4870
.LBB2_4584:                             ;   in Loop: Header=BB2_4213 Depth=3
	s_or_b32 exec_lo, exec_lo, s23
	s_and_saveexec_b32 s23, s17
.LBB2_4585:                             ;   in Loop: Header=BB2_4213 Depth=3
	v_mov_b32_e32 v78, v8
.LBB2_4586:                             ;   in Loop: Header=BB2_4213 Depth=3
	s_or_b32 exec_lo, exec_lo, s23
	v_max_f32_e32 v78, v78, v78
	v_max_f32_e32 v9, v9, v9
	s_mov_b32 s17, 0
	v_max_f32_e32 v9, v9, v78
.LBB2_4587:                             ;   in Loop: Header=BB2_4213 Depth=3
	s_and_b32 vcc_lo, exec_lo, s17
	s_cbranch_vccz .LBB2_4601
; %bb.4588:                             ;   in Loop: Header=BB2_4213 Depth=3
	v_and_b32_sdwa v78, v14, v114 dst_sel:DWORD dst_unused:UNUSED_PAD src0_sel:WORD_1 src1_sel:DWORD
	s_mov_b32 s17, 0
	s_mov_b32 s23, exec_lo
	v_cmpx_lt_i16_e32 0x7f, v78
	s_xor_b32 s23, exec_lo, s23
	s_cbranch_execz .LBB2_4871
; %bb.4589:                             ;   in Loop: Header=BB2_4213 Depth=3
	s_mov_b32 s17, -1
	s_mov_b32 s73, exec_lo
	v_cmpx_eq_u16_e32 0x80, v78
; %bb.4590:                             ;   in Loop: Header=BB2_4213 Depth=3
	s_xor_b32 s17, exec_lo, -1
; %bb.4591:                             ;   in Loop: Header=BB2_4213 Depth=3
	s_or_b32 exec_lo, exec_lo, s73
	s_and_b32 s17, s17, exec_lo
                                        ; implicit-def: $vgpr78
	s_or_saveexec_b32 s23, s23
	v_mov_b32_e32 v9, 0x7f800001
	s_xor_b32 exec_lo, exec_lo, s23
	s_cbranch_execnz .LBB2_4872
.LBB2_4592:                             ;   in Loop: Header=BB2_4213 Depth=3
	s_or_b32 exec_lo, exec_lo, s23
	s_and_saveexec_b32 s23, s17
	s_cbranch_execz .LBB2_4594
.LBB2_4593:                             ;   in Loop: Header=BB2_4213 Depth=3
	v_bfe_u32 v9, v14, 16, 3
	v_bfe_u32 v88, v14, 19, 4
	v_lshlrev_b32_sdwa v89, v113, v14 dst_sel:DWORD dst_unused:UNUSED_PAD src0_sel:DWORD src1_sel:WORD_1
	v_ffbh_u32_e32 v78, v9
	v_cmp_eq_u32_e32 vcc_lo, 0, v88
	v_min_u32_e32 v78, 32, v78
	v_subrev_nc_u32_e32 v79, 28, v78
	v_sub_nc_u32_e32 v78, 29, v78
	v_lshlrev_b32_sdwa v79, v79, v14 dst_sel:DWORD dst_unused:UNUSED_PAD src0_sel:DWORD src1_sel:WORD_1
	v_cndmask_b32_e32 v78, v88, v78, vcc_lo
	v_and_b32_e32 v79, 7, v79
	v_lshl_add_u32 v78, v78, 23, 0x3b800000
	v_cndmask_b32_e32 v9, v9, v79, vcc_lo
	v_and_b32_e32 v79, 0x80000000, v89
	v_lshlrev_b32_e32 v9, 20, v9
	v_or3_b32 v9, v79, v78, v9
.LBB2_4594:                             ;   in Loop: Header=BB2_4213 Depth=3
	s_or_b32 exec_lo, exec_lo, s23
	v_and_b32_sdwa v79, v10, v114 dst_sel:DWORD dst_unused:UNUSED_PAD src0_sel:WORD_1 src1_sel:DWORD
	s_mov_b32 s17, 0
	s_mov_b32 s23, exec_lo
	v_cmpx_lt_i16_e32 0x7f, v79
	s_xor_b32 s23, exec_lo, s23
	s_cbranch_execz .LBB2_4873
; %bb.4595:                             ;   in Loop: Header=BB2_4213 Depth=3
	s_mov_b32 s17, -1
	s_mov_b32 s73, exec_lo
	v_cmpx_eq_u16_e32 0x80, v79
; %bb.4596:                             ;   in Loop: Header=BB2_4213 Depth=3
	s_xor_b32 s17, exec_lo, -1
; %bb.4597:                             ;   in Loop: Header=BB2_4213 Depth=3
	s_or_b32 exec_lo, exec_lo, s73
	s_and_b32 s17, s17, exec_lo
                                        ; implicit-def: $vgpr79
	s_or_saveexec_b32 s23, s23
	v_mov_b32_e32 v78, 0x7f800001
	s_xor_b32 exec_lo, exec_lo, s23
	s_cbranch_execnz .LBB2_4874
.LBB2_4598:                             ;   in Loop: Header=BB2_4213 Depth=3
	s_or_b32 exec_lo, exec_lo, s23
	s_and_saveexec_b32 s23, s17
.LBB2_4599:                             ;   in Loop: Header=BB2_4213 Depth=3
	v_mov_b32_e32 v78, v8
.LBB2_4600:                             ;   in Loop: Header=BB2_4213 Depth=3
	s_or_b32 exec_lo, exec_lo, s23
	v_max_f32_e32 v8, v78, v78
	v_max_f32_e32 v9, v9, v9
	v_min_f32_e32 v9, v9, v8
.LBB2_4601:                             ;   in Loop: Header=BB2_4213 Depth=3
	v_and_b32_e32 v8, 0x7f800000, v9
	v_mov_b32_e32 v78, 0x80
	s_mov_b32 s23, exec_lo
	v_cmpx_ne_u32_e32 0x7f800000, v8
	s_cbranch_execz .LBB2_4609
; %bb.4602:                             ;   in Loop: Header=BB2_4213 Depth=3
	v_mov_b32_e32 v78, 0
	s_mov_b32 s73, exec_lo
	v_cmpx_ne_u32_e32 0, v9
	s_cbranch_execz .LBB2_4608
; %bb.4603:                             ;   in Loop: Header=BB2_4213 Depth=3
	v_bfe_u32 v8, v9, 23, 8
	v_and_b32_e32 v78, 0x7fffff, v9
	v_sub_nc_u32_e32 v79, 0x78, v8
	v_cmp_gt_u32_e32 vcc_lo, 0x79, v8
	v_or_b32_e32 v88, 0x800000, v78
	v_cndmask_b32_e32 v79, 0, v79, vcc_lo
	v_cmp_eq_u32_e32 vcc_lo, 0, v8
	v_add_nc_u32_e32 v8, 0xffffff89, v8
	v_cndmask_b32_e64 v79, v79, 0x77, vcc_lo
	v_cndmask_b32_e32 v78, v88, v78, vcc_lo
	v_cndmask_b32_e64 v8, v8, 0xffffff8a, vcc_lo
	v_lshl_add_u32 v88, 0x100000, v79, -1
	v_lshrrev_b32_e32 v89, v79, v78
	v_lshlrev_b32_e64 v91, v79, 0x80000
	v_add_nc_u32_e32 v79, v79, v8
	v_and_b32_e32 v78, v88, v78
	v_bfe_u32 v90, v89, 20, 1
	v_cmp_eq_u32_e64 s17, v78, v91
	v_add_nc_u32_e32 v88, -1, v90
	v_cndmask_b32_e64 v78, 0, v88, s17
	v_lshrrev_b32_e32 v88, 23, v89
	s_mov_b32 s17, exec_lo
	v_add_nc_u32_e32 v78, v78, v89
	v_xor_b32_e32 v88, 1, v88
	v_and_b32_e32 v8, 0xfffff, v78
	v_add_nc_u32_e32 v78, v8, v89
                                        ; implicit-def: $vgpr8
	v_cmpx_ne_u32_e64 v79, v88
	s_xor_b32 s17, exec_lo, s17
; %bb.4604:                             ;   in Loop: Header=BB2_4213 Depth=3
	v_cmp_lt_u32_e32 vcc_lo, 0xffffff, v78
	v_sub_nc_u32_e32 v8, v79, v88
	v_cndmask_b32_e64 v79, 0, 1, vcc_lo
	v_add_co_ci_u32_e64 v8, null, 0, v8, vcc_lo
	v_lshrrev_b32_e32 v78, v79, v78
; %bb.4605:                             ;   in Loop: Header=BB2_4213 Depth=3
	s_andn2_saveexec_b32 s17, s17
; %bb.4606:                             ;   in Loop: Header=BB2_4213 Depth=3
	v_bfe_u32 v8, v78, 23, 1
; %bb.4607:                             ;   in Loop: Header=BB2_4213 Depth=3
	s_or_b32 exec_lo, exec_lo, s17
	v_lshrrev_b32_e32 v78, 20, v78
	v_min_i32_e32 v79, 15, v8
	v_cmp_gt_i32_e32 vcc_lo, 16, v8
	v_and_b32_sdwa v9, v9, v103 dst_sel:DWORD dst_unused:UNUSED_PAD src0_sel:BYTE_3 src1_sel:DWORD
	v_lshlrev_b32_e32 v79, 3, v79
	v_cndmask_b32_e32 v78, 7, v78, vcc_lo
	v_and_b32_e32 v79, 0xf8, v79
	v_and_b32_e32 v88, 7, v78
	v_or_b32_e32 v8, v8, v78
	v_or3_b32 v9, v79, v9, v88
	v_cmp_ne_u32_e32 vcc_lo, 0, v8
	v_cndmask_b32_e32 v78, 0, v9, vcc_lo
.LBB2_4608:                             ;   in Loop: Header=BB2_4213 Depth=3
	s_or_b32 exec_lo, exec_lo, s73
.LBB2_4609:                             ;   in Loop: Header=BB2_4213 Depth=3
	s_or_b32 exec_lo, exec_lo, s23
	v_bfe_u32 v8, v10, 24, 3
	v_bfe_u32 v88, v10, 27, 4
	s_mov_b32 s17, -1
	v_ffbh_u32_e32 v9, v8
	v_cmp_eq_u32_e32 vcc_lo, 0, v88
	v_min_u32_e32 v9, 32, v9
	v_subrev_nc_u32_e32 v79, 28, v9
	v_sub_nc_u32_e32 v9, 29, v9
	v_lshlrev_b32_sdwa v79, v79, v10 dst_sel:DWORD dst_unused:UNUSED_PAD src0_sel:DWORD src1_sel:BYTE_3
	v_cndmask_b32_e32 v9, v88, v9, vcc_lo
	v_and_b32_e32 v79, 7, v79
	v_lshl_add_u32 v9, v9, 23, 0x3b800000
	v_cndmask_b32_e32 v8, v8, v79, vcc_lo
	v_and_b32_e32 v79, 0x80000000, v10
	s_and_b32 vcc_lo, exec_lo, s22
	v_lshlrev_b32_e32 v8, 20, v8
	v_or3_b32 v8, v79, v9, v8
                                        ; implicit-def: $vgpr9
	s_cbranch_vccz .LBB2_4623
; %bb.4610:                             ;   in Loop: Header=BB2_4213 Depth=3
	v_cmp_gt_i16_sdwa s23, v14, v102 src0_sel:BYTE_3 src1_sel:DWORD
	s_mov_b32 s17, 0
	s_and_saveexec_b32 s73, s23
	s_xor_b32 s23, exec_lo, s73
	s_cbranch_execz .LBB2_4875
; %bb.4611:                             ;   in Loop: Header=BB2_4213 Depth=3
	v_cmp_eq_u16_sdwa s74, v14, v103 src0_sel:BYTE_3 src1_sel:DWORD
	s_mov_b32 s17, -1
	s_and_saveexec_b32 s73, s74
; %bb.4612:                             ;   in Loop: Header=BB2_4213 Depth=3
	s_xor_b32 s17, exec_lo, -1
; %bb.4613:                             ;   in Loop: Header=BB2_4213 Depth=3
	s_or_b32 exec_lo, exec_lo, s73
	s_and_b32 s17, s17, exec_lo
	s_or_saveexec_b32 s23, s23
	v_mov_b32_e32 v9, 0x7f800001
	s_xor_b32 exec_lo, exec_lo, s23
	s_cbranch_execnz .LBB2_4876
.LBB2_4614:                             ;   in Loop: Header=BB2_4213 Depth=3
	s_or_b32 exec_lo, exec_lo, s23
	s_and_saveexec_b32 s23, s17
	s_cbranch_execz .LBB2_4616
.LBB2_4615:                             ;   in Loop: Header=BB2_4213 Depth=3
	v_bfe_u32 v9, v14, 24, 3
	v_bfe_u32 v89, v14, 27, 4
	v_ffbh_u32_e32 v79, v9
	v_cmp_eq_u32_e32 vcc_lo, 0, v89
	v_min_u32_e32 v79, 32, v79
	v_subrev_nc_u32_e32 v88, 28, v79
	v_sub_nc_u32_e32 v79, 29, v79
	v_lshlrev_b32_sdwa v88, v88, v14 dst_sel:DWORD dst_unused:UNUSED_PAD src0_sel:DWORD src1_sel:BYTE_3
	v_cndmask_b32_e32 v79, v89, v79, vcc_lo
	v_and_b32_e32 v88, 7, v88
	v_lshl_add_u32 v79, v79, 23, 0x3b800000
	v_cndmask_b32_e32 v9, v9, v88, vcc_lo
	v_and_b32_e32 v88, 0x80000000, v14
	v_lshlrev_b32_e32 v9, 20, v9
	v_or3_b32 v9, v88, v79, v9
.LBB2_4616:                             ;   in Loop: Header=BB2_4213 Depth=3
	s_or_b32 exec_lo, exec_lo, s23
	v_cmp_gt_i16_sdwa s23, v10, v102 src0_sel:BYTE_3 src1_sel:DWORD
	s_mov_b32 s17, 0
	s_and_saveexec_b32 s73, s23
	s_xor_b32 s23, exec_lo, s73
	s_cbranch_execz .LBB2_4877
; %bb.4617:                             ;   in Loop: Header=BB2_4213 Depth=3
	v_cmp_eq_u16_sdwa s74, v10, v103 src0_sel:BYTE_3 src1_sel:DWORD
	s_mov_b32 s17, -1
	s_and_saveexec_b32 s73, s74
; %bb.4618:                             ;   in Loop: Header=BB2_4213 Depth=3
	s_xor_b32 s17, exec_lo, -1
; %bb.4619:                             ;   in Loop: Header=BB2_4213 Depth=3
	s_or_b32 exec_lo, exec_lo, s73
	s_and_b32 s17, s17, exec_lo
	s_or_saveexec_b32 s23, s23
	v_mov_b32_e32 v79, 0x7f800001
	s_xor_b32 exec_lo, exec_lo, s23
	s_cbranch_execnz .LBB2_4878
.LBB2_4620:                             ;   in Loop: Header=BB2_4213 Depth=3
	s_or_b32 exec_lo, exec_lo, s23
	s_and_saveexec_b32 s23, s17
.LBB2_4621:                             ;   in Loop: Header=BB2_4213 Depth=3
	v_mov_b32_e32 v79, v8
.LBB2_4622:                             ;   in Loop: Header=BB2_4213 Depth=3
	s_or_b32 exec_lo, exec_lo, s23
	v_max_f32_e32 v79, v79, v79
	v_max_f32_e32 v9, v9, v9
	s_mov_b32 s17, 0
	v_max_f32_e32 v9, v9, v79
.LBB2_4623:                             ;   in Loop: Header=BB2_4213 Depth=3
	s_and_b32 vcc_lo, exec_lo, s17
	s_cbranch_vccz .LBB2_4637
; %bb.4624:                             ;   in Loop: Header=BB2_4213 Depth=3
	v_cmp_gt_i16_sdwa s23, v14, v102 src0_sel:BYTE_3 src1_sel:DWORD
	s_mov_b32 s17, 0
	s_and_saveexec_b32 s73, s23
	s_xor_b32 s23, exec_lo, s73
	s_cbranch_execz .LBB2_4879
; %bb.4625:                             ;   in Loop: Header=BB2_4213 Depth=3
	v_cmp_eq_u16_sdwa s74, v14, v103 src0_sel:BYTE_3 src1_sel:DWORD
	s_mov_b32 s17, -1
	s_and_saveexec_b32 s73, s74
; %bb.4626:                             ;   in Loop: Header=BB2_4213 Depth=3
	s_xor_b32 s17, exec_lo, -1
; %bb.4627:                             ;   in Loop: Header=BB2_4213 Depth=3
	s_or_b32 exec_lo, exec_lo, s73
	s_and_b32 s17, s17, exec_lo
	s_or_saveexec_b32 s23, s23
	v_mov_b32_e32 v9, 0x7f800001
	s_xor_b32 exec_lo, exec_lo, s23
	s_cbranch_execnz .LBB2_4880
.LBB2_4628:                             ;   in Loop: Header=BB2_4213 Depth=3
	s_or_b32 exec_lo, exec_lo, s23
	s_and_saveexec_b32 s23, s17
	s_cbranch_execz .LBB2_4630
.LBB2_4629:                             ;   in Loop: Header=BB2_4213 Depth=3
	v_bfe_u32 v9, v14, 24, 3
	v_bfe_u32 v89, v14, 27, 4
	v_ffbh_u32_e32 v79, v9
	v_cmp_eq_u32_e32 vcc_lo, 0, v89
	v_min_u32_e32 v79, 32, v79
	v_subrev_nc_u32_e32 v88, 28, v79
	v_sub_nc_u32_e32 v79, 29, v79
	v_lshlrev_b32_sdwa v88, v88, v14 dst_sel:DWORD dst_unused:UNUSED_PAD src0_sel:DWORD src1_sel:BYTE_3
	v_cndmask_b32_e32 v79, v89, v79, vcc_lo
	v_and_b32_e32 v14, 0x80000000, v14
	v_and_b32_e32 v88, 7, v88
	v_lshl_add_u32 v79, v79, 23, 0x3b800000
	v_cndmask_b32_e32 v9, v9, v88, vcc_lo
	v_lshlrev_b32_e32 v9, 20, v9
	v_or3_b32 v9, v14, v79, v9
.LBB2_4630:                             ;   in Loop: Header=BB2_4213 Depth=3
	s_or_b32 exec_lo, exec_lo, s23
	v_cmp_gt_i16_sdwa s23, v10, v102 src0_sel:BYTE_3 src1_sel:DWORD
	s_mov_b32 s17, 0
	s_and_saveexec_b32 s73, s23
	s_xor_b32 s23, exec_lo, s73
	s_cbranch_execz .LBB2_4881
; %bb.4631:                             ;   in Loop: Header=BB2_4213 Depth=3
	v_cmp_eq_u16_sdwa s74, v10, v103 src0_sel:BYTE_3 src1_sel:DWORD
	s_mov_b32 s17, -1
	s_and_saveexec_b32 s73, s74
; %bb.4632:                             ;   in Loop: Header=BB2_4213 Depth=3
	s_xor_b32 s17, exec_lo, -1
; %bb.4633:                             ;   in Loop: Header=BB2_4213 Depth=3
	s_or_b32 exec_lo, exec_lo, s73
	s_and_b32 s17, s17, exec_lo
	s_or_saveexec_b32 s23, s23
	v_mov_b32_e32 v14, 0x7f800001
	s_xor_b32 exec_lo, exec_lo, s23
	s_cbranch_execnz .LBB2_4882
.LBB2_4634:                             ;   in Loop: Header=BB2_4213 Depth=3
	s_or_b32 exec_lo, exec_lo, s23
	s_and_saveexec_b32 s23, s17
.LBB2_4635:                             ;   in Loop: Header=BB2_4213 Depth=3
	v_mov_b32_e32 v14, v8
.LBB2_4636:                             ;   in Loop: Header=BB2_4213 Depth=3
	s_or_b32 exec_lo, exec_lo, s23
	v_max_f32_e32 v8, v14, v14
	v_max_f32_e32 v9, v9, v9
	v_min_f32_e32 v9, v9, v8
.LBB2_4637:                             ;   in Loop: Header=BB2_4213 Depth=3
	v_and_b32_e32 v8, 0x7f800000, v9
	v_mov_b32_e32 v14, 0x8000
	s_mov_b32 s23, exec_lo
	v_cmpx_ne_u32_e32 0x7f800000, v8
	s_cbranch_execz .LBB2_4645
; %bb.4638:                             ;   in Loop: Header=BB2_4213 Depth=3
	v_mov_b32_e32 v14, 0
	s_mov_b32 s73, exec_lo
	v_cmpx_ne_u32_e32 0, v9
	s_cbranch_execz .LBB2_4644
; %bb.4639:                             ;   in Loop: Header=BB2_4213 Depth=3
	v_bfe_u32 v8, v9, 23, 8
	v_and_b32_e32 v10, 0x7fffff, v9
	v_sub_nc_u32_e32 v14, 0x78, v8
	v_cmp_gt_u32_e32 vcc_lo, 0x79, v8
	v_or_b32_e32 v79, 0x800000, v10
	v_cndmask_b32_e32 v14, 0, v14, vcc_lo
	v_cmp_eq_u32_e32 vcc_lo, 0, v8
	v_add_nc_u32_e32 v8, 0xffffff89, v8
	v_cndmask_b32_e64 v14, v14, 0x77, vcc_lo
	v_cndmask_b32_e32 v10, v79, v10, vcc_lo
	v_cndmask_b32_e64 v8, v8, 0xffffff8a, vcc_lo
	v_lshl_add_u32 v79, 0x100000, v14, -1
	v_lshrrev_b32_e32 v88, v14, v10
	v_lshlrev_b32_e64 v90, v14, 0x80000
	v_add_nc_u32_e32 v14, v14, v8
	v_and_b32_e32 v10, v79, v10
	v_bfe_u32 v89, v88, 20, 1
	v_cmp_eq_u32_e64 s17, v10, v90
	v_add_nc_u32_e32 v79, -1, v89
	v_cndmask_b32_e64 v10, 0, v79, s17
	v_lshrrev_b32_e32 v79, 23, v88
	s_mov_b32 s17, exec_lo
	v_add_nc_u32_e32 v10, v10, v88
	v_xor_b32_e32 v79, 1, v79
	v_and_b32_e32 v8, 0xfffff, v10
	v_add_nc_u32_e32 v10, v8, v88
                                        ; implicit-def: $vgpr8
	v_cmpx_ne_u32_e64 v14, v79
	s_xor_b32 s17, exec_lo, s17
; %bb.4640:                             ;   in Loop: Header=BB2_4213 Depth=3
	v_cmp_lt_u32_e32 vcc_lo, 0xffffff, v10
	v_sub_nc_u32_e32 v8, v14, v79
	v_cndmask_b32_e64 v14, 0, 1, vcc_lo
	v_add_co_ci_u32_e64 v8, null, 0, v8, vcc_lo
	v_lshrrev_b32_e32 v10, v14, v10
; %bb.4641:                             ;   in Loop: Header=BB2_4213 Depth=3
	s_andn2_saveexec_b32 s17, s17
; %bb.4642:                             ;   in Loop: Header=BB2_4213 Depth=3
	v_bfe_u32 v8, v10, 23, 1
; %bb.4643:                             ;   in Loop: Header=BB2_4213 Depth=3
	s_or_b32 exec_lo, exec_lo, s17
	v_lshrrev_b32_e32 v10, 20, v10
	v_min_i32_e32 v14, 15, v8
	v_cmp_gt_i32_e32 vcc_lo, 16, v8
	v_and_b32_sdwa v9, v9, v103 dst_sel:DWORD dst_unused:UNUSED_PAD src0_sel:BYTE_3 src1_sel:DWORD
	v_lshlrev_b32_e32 v14, 3, v14
	v_cndmask_b32_e32 v10, 7, v10, vcc_lo
	v_and_b32_e32 v14, 0xf8, v14
	v_and_b32_e32 v79, 7, v10
	v_or_b32_e32 v8, v8, v10
	v_or3_b32 v9, v9, v14, v79
	v_cmp_ne_u32_e32 vcc_lo, 0, v8
	v_lshlrev_b32_e32 v9, 8, v9
	v_cndmask_b32_e32 v14, 0, v9, vcc_lo
.LBB2_4644:                             ;   in Loop: Header=BB2_4213 Depth=3
	s_or_b32 exec_lo, exec_lo, s73
.LBB2_4645:                             ;   in Loop: Header=BB2_4213 Depth=3
	s_or_b32 exec_lo, exec_lo, s23
	v_and_b32_e32 v8, 7, v11
	v_bfe_u32 v79, v11, 3, 4
	v_lshlrev_b32_e32 v88, 24, v11
	s_mov_b32 s17, -1
	v_ffbh_u32_e32 v9, v8
	v_cmp_eq_u32_e32 vcc_lo, 0, v79
	v_min_u32_e32 v9, 32, v9
	v_subrev_nc_u32_e32 v10, 28, v9
	v_sub_nc_u32_e32 v9, 29, v9
	v_lshlrev_b32_e32 v10, v10, v11
	v_cndmask_b32_e32 v9, v79, v9, vcc_lo
	v_and_b32_e32 v10, 7, v10
	v_lshl_add_u32 v9, v9, 23, 0x3b800000
	v_cndmask_b32_e32 v8, v8, v10, vcc_lo
	v_and_b32_e32 v10, 0x80000000, v88
	s_and_b32 vcc_lo, exec_lo, s22
	v_lshlrev_b32_e32 v8, 20, v8
	v_or3_b32 v8, v10, v9, v8
                                        ; implicit-def: $vgpr9
	s_cbranch_vccz .LBB2_4659
; %bb.4646:                             ;   in Loop: Header=BB2_4213 Depth=3
	v_cmp_gt_i16_sdwa s23, v15, v102 src0_sel:BYTE_0 src1_sel:DWORD
	s_mov_b32 s17, 0
	s_and_saveexec_b32 s73, s23
	s_xor_b32 s23, exec_lo, s73
	s_cbranch_execz .LBB2_4883
; %bb.4647:                             ;   in Loop: Header=BB2_4213 Depth=3
	v_cmp_eq_u16_sdwa s74, v15, v103 src0_sel:BYTE_0 src1_sel:DWORD
	s_mov_b32 s17, -1
	s_and_saveexec_b32 s73, s74
; %bb.4648:                             ;   in Loop: Header=BB2_4213 Depth=3
	s_xor_b32 s17, exec_lo, -1
; %bb.4649:                             ;   in Loop: Header=BB2_4213 Depth=3
	s_or_b32 exec_lo, exec_lo, s73
	s_and_b32 s17, s17, exec_lo
	s_or_saveexec_b32 s23, s23
	v_mov_b32_e32 v9, 0x7f800001
	s_xor_b32 exec_lo, exec_lo, s23
	s_cbranch_execnz .LBB2_4884
.LBB2_4650:                             ;   in Loop: Header=BB2_4213 Depth=3
	s_or_b32 exec_lo, exec_lo, s23
	s_and_saveexec_b32 s23, s17
	s_cbranch_execz .LBB2_4652
.LBB2_4651:                             ;   in Loop: Header=BB2_4213 Depth=3
	v_and_b32_e32 v9, 7, v15
	v_bfe_u32 v88, v15, 3, 4
	v_lshlrev_b32_e32 v89, 24, v15
	v_ffbh_u32_e32 v10, v9
	v_cmp_eq_u32_e32 vcc_lo, 0, v88
	v_min_u32_e32 v10, 32, v10
	v_subrev_nc_u32_e32 v79, 28, v10
	v_sub_nc_u32_e32 v10, 29, v10
	v_lshlrev_b32_e32 v79, v79, v15
	v_cndmask_b32_e32 v10, v88, v10, vcc_lo
	v_and_b32_e32 v79, 7, v79
	v_lshl_add_u32 v10, v10, 23, 0x3b800000
	v_cndmask_b32_e32 v9, v9, v79, vcc_lo
	v_and_b32_e32 v79, 0x80000000, v89
	v_lshlrev_b32_e32 v9, 20, v9
	v_or3_b32 v9, v79, v10, v9
.LBB2_4652:                             ;   in Loop: Header=BB2_4213 Depth=3
	s_or_b32 exec_lo, exec_lo, s23
	v_cmp_gt_i16_sdwa s23, v11, v102 src0_sel:BYTE_0 src1_sel:DWORD
	s_mov_b32 s17, 0
	s_and_saveexec_b32 s73, s23
	s_xor_b32 s23, exec_lo, s73
	s_cbranch_execz .LBB2_4885
; %bb.4653:                             ;   in Loop: Header=BB2_4213 Depth=3
	v_cmp_eq_u16_sdwa s74, v11, v103 src0_sel:BYTE_0 src1_sel:DWORD
	s_mov_b32 s17, -1
	s_and_saveexec_b32 s73, s74
; %bb.4654:                             ;   in Loop: Header=BB2_4213 Depth=3
	s_xor_b32 s17, exec_lo, -1
; %bb.4655:                             ;   in Loop: Header=BB2_4213 Depth=3
	s_or_b32 exec_lo, exec_lo, s73
	s_and_b32 s17, s17, exec_lo
	s_or_saveexec_b32 s23, s23
	v_mov_b32_e32 v10, 0x7f800001
	s_xor_b32 exec_lo, exec_lo, s23
	s_cbranch_execnz .LBB2_4886
.LBB2_4656:                             ;   in Loop: Header=BB2_4213 Depth=3
	s_or_b32 exec_lo, exec_lo, s23
	s_and_saveexec_b32 s23, s17
.LBB2_4657:                             ;   in Loop: Header=BB2_4213 Depth=3
	v_mov_b32_e32 v10, v8
.LBB2_4658:                             ;   in Loop: Header=BB2_4213 Depth=3
	s_or_b32 exec_lo, exec_lo, s23
	v_max_f32_e32 v10, v10, v10
	v_max_f32_e32 v9, v9, v9
	s_mov_b32 s17, 0
	v_max_f32_e32 v9, v9, v10
.LBB2_4659:                             ;   in Loop: Header=BB2_4213 Depth=3
	s_and_b32 vcc_lo, exec_lo, s17
	s_cbranch_vccz .LBB2_4673
; %bb.4660:                             ;   in Loop: Header=BB2_4213 Depth=3
	v_cmp_gt_i16_sdwa s23, v15, v102 src0_sel:BYTE_0 src1_sel:DWORD
	s_mov_b32 s17, 0
	s_and_saveexec_b32 s73, s23
	s_xor_b32 s23, exec_lo, s73
	s_cbranch_execz .LBB2_4887
; %bb.4661:                             ;   in Loop: Header=BB2_4213 Depth=3
	v_cmp_eq_u16_sdwa s74, v15, v103 src0_sel:BYTE_0 src1_sel:DWORD
	s_mov_b32 s17, -1
	s_and_saveexec_b32 s73, s74
; %bb.4662:                             ;   in Loop: Header=BB2_4213 Depth=3
	s_xor_b32 s17, exec_lo, -1
; %bb.4663:                             ;   in Loop: Header=BB2_4213 Depth=3
	s_or_b32 exec_lo, exec_lo, s73
	s_and_b32 s17, s17, exec_lo
	s_or_saveexec_b32 s23, s23
	v_mov_b32_e32 v9, 0x7f800001
	s_xor_b32 exec_lo, exec_lo, s23
	s_cbranch_execnz .LBB2_4888
.LBB2_4664:                             ;   in Loop: Header=BB2_4213 Depth=3
	s_or_b32 exec_lo, exec_lo, s23
	s_and_saveexec_b32 s23, s17
	s_cbranch_execz .LBB2_4666
.LBB2_4665:                             ;   in Loop: Header=BB2_4213 Depth=3
	v_and_b32_e32 v9, 7, v15
	v_bfe_u32 v88, v15, 3, 4
	v_lshlrev_b32_e32 v89, 24, v15
	v_ffbh_u32_e32 v10, v9
	v_cmp_eq_u32_e32 vcc_lo, 0, v88
	v_min_u32_e32 v10, 32, v10
	v_subrev_nc_u32_e32 v79, 28, v10
	v_sub_nc_u32_e32 v10, 29, v10
	v_lshlrev_b32_e32 v79, v79, v15
	v_cndmask_b32_e32 v10, v88, v10, vcc_lo
	v_and_b32_e32 v79, 7, v79
	v_lshl_add_u32 v10, v10, 23, 0x3b800000
	v_cndmask_b32_e32 v9, v9, v79, vcc_lo
	v_and_b32_e32 v79, 0x80000000, v89
	v_lshlrev_b32_e32 v9, 20, v9
	v_or3_b32 v9, v79, v10, v9
.LBB2_4666:                             ;   in Loop: Header=BB2_4213 Depth=3
	s_or_b32 exec_lo, exec_lo, s23
	v_cmp_gt_i16_sdwa s23, v11, v102 src0_sel:BYTE_0 src1_sel:DWORD
	s_mov_b32 s17, 0
	s_and_saveexec_b32 s73, s23
	s_xor_b32 s23, exec_lo, s73
	s_cbranch_execz .LBB2_4889
; %bb.4667:                             ;   in Loop: Header=BB2_4213 Depth=3
	v_cmp_eq_u16_sdwa s74, v11, v103 src0_sel:BYTE_0 src1_sel:DWORD
	s_mov_b32 s17, -1
	s_and_saveexec_b32 s73, s74
; %bb.4668:                             ;   in Loop: Header=BB2_4213 Depth=3
	s_xor_b32 s17, exec_lo, -1
; %bb.4669:                             ;   in Loop: Header=BB2_4213 Depth=3
	s_or_b32 exec_lo, exec_lo, s73
	s_and_b32 s17, s17, exec_lo
	s_or_saveexec_b32 s23, s23
	v_mov_b32_e32 v10, 0x7f800001
	s_xor_b32 exec_lo, exec_lo, s23
	s_cbranch_execnz .LBB2_4890
.LBB2_4670:                             ;   in Loop: Header=BB2_4213 Depth=3
	s_or_b32 exec_lo, exec_lo, s23
	s_and_saveexec_b32 s23, s17
.LBB2_4671:                             ;   in Loop: Header=BB2_4213 Depth=3
	v_mov_b32_e32 v10, v8
.LBB2_4672:                             ;   in Loop: Header=BB2_4213 Depth=3
	s_or_b32 exec_lo, exec_lo, s23
	v_max_f32_e32 v8, v10, v10
	v_max_f32_e32 v9, v9, v9
	v_min_f32_e32 v9, v9, v8
.LBB2_4673:                             ;   in Loop: Header=BB2_4213 Depth=3
	v_and_b32_e32 v8, 0x7f800000, v9
	v_mov_b32_e32 v79, 0x80
	s_mov_b32 s23, exec_lo
	v_cmpx_ne_u32_e32 0x7f800000, v8
	s_cbranch_execz .LBB2_4681
; %bb.4674:                             ;   in Loop: Header=BB2_4213 Depth=3
	v_mov_b32_e32 v79, 0
	s_mov_b32 s73, exec_lo
	v_cmpx_ne_u32_e32 0, v9
	s_cbranch_execz .LBB2_4680
; %bb.4675:                             ;   in Loop: Header=BB2_4213 Depth=3
	v_bfe_u32 v8, v9, 23, 8
	v_and_b32_e32 v10, 0x7fffff, v9
	v_sub_nc_u32_e32 v79, 0x78, v8
	v_cmp_gt_u32_e32 vcc_lo, 0x79, v8
	v_or_b32_e32 v88, 0x800000, v10
	v_cndmask_b32_e32 v79, 0, v79, vcc_lo
	v_cmp_eq_u32_e32 vcc_lo, 0, v8
	v_add_nc_u32_e32 v8, 0xffffff89, v8
	v_cndmask_b32_e64 v79, v79, 0x77, vcc_lo
	v_cndmask_b32_e32 v10, v88, v10, vcc_lo
	v_cndmask_b32_e64 v8, v8, 0xffffff8a, vcc_lo
	v_lshl_add_u32 v88, 0x100000, v79, -1
	v_lshrrev_b32_e32 v89, v79, v10
	v_lshlrev_b32_e64 v91, v79, 0x80000
	v_add_nc_u32_e32 v79, v79, v8
	v_and_b32_e32 v10, v88, v10
	v_bfe_u32 v90, v89, 20, 1
	v_cmp_eq_u32_e64 s17, v10, v91
	v_add_nc_u32_e32 v88, -1, v90
	v_cndmask_b32_e64 v10, 0, v88, s17
	v_lshrrev_b32_e32 v88, 23, v89
	s_mov_b32 s17, exec_lo
	v_add_nc_u32_e32 v10, v10, v89
	v_xor_b32_e32 v88, 1, v88
	v_and_b32_e32 v8, 0xfffff, v10
	v_add_nc_u32_e32 v10, v8, v89
                                        ; implicit-def: $vgpr8
	v_cmpx_ne_u32_e64 v79, v88
	s_xor_b32 s17, exec_lo, s17
; %bb.4676:                             ;   in Loop: Header=BB2_4213 Depth=3
	v_cmp_lt_u32_e32 vcc_lo, 0xffffff, v10
	v_sub_nc_u32_e32 v8, v79, v88
	v_cndmask_b32_e64 v79, 0, 1, vcc_lo
	v_add_co_ci_u32_e64 v8, null, 0, v8, vcc_lo
	v_lshrrev_b32_e32 v10, v79, v10
; %bb.4677:                             ;   in Loop: Header=BB2_4213 Depth=3
	s_andn2_saveexec_b32 s17, s17
; %bb.4678:                             ;   in Loop: Header=BB2_4213 Depth=3
	v_bfe_u32 v8, v10, 23, 1
; %bb.4679:                             ;   in Loop: Header=BB2_4213 Depth=3
	s_or_b32 exec_lo, exec_lo, s17
	v_lshrrev_b32_e32 v10, 20, v10
	v_min_i32_e32 v79, 15, v8
	v_cmp_gt_i32_e32 vcc_lo, 16, v8
	v_and_b32_sdwa v9, v9, v103 dst_sel:DWORD dst_unused:UNUSED_PAD src0_sel:BYTE_3 src1_sel:DWORD
	v_lshlrev_b32_e32 v79, 3, v79
	v_cndmask_b32_e32 v10, 7, v10, vcc_lo
	v_and_b32_e32 v79, 0xf8, v79
	v_and_b32_e32 v88, 7, v10
	v_or_b32_e32 v8, v8, v10
	v_or3_b32 v9, v79, v9, v88
	v_cmp_ne_u32_e32 vcc_lo, 0, v8
	v_cndmask_b32_e32 v79, 0, v9, vcc_lo
.LBB2_4680:                             ;   in Loop: Header=BB2_4213 Depth=3
	s_or_b32 exec_lo, exec_lo, s73
.LBB2_4681:                             ;   in Loop: Header=BB2_4213 Depth=3
	s_or_b32 exec_lo, exec_lo, s23
	v_and_b32_sdwa v8, v112, v11 dst_sel:DWORD dst_unused:UNUSED_PAD src0_sel:DWORD src1_sel:BYTE_1
	s_mov_b32 s17, -1
	v_and_b32_e32 v9, 7, v8
	v_bfe_u32 v89, v8, 3, 4
	v_ffbh_u32_e32 v10, v9
	v_cmp_eq_u32_e32 vcc_lo, 0, v89
	v_min_u32_e32 v10, 32, v10
	v_subrev_nc_u32_e32 v88, 28, v10
	v_sub_nc_u32_e32 v10, 29, v10
	v_lshlrev_b32_e32 v8, v88, v8
	v_lshlrev_b32_sdwa v88, v113, v11 dst_sel:DWORD dst_unused:UNUSED_PAD src0_sel:DWORD src1_sel:BYTE_1
	v_cndmask_b32_e32 v10, v89, v10, vcc_lo
	v_and_b32_e32 v8, 7, v8
	v_lshl_add_u32 v10, v10, 23, 0x3b800000
	v_cndmask_b32_e32 v8, v9, v8, vcc_lo
	v_and_b32_e32 v9, 0x80000000, v88
	s_and_b32 vcc_lo, exec_lo, s22
	v_lshlrev_b32_e32 v8, 20, v8
	v_or3_b32 v8, v9, v10, v8
                                        ; implicit-def: $vgpr9
	s_cbranch_vccz .LBB2_4695
; %bb.4682:                             ;   in Loop: Header=BB2_4213 Depth=3
	v_cmp_gt_i16_sdwa s23, v15, v102 src0_sel:BYTE_1 src1_sel:DWORD
	s_mov_b32 s17, 0
	s_and_saveexec_b32 s73, s23
	s_xor_b32 s23, exec_lo, s73
	s_cbranch_execz .LBB2_4891
; %bb.4683:                             ;   in Loop: Header=BB2_4213 Depth=3
	v_cmp_eq_u16_sdwa s74, v15, v103 src0_sel:BYTE_1 src1_sel:DWORD
	s_mov_b32 s17, -1
	s_and_saveexec_b32 s73, s74
; %bb.4684:                             ;   in Loop: Header=BB2_4213 Depth=3
	s_xor_b32 s17, exec_lo, -1
; %bb.4685:                             ;   in Loop: Header=BB2_4213 Depth=3
	s_or_b32 exec_lo, exec_lo, s73
	s_and_b32 s17, s17, exec_lo
	s_or_saveexec_b32 s23, s23
	v_mov_b32_e32 v9, 0x7f800001
	s_xor_b32 exec_lo, exec_lo, s23
	s_cbranch_execnz .LBB2_4892
.LBB2_4686:                             ;   in Loop: Header=BB2_4213 Depth=3
	s_or_b32 exec_lo, exec_lo, s23
	s_and_saveexec_b32 s23, s17
	s_cbranch_execz .LBB2_4688
.LBB2_4687:                             ;   in Loop: Header=BB2_4213 Depth=3
	v_and_b32_sdwa v9, v112, v15 dst_sel:DWORD dst_unused:UNUSED_PAD src0_sel:DWORD src1_sel:BYTE_1
	v_and_b32_e32 v10, 7, v9
	v_bfe_u32 v90, v9, 3, 4
	v_ffbh_u32_e32 v88, v10
	v_cmp_eq_u32_e32 vcc_lo, 0, v90
	v_min_u32_e32 v88, 32, v88
	v_subrev_nc_u32_e32 v89, 28, v88
	v_sub_nc_u32_e32 v88, 29, v88
	v_lshlrev_b32_e32 v9, v89, v9
	v_lshlrev_b32_e32 v89, 16, v15
	v_cndmask_b32_e32 v88, v90, v88, vcc_lo
	v_and_b32_e32 v9, 7, v9
	v_lshl_add_u32 v88, v88, 23, 0x3b800000
	v_cndmask_b32_e32 v9, v10, v9, vcc_lo
	v_and_b32_e32 v10, 0x80000000, v89
	v_lshlrev_b32_e32 v9, 20, v9
	v_or3_b32 v9, v10, v88, v9
.LBB2_4688:                             ;   in Loop: Header=BB2_4213 Depth=3
	s_or_b32 exec_lo, exec_lo, s23
	v_cmp_gt_i16_sdwa s23, v11, v102 src0_sel:BYTE_1 src1_sel:DWORD
	s_mov_b32 s17, 0
	s_and_saveexec_b32 s73, s23
	s_xor_b32 s23, exec_lo, s73
	s_cbranch_execz .LBB2_4893
; %bb.4689:                             ;   in Loop: Header=BB2_4213 Depth=3
	v_cmp_eq_u16_sdwa s74, v11, v103 src0_sel:BYTE_1 src1_sel:DWORD
	s_mov_b32 s17, -1
	s_and_saveexec_b32 s73, s74
; %bb.4690:                             ;   in Loop: Header=BB2_4213 Depth=3
	s_xor_b32 s17, exec_lo, -1
; %bb.4691:                             ;   in Loop: Header=BB2_4213 Depth=3
	s_or_b32 exec_lo, exec_lo, s73
	s_and_b32 s17, s17, exec_lo
	s_or_saveexec_b32 s23, s23
	v_mov_b32_e32 v10, 0x7f800001
	s_xor_b32 exec_lo, exec_lo, s23
	s_cbranch_execnz .LBB2_4894
.LBB2_4692:                             ;   in Loop: Header=BB2_4213 Depth=3
	s_or_b32 exec_lo, exec_lo, s23
	s_and_saveexec_b32 s23, s17
.LBB2_4693:                             ;   in Loop: Header=BB2_4213 Depth=3
	v_mov_b32_e32 v10, v8
.LBB2_4694:                             ;   in Loop: Header=BB2_4213 Depth=3
	s_or_b32 exec_lo, exec_lo, s23
	v_max_f32_e32 v10, v10, v10
	v_max_f32_e32 v9, v9, v9
	s_mov_b32 s17, 0
	v_max_f32_e32 v9, v9, v10
.LBB2_4695:                             ;   in Loop: Header=BB2_4213 Depth=3
	s_and_b32 vcc_lo, exec_lo, s17
	s_cbranch_vccz .LBB2_4709
; %bb.4696:                             ;   in Loop: Header=BB2_4213 Depth=3
	v_cmp_gt_i16_sdwa s23, v15, v102 src0_sel:BYTE_1 src1_sel:DWORD
	s_mov_b32 s17, 0
	s_and_saveexec_b32 s73, s23
	s_xor_b32 s23, exec_lo, s73
	s_cbranch_execz .LBB2_4895
; %bb.4697:                             ;   in Loop: Header=BB2_4213 Depth=3
	v_cmp_eq_u16_sdwa s74, v15, v103 src0_sel:BYTE_1 src1_sel:DWORD
	s_mov_b32 s17, -1
	s_and_saveexec_b32 s73, s74
; %bb.4698:                             ;   in Loop: Header=BB2_4213 Depth=3
	s_xor_b32 s17, exec_lo, -1
; %bb.4699:                             ;   in Loop: Header=BB2_4213 Depth=3
	s_or_b32 exec_lo, exec_lo, s73
	s_and_b32 s17, s17, exec_lo
	s_or_saveexec_b32 s23, s23
	v_mov_b32_e32 v9, 0x7f800001
	s_xor_b32 exec_lo, exec_lo, s23
	s_cbranch_execnz .LBB2_4896
.LBB2_4700:                             ;   in Loop: Header=BB2_4213 Depth=3
	s_or_b32 exec_lo, exec_lo, s23
	s_and_saveexec_b32 s23, s17
	s_cbranch_execz .LBB2_4702
.LBB2_4701:                             ;   in Loop: Header=BB2_4213 Depth=3
	v_and_b32_sdwa v9, v112, v15 dst_sel:DWORD dst_unused:UNUSED_PAD src0_sel:DWORD src1_sel:BYTE_1
	v_and_b32_e32 v10, 7, v9
	v_bfe_u32 v90, v9, 3, 4
	v_ffbh_u32_e32 v88, v10
	v_cmp_eq_u32_e32 vcc_lo, 0, v90
	v_min_u32_e32 v88, 32, v88
	v_subrev_nc_u32_e32 v89, 28, v88
	v_sub_nc_u32_e32 v88, 29, v88
	v_lshlrev_b32_e32 v9, v89, v9
	v_lshlrev_b32_e32 v89, 16, v15
	v_cndmask_b32_e32 v88, v90, v88, vcc_lo
	v_and_b32_e32 v9, 7, v9
	v_lshl_add_u32 v88, v88, 23, 0x3b800000
	v_cndmask_b32_e32 v9, v10, v9, vcc_lo
	v_and_b32_e32 v10, 0x80000000, v89
	v_lshlrev_b32_e32 v9, 20, v9
	v_or3_b32 v9, v10, v88, v9
.LBB2_4702:                             ;   in Loop: Header=BB2_4213 Depth=3
	s_or_b32 exec_lo, exec_lo, s23
	v_cmp_gt_i16_sdwa s23, v11, v102 src0_sel:BYTE_1 src1_sel:DWORD
	s_mov_b32 s17, 0
	s_and_saveexec_b32 s73, s23
	s_xor_b32 s23, exec_lo, s73
	s_cbranch_execz .LBB2_4897
; %bb.4703:                             ;   in Loop: Header=BB2_4213 Depth=3
	v_cmp_eq_u16_sdwa s74, v11, v103 src0_sel:BYTE_1 src1_sel:DWORD
	s_mov_b32 s17, -1
	s_and_saveexec_b32 s73, s74
; %bb.4704:                             ;   in Loop: Header=BB2_4213 Depth=3
	s_xor_b32 s17, exec_lo, -1
; %bb.4705:                             ;   in Loop: Header=BB2_4213 Depth=3
	s_or_b32 exec_lo, exec_lo, s73
	s_and_b32 s17, s17, exec_lo
	s_or_saveexec_b32 s23, s23
	v_mov_b32_e32 v10, 0x7f800001
	s_xor_b32 exec_lo, exec_lo, s23
	s_cbranch_execnz .LBB2_4898
.LBB2_4706:                             ;   in Loop: Header=BB2_4213 Depth=3
	s_or_b32 exec_lo, exec_lo, s23
	s_and_saveexec_b32 s23, s17
.LBB2_4707:                             ;   in Loop: Header=BB2_4213 Depth=3
	v_mov_b32_e32 v10, v8
.LBB2_4708:                             ;   in Loop: Header=BB2_4213 Depth=3
	s_or_b32 exec_lo, exec_lo, s23
	v_max_f32_e32 v8, v10, v10
	v_max_f32_e32 v9, v9, v9
	v_min_f32_e32 v9, v9, v8
.LBB2_4709:                             ;   in Loop: Header=BB2_4213 Depth=3
	v_and_b32_e32 v8, 0x7f800000, v9
	v_mov_b32_e32 v88, 0x8000
	s_mov_b32 s23, exec_lo
	v_cmpx_ne_u32_e32 0x7f800000, v8
	s_cbranch_execz .LBB2_4717
; %bb.4710:                             ;   in Loop: Header=BB2_4213 Depth=3
	v_mov_b32_e32 v88, 0
	s_mov_b32 s73, exec_lo
	v_cmpx_ne_u32_e32 0, v9
	s_cbranch_execz .LBB2_4716
; %bb.4711:                             ;   in Loop: Header=BB2_4213 Depth=3
	v_bfe_u32 v8, v9, 23, 8
	v_and_b32_e32 v10, 0x7fffff, v9
	v_sub_nc_u32_e32 v88, 0x78, v8
	v_cmp_gt_u32_e32 vcc_lo, 0x79, v8
	v_or_b32_e32 v89, 0x800000, v10
	v_cndmask_b32_e32 v88, 0, v88, vcc_lo
	v_cmp_eq_u32_e32 vcc_lo, 0, v8
	v_add_nc_u32_e32 v8, 0xffffff89, v8
	v_cndmask_b32_e64 v88, v88, 0x77, vcc_lo
	v_cndmask_b32_e32 v10, v89, v10, vcc_lo
	v_cndmask_b32_e64 v8, v8, 0xffffff8a, vcc_lo
	v_lshl_add_u32 v89, 0x100000, v88, -1
	v_lshrrev_b32_e32 v90, v88, v10
	v_lshlrev_b32_e64 v92, v88, 0x80000
	v_add_nc_u32_e32 v88, v88, v8
	v_and_b32_e32 v10, v89, v10
	v_bfe_u32 v91, v90, 20, 1
	v_cmp_eq_u32_e64 s17, v10, v92
	v_add_nc_u32_e32 v89, -1, v91
	v_cndmask_b32_e64 v10, 0, v89, s17
	v_lshrrev_b32_e32 v89, 23, v90
	s_mov_b32 s17, exec_lo
	v_add_nc_u32_e32 v10, v10, v90
	v_xor_b32_e32 v89, 1, v89
	v_and_b32_e32 v8, 0xfffff, v10
	v_add_nc_u32_e32 v10, v8, v90
                                        ; implicit-def: $vgpr8
	v_cmpx_ne_u32_e64 v88, v89
	s_xor_b32 s17, exec_lo, s17
; %bb.4712:                             ;   in Loop: Header=BB2_4213 Depth=3
	v_cmp_lt_u32_e32 vcc_lo, 0xffffff, v10
	v_sub_nc_u32_e32 v8, v88, v89
	v_cndmask_b32_e64 v88, 0, 1, vcc_lo
	v_add_co_ci_u32_e64 v8, null, 0, v8, vcc_lo
	v_lshrrev_b32_e32 v10, v88, v10
; %bb.4713:                             ;   in Loop: Header=BB2_4213 Depth=3
	s_andn2_saveexec_b32 s17, s17
; %bb.4714:                             ;   in Loop: Header=BB2_4213 Depth=3
	v_bfe_u32 v8, v10, 23, 1
; %bb.4715:                             ;   in Loop: Header=BB2_4213 Depth=3
	s_or_b32 exec_lo, exec_lo, s17
	v_lshrrev_b32_e32 v10, 20, v10
	v_min_i32_e32 v88, 15, v8
	v_cmp_gt_i32_e32 vcc_lo, 16, v8
	v_and_b32_sdwa v9, v9, v103 dst_sel:DWORD dst_unused:UNUSED_PAD src0_sel:BYTE_3 src1_sel:DWORD
	v_lshlrev_b32_e32 v88, 3, v88
	v_cndmask_b32_e32 v10, 7, v10, vcc_lo
	v_and_b32_e32 v88, 0xf8, v88
	v_and_b32_e32 v89, 7, v10
	v_or_b32_e32 v8, v8, v10
	v_or3_b32 v9, v9, v88, v89
	v_cmp_ne_u32_e32 vcc_lo, 0, v8
	v_lshlrev_b32_e32 v9, 8, v9
	v_cndmask_b32_e32 v88, 0, v9, vcc_lo
.LBB2_4716:                             ;   in Loop: Header=BB2_4213 Depth=3
	s_or_b32 exec_lo, exec_lo, s73
.LBB2_4717:                             ;   in Loop: Header=BB2_4213 Depth=3
	s_or_b32 exec_lo, exec_lo, s23
	v_bfe_u32 v8, v11, 16, 3
	v_bfe_u32 v89, v11, 19, 4
	v_lshlrev_b32_e32 v90, 8, v11
	s_mov_b32 s17, -1
	v_ffbh_u32_e32 v9, v8
	v_cmp_eq_u32_e32 vcc_lo, 0, v89
	v_min_u32_e32 v9, 32, v9
	v_subrev_nc_u32_e32 v10, 28, v9
	v_sub_nc_u32_e32 v9, 29, v9
	v_lshlrev_b32_sdwa v10, v10, v11 dst_sel:DWORD dst_unused:UNUSED_PAD src0_sel:DWORD src1_sel:WORD_1
	v_cndmask_b32_e32 v9, v89, v9, vcc_lo
	v_and_b32_e32 v10, 7, v10
	v_lshl_add_u32 v9, v9, 23, 0x3b800000
	v_cndmask_b32_e32 v8, v8, v10, vcc_lo
	v_and_b32_e32 v10, 0x80000000, v90
	s_and_b32 vcc_lo, exec_lo, s22
	v_lshlrev_b32_e32 v8, 20, v8
	v_or3_b32 v8, v10, v9, v8
                                        ; implicit-def: $vgpr9
	s_cbranch_vccz .LBB2_4731
; %bb.4718:                             ;   in Loop: Header=BB2_4213 Depth=3
	v_and_b32_sdwa v10, v15, v114 dst_sel:DWORD dst_unused:UNUSED_PAD src0_sel:WORD_1 src1_sel:DWORD
	s_mov_b32 s17, 0
	s_mov_b32 s23, exec_lo
	v_cmpx_lt_i16_e32 0x7f, v10
	s_xor_b32 s23, exec_lo, s23
	s_cbranch_execz .LBB2_4899
; %bb.4719:                             ;   in Loop: Header=BB2_4213 Depth=3
	s_mov_b32 s17, -1
	s_mov_b32 s73, exec_lo
	v_cmpx_eq_u16_e32 0x80, v10
; %bb.4720:                             ;   in Loop: Header=BB2_4213 Depth=3
	s_xor_b32 s17, exec_lo, -1
; %bb.4721:                             ;   in Loop: Header=BB2_4213 Depth=3
	s_or_b32 exec_lo, exec_lo, s73
	s_and_b32 s17, s17, exec_lo
                                        ; implicit-def: $vgpr10
	s_or_saveexec_b32 s23, s23
	v_mov_b32_e32 v9, 0x7f800001
	s_xor_b32 exec_lo, exec_lo, s23
	s_cbranch_execnz .LBB2_4900
.LBB2_4722:                             ;   in Loop: Header=BB2_4213 Depth=3
	s_or_b32 exec_lo, exec_lo, s23
	s_and_saveexec_b32 s23, s17
	s_cbranch_execz .LBB2_4724
.LBB2_4723:                             ;   in Loop: Header=BB2_4213 Depth=3
	v_bfe_u32 v9, v15, 16, 3
	v_bfe_u32 v90, v15, 19, 4
	v_lshlrev_b32_sdwa v91, v113, v15 dst_sel:DWORD dst_unused:UNUSED_PAD src0_sel:DWORD src1_sel:WORD_1
	v_ffbh_u32_e32 v10, v9
	v_cmp_eq_u32_e32 vcc_lo, 0, v90
	v_min_u32_e32 v10, 32, v10
	v_subrev_nc_u32_e32 v89, 28, v10
	v_sub_nc_u32_e32 v10, 29, v10
	v_lshlrev_b32_sdwa v89, v89, v15 dst_sel:DWORD dst_unused:UNUSED_PAD src0_sel:DWORD src1_sel:WORD_1
	v_cndmask_b32_e32 v10, v90, v10, vcc_lo
	v_and_b32_e32 v89, 7, v89
	v_lshl_add_u32 v10, v10, 23, 0x3b800000
	v_cndmask_b32_e32 v9, v9, v89, vcc_lo
	v_and_b32_e32 v89, 0x80000000, v91
	v_lshlrev_b32_e32 v9, 20, v9
	v_or3_b32 v9, v89, v10, v9
.LBB2_4724:                             ;   in Loop: Header=BB2_4213 Depth=3
	s_or_b32 exec_lo, exec_lo, s23
	v_and_b32_sdwa v89, v11, v114 dst_sel:DWORD dst_unused:UNUSED_PAD src0_sel:WORD_1 src1_sel:DWORD
	s_mov_b32 s17, 0
	s_mov_b32 s23, exec_lo
	v_cmpx_lt_i16_e32 0x7f, v89
	s_xor_b32 s23, exec_lo, s23
	s_cbranch_execz .LBB2_4901
; %bb.4725:                             ;   in Loop: Header=BB2_4213 Depth=3
	s_mov_b32 s17, -1
	s_mov_b32 s73, exec_lo
	v_cmpx_eq_u16_e32 0x80, v89
; %bb.4726:                             ;   in Loop: Header=BB2_4213 Depth=3
	s_xor_b32 s17, exec_lo, -1
; %bb.4727:                             ;   in Loop: Header=BB2_4213 Depth=3
	s_or_b32 exec_lo, exec_lo, s73
	s_and_b32 s17, s17, exec_lo
                                        ; implicit-def: $vgpr89
	s_or_saveexec_b32 s23, s23
	v_mov_b32_e32 v10, 0x7f800001
	s_xor_b32 exec_lo, exec_lo, s23
	s_cbranch_execnz .LBB2_4902
.LBB2_4728:                             ;   in Loop: Header=BB2_4213 Depth=3
	s_or_b32 exec_lo, exec_lo, s23
	s_and_saveexec_b32 s23, s17
.LBB2_4729:                             ;   in Loop: Header=BB2_4213 Depth=3
	v_mov_b32_e32 v10, v8
.LBB2_4730:                             ;   in Loop: Header=BB2_4213 Depth=3
	s_or_b32 exec_lo, exec_lo, s23
	v_max_f32_e32 v10, v10, v10
	v_max_f32_e32 v9, v9, v9
	s_mov_b32 s17, 0
	v_max_f32_e32 v9, v9, v10
.LBB2_4731:                             ;   in Loop: Header=BB2_4213 Depth=3
	s_and_b32 vcc_lo, exec_lo, s17
	s_cbranch_vccz .LBB2_4745
; %bb.4732:                             ;   in Loop: Header=BB2_4213 Depth=3
	v_and_b32_sdwa v10, v15, v114 dst_sel:DWORD dst_unused:UNUSED_PAD src0_sel:WORD_1 src1_sel:DWORD
	s_mov_b32 s17, 0
	s_mov_b32 s23, exec_lo
	v_cmpx_lt_i16_e32 0x7f, v10
	s_xor_b32 s23, exec_lo, s23
	s_cbranch_execz .LBB2_4903
; %bb.4733:                             ;   in Loop: Header=BB2_4213 Depth=3
	s_mov_b32 s17, -1
	s_mov_b32 s73, exec_lo
	v_cmpx_eq_u16_e32 0x80, v10
; %bb.4734:                             ;   in Loop: Header=BB2_4213 Depth=3
	s_xor_b32 s17, exec_lo, -1
; %bb.4735:                             ;   in Loop: Header=BB2_4213 Depth=3
	s_or_b32 exec_lo, exec_lo, s73
	s_and_b32 s17, s17, exec_lo
                                        ; implicit-def: $vgpr10
	s_or_saveexec_b32 s23, s23
	v_mov_b32_e32 v9, 0x7f800001
	s_xor_b32 exec_lo, exec_lo, s23
	s_cbranch_execnz .LBB2_4904
.LBB2_4736:                             ;   in Loop: Header=BB2_4213 Depth=3
	s_or_b32 exec_lo, exec_lo, s23
	s_and_saveexec_b32 s23, s17
	s_cbranch_execz .LBB2_4738
.LBB2_4737:                             ;   in Loop: Header=BB2_4213 Depth=3
	v_bfe_u32 v9, v15, 16, 3
	v_bfe_u32 v90, v15, 19, 4
	v_lshlrev_b32_sdwa v91, v113, v15 dst_sel:DWORD dst_unused:UNUSED_PAD src0_sel:DWORD src1_sel:WORD_1
	v_ffbh_u32_e32 v10, v9
	v_cmp_eq_u32_e32 vcc_lo, 0, v90
	v_min_u32_e32 v10, 32, v10
	v_subrev_nc_u32_e32 v89, 28, v10
	v_sub_nc_u32_e32 v10, 29, v10
	v_lshlrev_b32_sdwa v89, v89, v15 dst_sel:DWORD dst_unused:UNUSED_PAD src0_sel:DWORD src1_sel:WORD_1
	v_cndmask_b32_e32 v10, v90, v10, vcc_lo
	v_and_b32_e32 v89, 7, v89
	v_lshl_add_u32 v10, v10, 23, 0x3b800000
	v_cndmask_b32_e32 v9, v9, v89, vcc_lo
	v_and_b32_e32 v89, 0x80000000, v91
	v_lshlrev_b32_e32 v9, 20, v9
	v_or3_b32 v9, v89, v10, v9
.LBB2_4738:                             ;   in Loop: Header=BB2_4213 Depth=3
	s_or_b32 exec_lo, exec_lo, s23
	v_and_b32_sdwa v89, v11, v114 dst_sel:DWORD dst_unused:UNUSED_PAD src0_sel:WORD_1 src1_sel:DWORD
	s_mov_b32 s17, 0
	s_mov_b32 s23, exec_lo
	v_cmpx_lt_i16_e32 0x7f, v89
	s_xor_b32 s23, exec_lo, s23
	s_cbranch_execz .LBB2_4905
; %bb.4739:                             ;   in Loop: Header=BB2_4213 Depth=3
	s_mov_b32 s17, -1
	s_mov_b32 s73, exec_lo
	v_cmpx_eq_u16_e32 0x80, v89
; %bb.4740:                             ;   in Loop: Header=BB2_4213 Depth=3
	s_xor_b32 s17, exec_lo, -1
; %bb.4741:                             ;   in Loop: Header=BB2_4213 Depth=3
	s_or_b32 exec_lo, exec_lo, s73
	s_and_b32 s17, s17, exec_lo
                                        ; implicit-def: $vgpr89
	s_or_saveexec_b32 s23, s23
	v_mov_b32_e32 v10, 0x7f800001
	s_xor_b32 exec_lo, exec_lo, s23
	s_cbranch_execnz .LBB2_4906
.LBB2_4742:                             ;   in Loop: Header=BB2_4213 Depth=3
	s_or_b32 exec_lo, exec_lo, s23
	s_and_saveexec_b32 s23, s17
.LBB2_4743:                             ;   in Loop: Header=BB2_4213 Depth=3
	v_mov_b32_e32 v10, v8
.LBB2_4744:                             ;   in Loop: Header=BB2_4213 Depth=3
	s_or_b32 exec_lo, exec_lo, s23
	v_max_f32_e32 v8, v10, v10
	v_max_f32_e32 v9, v9, v9
	v_min_f32_e32 v9, v9, v8
.LBB2_4745:                             ;   in Loop: Header=BB2_4213 Depth=3
	v_and_b32_e32 v8, 0x7f800000, v9
	v_mov_b32_e32 v89, 0x80
	s_mov_b32 s23, exec_lo
	v_cmpx_ne_u32_e32 0x7f800000, v8
	s_cbranch_execz .LBB2_4753
; %bb.4746:                             ;   in Loop: Header=BB2_4213 Depth=3
	v_mov_b32_e32 v89, 0
	s_mov_b32 s73, exec_lo
	v_cmpx_ne_u32_e32 0, v9
	s_cbranch_execz .LBB2_4752
; %bb.4747:                             ;   in Loop: Header=BB2_4213 Depth=3
	v_bfe_u32 v8, v9, 23, 8
	v_and_b32_e32 v10, 0x7fffff, v9
	v_sub_nc_u32_e32 v89, 0x78, v8
	v_cmp_gt_u32_e32 vcc_lo, 0x79, v8
	v_or_b32_e32 v90, 0x800000, v10
	v_cndmask_b32_e32 v89, 0, v89, vcc_lo
	v_cmp_eq_u32_e32 vcc_lo, 0, v8
	v_add_nc_u32_e32 v8, 0xffffff89, v8
	v_cndmask_b32_e64 v89, v89, 0x77, vcc_lo
	v_cndmask_b32_e32 v10, v90, v10, vcc_lo
	v_cndmask_b32_e64 v8, v8, 0xffffff8a, vcc_lo
	v_lshl_add_u32 v90, 0x100000, v89, -1
	v_lshrrev_b32_e32 v91, v89, v10
	v_lshlrev_b32_e64 v93, v89, 0x80000
	v_add_nc_u32_e32 v89, v89, v8
	v_and_b32_e32 v10, v90, v10
	v_bfe_u32 v92, v91, 20, 1
	v_cmp_eq_u32_e64 s17, v10, v93
	v_add_nc_u32_e32 v90, -1, v92
	v_cndmask_b32_e64 v10, 0, v90, s17
	v_lshrrev_b32_e32 v90, 23, v91
	s_mov_b32 s17, exec_lo
	v_add_nc_u32_e32 v10, v10, v91
	v_xor_b32_e32 v90, 1, v90
	v_and_b32_e32 v8, 0xfffff, v10
	v_add_nc_u32_e32 v10, v8, v91
                                        ; implicit-def: $vgpr8
	v_cmpx_ne_u32_e64 v89, v90
	s_xor_b32 s17, exec_lo, s17
; %bb.4748:                             ;   in Loop: Header=BB2_4213 Depth=3
	v_cmp_lt_u32_e32 vcc_lo, 0xffffff, v10
	v_sub_nc_u32_e32 v8, v89, v90
	v_cndmask_b32_e64 v89, 0, 1, vcc_lo
	v_add_co_ci_u32_e64 v8, null, 0, v8, vcc_lo
	v_lshrrev_b32_e32 v10, v89, v10
; %bb.4749:                             ;   in Loop: Header=BB2_4213 Depth=3
	s_andn2_saveexec_b32 s17, s17
; %bb.4750:                             ;   in Loop: Header=BB2_4213 Depth=3
	v_bfe_u32 v8, v10, 23, 1
; %bb.4751:                             ;   in Loop: Header=BB2_4213 Depth=3
	s_or_b32 exec_lo, exec_lo, s17
	v_lshrrev_b32_e32 v10, 20, v10
	v_min_i32_e32 v89, 15, v8
	v_cmp_gt_i32_e32 vcc_lo, 16, v8
	v_and_b32_sdwa v9, v9, v103 dst_sel:DWORD dst_unused:UNUSED_PAD src0_sel:BYTE_3 src1_sel:DWORD
	v_lshlrev_b32_e32 v89, 3, v89
	v_cndmask_b32_e32 v10, 7, v10, vcc_lo
	v_and_b32_e32 v89, 0xf8, v89
	v_and_b32_e32 v90, 7, v10
	v_or_b32_e32 v8, v8, v10
	v_or3_b32 v9, v89, v9, v90
	v_cmp_ne_u32_e32 vcc_lo, 0, v8
	v_cndmask_b32_e32 v89, 0, v9, vcc_lo
.LBB2_4752:                             ;   in Loop: Header=BB2_4213 Depth=3
	s_or_b32 exec_lo, exec_lo, s73
.LBB2_4753:                             ;   in Loop: Header=BB2_4213 Depth=3
	s_or_b32 exec_lo, exec_lo, s23
	v_bfe_u32 v8, v11, 24, 3
	v_bfe_u32 v90, v11, 27, 4
	s_mov_b32 s17, -1
	v_ffbh_u32_e32 v9, v8
	v_cmp_eq_u32_e32 vcc_lo, 0, v90
	v_min_u32_e32 v9, 32, v9
	v_subrev_nc_u32_e32 v10, 28, v9
	v_sub_nc_u32_e32 v9, 29, v9
	v_lshlrev_b32_sdwa v10, v10, v11 dst_sel:DWORD dst_unused:UNUSED_PAD src0_sel:DWORD src1_sel:BYTE_3
	v_cndmask_b32_e32 v9, v90, v9, vcc_lo
	v_and_b32_e32 v10, 7, v10
	v_lshl_add_u32 v9, v9, 23, 0x3b800000
	v_cndmask_b32_e32 v8, v8, v10, vcc_lo
	v_and_b32_e32 v10, 0x80000000, v11
	s_and_b32 vcc_lo, exec_lo, s22
	v_lshlrev_b32_e32 v8, 20, v8
	v_or3_b32 v90, v10, v9, v8
                                        ; implicit-def: $vgpr8
	s_cbranch_vccz .LBB2_4767
; %bb.4754:                             ;   in Loop: Header=BB2_4213 Depth=3
	v_cmp_gt_i16_sdwa s23, v15, v102 src0_sel:BYTE_3 src1_sel:DWORD
	s_mov_b32 s17, 0
	s_and_saveexec_b32 s73, s23
	s_xor_b32 s23, exec_lo, s73
	s_cbranch_execz .LBB2_4907
; %bb.4755:                             ;   in Loop: Header=BB2_4213 Depth=3
	v_cmp_eq_u16_sdwa s74, v15, v103 src0_sel:BYTE_3 src1_sel:DWORD
	s_mov_b32 s17, -1
	s_and_saveexec_b32 s73, s74
; %bb.4756:                             ;   in Loop: Header=BB2_4213 Depth=3
	s_xor_b32 s17, exec_lo, -1
; %bb.4757:                             ;   in Loop: Header=BB2_4213 Depth=3
	s_or_b32 exec_lo, exec_lo, s73
	s_and_b32 s17, s17, exec_lo
	s_or_saveexec_b32 s23, s23
	v_mov_b32_e32 v8, 0x7f800001
	s_xor_b32 exec_lo, exec_lo, s23
	s_cbranch_execnz .LBB2_4908
.LBB2_4758:                             ;   in Loop: Header=BB2_4213 Depth=3
	s_or_b32 exec_lo, exec_lo, s23
	s_and_saveexec_b32 s23, s17
	s_cbranch_execz .LBB2_4760
.LBB2_4759:                             ;   in Loop: Header=BB2_4213 Depth=3
	v_bfe_u32 v8, v15, 24, 3
	v_bfe_u32 v91, v15, 27, 4
	v_ffbh_u32_e32 v9, v8
	v_cmp_eq_u32_e32 vcc_lo, 0, v91
	v_min_u32_e32 v9, 32, v9
	v_subrev_nc_u32_e32 v10, 28, v9
	v_sub_nc_u32_e32 v9, 29, v9
	v_lshlrev_b32_sdwa v10, v10, v15 dst_sel:DWORD dst_unused:UNUSED_PAD src0_sel:DWORD src1_sel:BYTE_3
	v_cndmask_b32_e32 v9, v91, v9, vcc_lo
	v_and_b32_e32 v10, 7, v10
	v_lshl_add_u32 v9, v9, 23, 0x3b800000
	v_cndmask_b32_e32 v8, v8, v10, vcc_lo
	v_and_b32_e32 v10, 0x80000000, v15
	v_lshlrev_b32_e32 v8, 20, v8
	v_or3_b32 v8, v10, v9, v8
.LBB2_4760:                             ;   in Loop: Header=BB2_4213 Depth=3
	s_or_b32 exec_lo, exec_lo, s23
	v_cmp_gt_i16_sdwa s23, v11, v102 src0_sel:BYTE_3 src1_sel:DWORD
	s_mov_b32 s17, 0
	s_and_saveexec_b32 s73, s23
	s_xor_b32 s23, exec_lo, s73
	s_cbranch_execz .LBB2_4909
; %bb.4761:                             ;   in Loop: Header=BB2_4213 Depth=3
	v_cmp_eq_u16_sdwa s74, v11, v103 src0_sel:BYTE_3 src1_sel:DWORD
	s_mov_b32 s17, -1
	s_and_saveexec_b32 s73, s74
; %bb.4762:                             ;   in Loop: Header=BB2_4213 Depth=3
	s_xor_b32 s17, exec_lo, -1
; %bb.4763:                             ;   in Loop: Header=BB2_4213 Depth=3
	s_or_b32 exec_lo, exec_lo, s73
	s_and_b32 s17, s17, exec_lo
	s_or_saveexec_b32 s23, s23
	v_mov_b32_e32 v9, 0x7f800001
	s_xor_b32 exec_lo, exec_lo, s23
	s_cbranch_execnz .LBB2_4910
.LBB2_4764:                             ;   in Loop: Header=BB2_4213 Depth=3
	s_or_b32 exec_lo, exec_lo, s23
	s_and_saveexec_b32 s23, s17
.LBB2_4765:                             ;   in Loop: Header=BB2_4213 Depth=3
	v_mov_b32_e32 v9, v90
.LBB2_4766:                             ;   in Loop: Header=BB2_4213 Depth=3
	s_or_b32 exec_lo, exec_lo, s23
	v_max_f32_e32 v9, v9, v9
	v_max_f32_e32 v8, v8, v8
	s_mov_b32 s17, 0
	v_max_f32_e32 v8, v8, v9
.LBB2_4767:                             ;   in Loop: Header=BB2_4213 Depth=3
	s_and_b32 vcc_lo, exec_lo, s17
	s_cbranch_vccz .LBB2_4781
; %bb.4768:                             ;   in Loop: Header=BB2_4213 Depth=3
	v_cmp_gt_i16_sdwa s23, v15, v102 src0_sel:BYTE_3 src1_sel:DWORD
	s_mov_b32 s17, 0
	s_and_saveexec_b32 s73, s23
	s_xor_b32 s23, exec_lo, s73
	s_cbranch_execz .LBB2_4911
; %bb.4769:                             ;   in Loop: Header=BB2_4213 Depth=3
	v_cmp_eq_u16_sdwa s74, v15, v103 src0_sel:BYTE_3 src1_sel:DWORD
	s_mov_b32 s17, -1
	s_and_saveexec_b32 s73, s74
; %bb.4770:                             ;   in Loop: Header=BB2_4213 Depth=3
	s_xor_b32 s17, exec_lo, -1
; %bb.4771:                             ;   in Loop: Header=BB2_4213 Depth=3
	s_or_b32 exec_lo, exec_lo, s73
	s_and_b32 s17, s17, exec_lo
	s_or_saveexec_b32 s23, s23
	v_mov_b32_e32 v91, 0x7f800001
	s_xor_b32 exec_lo, exec_lo, s23
	s_cbranch_execnz .LBB2_4912
.LBB2_4772:                             ;   in Loop: Header=BB2_4213 Depth=3
	s_or_b32 exec_lo, exec_lo, s23
	s_and_saveexec_b32 s23, s17
	s_cbranch_execz .LBB2_4774
.LBB2_4773:                             ;   in Loop: Header=BB2_4213 Depth=3
	v_bfe_u32 v8, v15, 24, 3
	v_bfe_u32 v91, v15, 27, 4
	v_ffbh_u32_e32 v9, v8
	v_cmp_eq_u32_e32 vcc_lo, 0, v91
	v_min_u32_e32 v9, 32, v9
	v_subrev_nc_u32_e32 v10, 28, v9
	v_sub_nc_u32_e32 v9, 29, v9
	v_lshlrev_b32_sdwa v10, v10, v15 dst_sel:DWORD dst_unused:UNUSED_PAD src0_sel:DWORD src1_sel:BYTE_3
	v_cndmask_b32_e32 v9, v91, v9, vcc_lo
	v_and_b32_e32 v10, 7, v10
	v_lshl_add_u32 v9, v9, 23, 0x3b800000
	v_cndmask_b32_e32 v8, v8, v10, vcc_lo
	v_and_b32_e32 v10, 0x80000000, v15
	v_lshlrev_b32_e32 v8, 20, v8
	v_or3_b32 v91, v10, v9, v8
.LBB2_4774:                             ;   in Loop: Header=BB2_4213 Depth=3
	s_or_b32 exec_lo, exec_lo, s23
	v_cmp_gt_i16_sdwa s23, v11, v102 src0_sel:BYTE_3 src1_sel:DWORD
	s_mov_b32 s17, 0
	s_and_saveexec_b32 s73, s23
	s_xor_b32 s23, exec_lo, s73
	s_cbranch_execz .LBB2_4913
; %bb.4775:                             ;   in Loop: Header=BB2_4213 Depth=3
	v_cmp_eq_u16_sdwa s74, v11, v103 src0_sel:BYTE_3 src1_sel:DWORD
	s_mov_b32 s17, -1
	s_and_saveexec_b32 s73, s74
; %bb.4776:                             ;   in Loop: Header=BB2_4213 Depth=3
	s_xor_b32 s17, exec_lo, -1
; %bb.4777:                             ;   in Loop: Header=BB2_4213 Depth=3
	s_or_b32 exec_lo, exec_lo, s73
	s_and_b32 s17, s17, exec_lo
                                        ; implicit-def: $vgpr8_vgpr9_vgpr10_vgpr11
	s_or_saveexec_b32 s23, s23
	v_mov_b32_e32 v8, 0x7f800001
	s_xor_b32 exec_lo, exec_lo, s23
	s_cbranch_execnz .LBB2_4914
.LBB2_4778:                             ;   in Loop: Header=BB2_4213 Depth=3
	s_or_b32 exec_lo, exec_lo, s23
	s_and_saveexec_b32 s23, s17
.LBB2_4779:                             ;   in Loop: Header=BB2_4213 Depth=3
	v_mov_b32_e32 v8, v90
.LBB2_4780:                             ;   in Loop: Header=BB2_4213 Depth=3
	s_or_b32 exec_lo, exec_lo, s23
	v_max_f32_e32 v8, v8, v8
	v_max_f32_e32 v9, v91, v91
	v_min_f32_e32 v8, v9, v8
.LBB2_4781:                             ;   in Loop: Header=BB2_4213 Depth=3
	v_and_b32_e32 v9, 0x7f800000, v8
	v_cmp_ne_u32_e32 vcc_lo, 0x7f800000, v9
	v_mov_b32_e32 v9, 0x8000
	s_and_saveexec_b32 s23, vcc_lo
	s_cbranch_execz .LBB2_4212
; %bb.4782:                             ;   in Loop: Header=BB2_4213 Depth=3
	v_mov_b32_e32 v9, 0
	s_mov_b32 s73, exec_lo
	v_cmpx_ne_u32_e32 0, v8
	s_cbranch_execz .LBB2_4211
; %bb.4783:                             ;   in Loop: Header=BB2_4213 Depth=3
	v_bfe_u32 v9, v8, 23, 8
	v_and_b32_e32 v10, 0x7fffff, v8
	v_sub_nc_u32_e32 v11, 0x78, v9
	v_cmp_gt_u32_e32 vcc_lo, 0x79, v9
	v_or_b32_e32 v15, 0x800000, v10
	v_cndmask_b32_e32 v11, 0, v11, vcc_lo
	v_cmp_eq_u32_e32 vcc_lo, 0, v9
	v_add_nc_u32_e32 v9, 0xffffff89, v9
	v_cndmask_b32_e64 v11, v11, 0x77, vcc_lo
	v_cndmask_b32_e32 v10, v15, v10, vcc_lo
	v_cndmask_b32_e64 v9, v9, 0xffffff8a, vcc_lo
	v_lshl_add_u32 v15, 0x100000, v11, -1
	v_lshrrev_b32_e32 v90, v11, v10
	v_lshlrev_b32_e64 v92, v11, 0x80000
	v_add_nc_u32_e32 v11, v11, v9
	v_and_b32_e32 v10, v15, v10
	v_bfe_u32 v91, v90, 20, 1
	v_cmp_eq_u32_e64 s17, v10, v92
	v_add_nc_u32_e32 v15, -1, v91
	v_cndmask_b32_e64 v10, 0, v15, s17
	v_lshrrev_b32_e32 v15, 23, v90
	s_mov_b32 s17, exec_lo
	v_add_nc_u32_e32 v10, v10, v90
	v_xor_b32_e32 v15, 1, v15
	v_and_b32_e32 v9, 0xfffff, v10
	v_add_nc_u32_e32 v10, v9, v90
                                        ; implicit-def: $vgpr9
	v_cmpx_ne_u32_e64 v11, v15
	s_xor_b32 s17, exec_lo, s17
; %bb.4784:                             ;   in Loop: Header=BB2_4213 Depth=3
	v_cmp_lt_u32_e32 vcc_lo, 0xffffff, v10
	v_sub_nc_u32_e32 v9, v11, v15
	v_cndmask_b32_e64 v11, 0, 1, vcc_lo
	v_add_co_ci_u32_e64 v9, null, 0, v9, vcc_lo
	v_lshrrev_b32_e32 v10, v11, v10
; %bb.4785:                             ;   in Loop: Header=BB2_4213 Depth=3
	s_andn2_saveexec_b32 s17, s17
	s_cbranch_execz .LBB2_4210
; %bb.4786:                             ;   in Loop: Header=BB2_4213 Depth=3
	v_bfe_u32 v9, v10, 23, 1
	s_branch .LBB2_4210
.LBB2_4787:                             ;   in Loop: Header=BB2_4213 Depth=3
	s_or_saveexec_b32 s23, s23
	v_mov_b32_e32 v63, 0x7f800001
	s_xor_b32 exec_lo, exec_lo, s23
	s_cbranch_execz .LBB2_4218
.LBB2_4788:                             ;   in Loop: Header=BB2_4213 Depth=3
	v_cmp_ne_u16_sdwa s73, v12, v2 src0_sel:BYTE_0 src1_sel:DWORD
	v_mov_b32_e32 v63, 0
	s_andn2_b32 s17, s17, exec_lo
	s_and_b32 s73, s73, exec_lo
	s_or_b32 s17, s17, s73
	s_or_b32 exec_lo, exec_lo, s23
	s_and_saveexec_b32 s23, s17
	s_cbranch_execnz .LBB2_4219
	s_branch .LBB2_4220
.LBB2_4789:                             ;   in Loop: Header=BB2_4213 Depth=3
	s_or_saveexec_b32 s23, s23
	v_mov_b32_e32 v72, 0x7f800001
	s_xor_b32 exec_lo, exec_lo, s23
	s_cbranch_execz .LBB2_4224
.LBB2_4790:                             ;   in Loop: Header=BB2_4213 Depth=3
	v_cmp_ne_u16_sdwa s73, v8, v2 src0_sel:BYTE_0 src1_sel:DWORD
	v_mov_b32_e32 v72, 0
	s_andn2_b32 s17, s17, exec_lo
	s_and_b32 s73, s73, exec_lo
	s_or_b32 s17, s17, s73
	s_or_b32 exec_lo, exec_lo, s23
	s_and_saveexec_b32 s23, s17
	s_cbranch_execnz .LBB2_4225
	s_branch .LBB2_4226
.LBB2_4791:                             ;   in Loop: Header=BB2_4213 Depth=3
	s_or_saveexec_b32 s23, s23
	v_mov_b32_e32 v63, 0x7f800001
	s_xor_b32 exec_lo, exec_lo, s23
	s_cbranch_execz .LBB2_4232
.LBB2_4792:                             ;   in Loop: Header=BB2_4213 Depth=3
	v_cmp_ne_u16_sdwa s73, v12, v2 src0_sel:BYTE_0 src1_sel:DWORD
	v_mov_b32_e32 v63, 0
	s_andn2_b32 s17, s17, exec_lo
	s_and_b32 s73, s73, exec_lo
	s_or_b32 s17, s17, s73
	s_or_b32 exec_lo, exec_lo, s23
	s_and_saveexec_b32 s23, s17
	s_cbranch_execnz .LBB2_4233
	s_branch .LBB2_4234
.LBB2_4793:                             ;   in Loop: Header=BB2_4213 Depth=3
	s_or_saveexec_b32 s23, s23
	v_mov_b32_e32 v72, 0x7f800001
	s_xor_b32 exec_lo, exec_lo, s23
	s_cbranch_execz .LBB2_4238
.LBB2_4794:                             ;   in Loop: Header=BB2_4213 Depth=3
	v_cmp_ne_u16_sdwa s73, v8, v2 src0_sel:BYTE_0 src1_sel:DWORD
	v_mov_b32_e32 v72, 0
	s_andn2_b32 s17, s17, exec_lo
	s_and_b32 s73, s73, exec_lo
	s_or_b32 s17, s17, s73
	s_or_b32 exec_lo, exec_lo, s23
	s_and_saveexec_b32 s23, s17
	s_cbranch_execnz .LBB2_4239
	s_branch .LBB2_4240
.LBB2_4795:                             ;   in Loop: Header=BB2_4213 Depth=3
	s_or_saveexec_b32 s23, s23
	v_mov_b32_e32 v72, 0x7f800001
	s_xor_b32 exec_lo, exec_lo, s23
	s_cbranch_execz .LBB2_4254
.LBB2_4796:                             ;   in Loop: Header=BB2_4213 Depth=3
	v_cmp_ne_u16_sdwa s73, v12, v2 src0_sel:BYTE_1 src1_sel:DWORD
	v_mov_b32_e32 v72, 0
	s_andn2_b32 s17, s17, exec_lo
	s_and_b32 s73, s73, exec_lo
	s_or_b32 s17, s17, s73
	s_or_b32 exec_lo, exec_lo, s23
	s_and_saveexec_b32 s23, s17
	s_cbranch_execnz .LBB2_4255
	s_branch .LBB2_4256
.LBB2_4797:                             ;   in Loop: Header=BB2_4213 Depth=3
	s_or_saveexec_b32 s23, s23
	v_mov_b32_e32 v73, 0x7f800001
	s_xor_b32 exec_lo, exec_lo, s23
	s_cbranch_execz .LBB2_4260
.LBB2_4798:                             ;   in Loop: Header=BB2_4213 Depth=3
	v_cmp_ne_u16_sdwa s73, v8, v2 src0_sel:BYTE_1 src1_sel:DWORD
	v_mov_b32_e32 v73, 0
	s_andn2_b32 s17, s17, exec_lo
	s_and_b32 s73, s73, exec_lo
	s_or_b32 s17, s17, s73
	s_or_b32 exec_lo, exec_lo, s23
	s_and_saveexec_b32 s23, s17
	s_cbranch_execnz .LBB2_4261
	s_branch .LBB2_4262
.LBB2_4799:                             ;   in Loop: Header=BB2_4213 Depth=3
	s_or_saveexec_b32 s23, s23
	v_mov_b32_e32 v72, 0x7f800001
	s_xor_b32 exec_lo, exec_lo, s23
	s_cbranch_execz .LBB2_4268
.LBB2_4800:                             ;   in Loop: Header=BB2_4213 Depth=3
	v_cmp_ne_u16_sdwa s73, v12, v2 src0_sel:BYTE_1 src1_sel:DWORD
	v_mov_b32_e32 v72, 0
	s_andn2_b32 s17, s17, exec_lo
	s_and_b32 s73, s73, exec_lo
	s_or_b32 s17, s17, s73
	s_or_b32 exec_lo, exec_lo, s23
	s_and_saveexec_b32 s23, s17
	s_cbranch_execnz .LBB2_4269
	s_branch .LBB2_4270
.LBB2_4801:                             ;   in Loop: Header=BB2_4213 Depth=3
	s_or_saveexec_b32 s23, s23
	v_mov_b32_e32 v73, 0x7f800001
	s_xor_b32 exec_lo, exec_lo, s23
	s_cbranch_execz .LBB2_4274
.LBB2_4802:                             ;   in Loop: Header=BB2_4213 Depth=3
	v_cmp_ne_u16_sdwa s73, v8, v2 src0_sel:BYTE_1 src1_sel:DWORD
	v_mov_b32_e32 v73, 0
	s_andn2_b32 s17, s17, exec_lo
	s_and_b32 s73, s73, exec_lo
	s_or_b32 s17, s17, s73
	s_or_b32 exec_lo, exec_lo, s23
	s_and_saveexec_b32 s23, s17
	s_cbranch_execnz .LBB2_4275
	s_branch .LBB2_4276
.LBB2_4803:                             ;   in Loop: Header=BB2_4213 Depth=3
	s_or_saveexec_b32 s23, s23
	v_mov_b32_e32 v73, 0x7f800001
	s_xor_b32 exec_lo, exec_lo, s23
	s_cbranch_execz .LBB2_4290
.LBB2_4804:                             ;   in Loop: Header=BB2_4213 Depth=3
	v_cmp_ne_u16_e32 vcc_lo, 0, v74
	v_mov_b32_e32 v73, 0
	s_andn2_b32 s17, s17, exec_lo
	s_and_b32 s73, vcc_lo, exec_lo
	s_or_b32 s17, s17, s73
	s_or_b32 exec_lo, exec_lo, s23
	s_and_saveexec_b32 s23, s17
	s_cbranch_execnz .LBB2_4291
	s_branch .LBB2_4292
.LBB2_4805:                             ;   in Loop: Header=BB2_4213 Depth=3
	s_or_saveexec_b32 s23, s23
	v_mov_b32_e32 v74, 0x7f800001
	s_xor_b32 exec_lo, exec_lo, s23
	s_cbranch_execz .LBB2_4296
.LBB2_4806:                             ;   in Loop: Header=BB2_4213 Depth=3
	v_cmp_ne_u16_e32 vcc_lo, 0, v75
	v_mov_b32_e32 v74, 0
	s_andn2_b32 s17, s17, exec_lo
	s_and_b32 s73, vcc_lo, exec_lo
	s_or_b32 s17, s17, s73
	s_or_b32 exec_lo, exec_lo, s23
	s_and_saveexec_b32 s23, s17
	s_cbranch_execnz .LBB2_4297
	s_branch .LBB2_4298
.LBB2_4807:                             ;   in Loop: Header=BB2_4213 Depth=3
	s_or_saveexec_b32 s23, s23
	v_mov_b32_e32 v73, 0x7f800001
	s_xor_b32 exec_lo, exec_lo, s23
	s_cbranch_execz .LBB2_4304
.LBB2_4808:                             ;   in Loop: Header=BB2_4213 Depth=3
	v_cmp_ne_u16_e32 vcc_lo, 0, v74
	v_mov_b32_e32 v73, 0
	s_andn2_b32 s17, s17, exec_lo
	s_and_b32 s73, vcc_lo, exec_lo
	s_or_b32 s17, s17, s73
	s_or_b32 exec_lo, exec_lo, s23
	s_and_saveexec_b32 s23, s17
	s_cbranch_execnz .LBB2_4305
	s_branch .LBB2_4306
.LBB2_4809:                             ;   in Loop: Header=BB2_4213 Depth=3
	s_or_saveexec_b32 s23, s23
	v_mov_b32_e32 v74, 0x7f800001
	s_xor_b32 exec_lo, exec_lo, s23
	s_cbranch_execz .LBB2_4310
.LBB2_4810:                             ;   in Loop: Header=BB2_4213 Depth=3
	v_cmp_ne_u16_e32 vcc_lo, 0, v75
	v_mov_b32_e32 v74, 0
	s_andn2_b32 s17, s17, exec_lo
	s_and_b32 s73, vcc_lo, exec_lo
	s_or_b32 s17, s17, s73
	s_or_b32 exec_lo, exec_lo, s23
	s_and_saveexec_b32 s23, s17
	s_cbranch_execnz .LBB2_4311
	s_branch .LBB2_4312
.LBB2_4811:                             ;   in Loop: Header=BB2_4213 Depth=3
	s_or_saveexec_b32 s23, s23
	v_mov_b32_e32 v74, 0x7f800001
	s_xor_b32 exec_lo, exec_lo, s23
	s_cbranch_execz .LBB2_4326
.LBB2_4812:                             ;   in Loop: Header=BB2_4213 Depth=3
	v_cmp_ne_u16_sdwa s73, v12, v2 src0_sel:BYTE_3 src1_sel:DWORD
	v_mov_b32_e32 v74, 0
	s_andn2_b32 s17, s17, exec_lo
	s_and_b32 s73, s73, exec_lo
	s_or_b32 s17, s17, s73
	s_or_b32 exec_lo, exec_lo, s23
	s_and_saveexec_b32 s23, s17
	s_cbranch_execnz .LBB2_4327
	s_branch .LBB2_4328
.LBB2_4813:                             ;   in Loop: Header=BB2_4213 Depth=3
	s_or_saveexec_b32 s23, s23
	v_mov_b32_e32 v75, 0x7f800001
	s_xor_b32 exec_lo, exec_lo, s23
	s_cbranch_execz .LBB2_4332
.LBB2_4814:                             ;   in Loop: Header=BB2_4213 Depth=3
	v_cmp_ne_u16_sdwa s73, v8, v2 src0_sel:BYTE_3 src1_sel:DWORD
	v_mov_b32_e32 v75, 0
	s_andn2_b32 s17, s17, exec_lo
	s_and_b32 s73, s73, exec_lo
	s_or_b32 s17, s17, s73
	s_or_b32 exec_lo, exec_lo, s23
	s_and_saveexec_b32 s23, s17
	s_cbranch_execnz .LBB2_4333
	s_branch .LBB2_4334
.LBB2_4815:                             ;   in Loop: Header=BB2_4213 Depth=3
	s_or_saveexec_b32 s23, s23
	v_mov_b32_e32 v74, 0x7f800001
	s_xor_b32 exec_lo, exec_lo, s23
	s_cbranch_execz .LBB2_4340
.LBB2_4816:                             ;   in Loop: Header=BB2_4213 Depth=3
	v_cmp_ne_u16_sdwa s73, v12, v2 src0_sel:BYTE_3 src1_sel:DWORD
	v_mov_b32_e32 v74, 0
	s_andn2_b32 s17, s17, exec_lo
	s_and_b32 s73, s73, exec_lo
	s_or_b32 s17, s17, s73
	s_or_b32 exec_lo, exec_lo, s23
	s_and_saveexec_b32 s23, s17
	s_cbranch_execnz .LBB2_4341
	s_branch .LBB2_4342
.LBB2_4817:                             ;   in Loop: Header=BB2_4213 Depth=3
	s_or_saveexec_b32 s23, s23
	v_mov_b32_e32 v12, 0x7f800001
	s_xor_b32 exec_lo, exec_lo, s23
	s_cbranch_execz .LBB2_4346
.LBB2_4818:                             ;   in Loop: Header=BB2_4213 Depth=3
	v_cmp_ne_u16_sdwa s73, v8, v2 src0_sel:BYTE_3 src1_sel:DWORD
	v_mov_b32_e32 v12, 0
	s_andn2_b32 s17, s17, exec_lo
	s_and_b32 s73, s73, exec_lo
	s_or_b32 s17, s17, s73
	s_or_b32 exec_lo, exec_lo, s23
	s_and_saveexec_b32 s23, s17
	s_cbranch_execnz .LBB2_4347
	s_branch .LBB2_4348
.LBB2_4819:                             ;   in Loop: Header=BB2_4213 Depth=3
	s_or_saveexec_b32 s23, s23
	v_mov_b32_e32 v73, 0x7f800001
	s_xor_b32 exec_lo, exec_lo, s23
	s_cbranch_execz .LBB2_4362
.LBB2_4820:                             ;   in Loop: Header=BB2_4213 Depth=3
	v_cmp_ne_u16_sdwa s73, v13, v2 src0_sel:BYTE_0 src1_sel:DWORD
	v_mov_b32_e32 v73, 0
	s_andn2_b32 s17, s17, exec_lo
	s_and_b32 s73, s73, exec_lo
	s_or_b32 s17, s17, s73
	s_or_b32 exec_lo, exec_lo, s23
	s_and_saveexec_b32 s23, s17
	s_cbranch_execnz .LBB2_4363
	s_branch .LBB2_4364
.LBB2_4821:                             ;   in Loop: Header=BB2_4213 Depth=3
	s_or_saveexec_b32 s23, s23
	v_mov_b32_e32 v74, 0x7f800001
	s_xor_b32 exec_lo, exec_lo, s23
	s_cbranch_execz .LBB2_4368
.LBB2_4822:                             ;   in Loop: Header=BB2_4213 Depth=3
	v_cmp_ne_u16_sdwa s73, v9, v2 src0_sel:BYTE_0 src1_sel:DWORD
	v_mov_b32_e32 v74, 0
	s_andn2_b32 s17, s17, exec_lo
	s_and_b32 s73, s73, exec_lo
	s_or_b32 s17, s17, s73
	s_or_b32 exec_lo, exec_lo, s23
	s_and_saveexec_b32 s23, s17
	s_cbranch_execnz .LBB2_4369
	s_branch .LBB2_4370
.LBB2_4823:                             ;   in Loop: Header=BB2_4213 Depth=3
	s_or_saveexec_b32 s23, s23
	v_mov_b32_e32 v73, 0x7f800001
	s_xor_b32 exec_lo, exec_lo, s23
	s_cbranch_execz .LBB2_4376
.LBB2_4824:                             ;   in Loop: Header=BB2_4213 Depth=3
	v_cmp_ne_u16_sdwa s73, v13, v2 src0_sel:BYTE_0 src1_sel:DWORD
	v_mov_b32_e32 v73, 0
	s_andn2_b32 s17, s17, exec_lo
	s_and_b32 s73, s73, exec_lo
	s_or_b32 s17, s17, s73
	s_or_b32 exec_lo, exec_lo, s23
	s_and_saveexec_b32 s23, s17
	s_cbranch_execnz .LBB2_4377
	s_branch .LBB2_4378
.LBB2_4825:                             ;   in Loop: Header=BB2_4213 Depth=3
	s_or_saveexec_b32 s23, s23
	v_mov_b32_e32 v74, 0x7f800001
	s_xor_b32 exec_lo, exec_lo, s23
	s_cbranch_execz .LBB2_4382
.LBB2_4826:                             ;   in Loop: Header=BB2_4213 Depth=3
	v_cmp_ne_u16_sdwa s73, v9, v2 src0_sel:BYTE_0 src1_sel:DWORD
	v_mov_b32_e32 v74, 0
	s_andn2_b32 s17, s17, exec_lo
	s_and_b32 s73, s73, exec_lo
	s_or_b32 s17, s17, s73
	s_or_b32 exec_lo, exec_lo, s23
	s_and_saveexec_b32 s23, s17
	s_cbranch_execnz .LBB2_4383
	s_branch .LBB2_4384
.LBB2_4827:                             ;   in Loop: Header=BB2_4213 Depth=3
	s_or_saveexec_b32 s23, s23
	v_mov_b32_e32 v74, 0x7f800001
	s_xor_b32 exec_lo, exec_lo, s23
	s_cbranch_execz .LBB2_4398
.LBB2_4828:                             ;   in Loop: Header=BB2_4213 Depth=3
	v_cmp_ne_u16_sdwa s73, v13, v2 src0_sel:BYTE_1 src1_sel:DWORD
	v_mov_b32_e32 v74, 0
	s_andn2_b32 s17, s17, exec_lo
	s_and_b32 s73, s73, exec_lo
	s_or_b32 s17, s17, s73
	s_or_b32 exec_lo, exec_lo, s23
	s_and_saveexec_b32 s23, s17
	s_cbranch_execnz .LBB2_4399
	s_branch .LBB2_4400
.LBB2_4829:                             ;   in Loop: Header=BB2_4213 Depth=3
	s_or_saveexec_b32 s23, s23
	v_mov_b32_e32 v75, 0x7f800001
	s_xor_b32 exec_lo, exec_lo, s23
	s_cbranch_execz .LBB2_4404
.LBB2_4830:                             ;   in Loop: Header=BB2_4213 Depth=3
	v_cmp_ne_u16_sdwa s73, v9, v2 src0_sel:BYTE_1 src1_sel:DWORD
	v_mov_b32_e32 v75, 0
	s_andn2_b32 s17, s17, exec_lo
	s_and_b32 s73, s73, exec_lo
	s_or_b32 s17, s17, s73
	s_or_b32 exec_lo, exec_lo, s23
	s_and_saveexec_b32 s23, s17
	s_cbranch_execnz .LBB2_4405
	s_branch .LBB2_4406
.LBB2_4831:                             ;   in Loop: Header=BB2_4213 Depth=3
	s_or_saveexec_b32 s23, s23
	v_mov_b32_e32 v74, 0x7f800001
	s_xor_b32 exec_lo, exec_lo, s23
	s_cbranch_execz .LBB2_4412
.LBB2_4832:                             ;   in Loop: Header=BB2_4213 Depth=3
	v_cmp_ne_u16_sdwa s73, v13, v2 src0_sel:BYTE_1 src1_sel:DWORD
	v_mov_b32_e32 v74, 0
	s_andn2_b32 s17, s17, exec_lo
	s_and_b32 s73, s73, exec_lo
	s_or_b32 s17, s17, s73
	s_or_b32 exec_lo, exec_lo, s23
	s_and_saveexec_b32 s23, s17
	s_cbranch_execnz .LBB2_4413
	s_branch .LBB2_4414
.LBB2_4833:                             ;   in Loop: Header=BB2_4213 Depth=3
	s_or_saveexec_b32 s23, s23
	v_mov_b32_e32 v75, 0x7f800001
	s_xor_b32 exec_lo, exec_lo, s23
	s_cbranch_execz .LBB2_4418
.LBB2_4834:                             ;   in Loop: Header=BB2_4213 Depth=3
	v_cmp_ne_u16_sdwa s73, v9, v2 src0_sel:BYTE_1 src1_sel:DWORD
	v_mov_b32_e32 v75, 0
	s_andn2_b32 s17, s17, exec_lo
	s_and_b32 s73, s73, exec_lo
	s_or_b32 s17, s17, s73
	s_or_b32 exec_lo, exec_lo, s23
	s_and_saveexec_b32 s23, s17
	s_cbranch_execnz .LBB2_4419
	s_branch .LBB2_4420
.LBB2_4835:                             ;   in Loop: Header=BB2_4213 Depth=3
	s_or_saveexec_b32 s23, s23
	v_mov_b32_e32 v75, 0x7f800001
	s_xor_b32 exec_lo, exec_lo, s23
	s_cbranch_execz .LBB2_4434
.LBB2_4836:                             ;   in Loop: Header=BB2_4213 Depth=3
	v_cmp_ne_u16_e32 vcc_lo, 0, v76
	v_mov_b32_e32 v75, 0
	s_andn2_b32 s17, s17, exec_lo
	s_and_b32 s73, vcc_lo, exec_lo
	s_or_b32 s17, s17, s73
	s_or_b32 exec_lo, exec_lo, s23
	s_and_saveexec_b32 s23, s17
	s_cbranch_execnz .LBB2_4435
	s_branch .LBB2_4436
.LBB2_4837:                             ;   in Loop: Header=BB2_4213 Depth=3
	s_or_saveexec_b32 s23, s23
	v_mov_b32_e32 v76, 0x7f800001
	s_xor_b32 exec_lo, exec_lo, s23
	s_cbranch_execz .LBB2_4440
.LBB2_4838:                             ;   in Loop: Header=BB2_4213 Depth=3
	v_cmp_ne_u16_e32 vcc_lo, 0, v77
	v_mov_b32_e32 v76, 0
	s_andn2_b32 s17, s17, exec_lo
	s_and_b32 s73, vcc_lo, exec_lo
	s_or_b32 s17, s17, s73
	s_or_b32 exec_lo, exec_lo, s23
	s_and_saveexec_b32 s23, s17
	s_cbranch_execnz .LBB2_4441
	s_branch .LBB2_4442
.LBB2_4839:                             ;   in Loop: Header=BB2_4213 Depth=3
	s_or_saveexec_b32 s23, s23
	v_mov_b32_e32 v75, 0x7f800001
	s_xor_b32 exec_lo, exec_lo, s23
	s_cbranch_execz .LBB2_4448
.LBB2_4840:                             ;   in Loop: Header=BB2_4213 Depth=3
	v_cmp_ne_u16_e32 vcc_lo, 0, v76
	v_mov_b32_e32 v75, 0
	s_andn2_b32 s17, s17, exec_lo
	s_and_b32 s73, vcc_lo, exec_lo
	s_or_b32 s17, s17, s73
	s_or_b32 exec_lo, exec_lo, s23
	s_and_saveexec_b32 s23, s17
	s_cbranch_execnz .LBB2_4449
	s_branch .LBB2_4450
.LBB2_4841:                             ;   in Loop: Header=BB2_4213 Depth=3
	s_or_saveexec_b32 s23, s23
	v_mov_b32_e32 v76, 0x7f800001
	s_xor_b32 exec_lo, exec_lo, s23
	s_cbranch_execz .LBB2_4454
.LBB2_4842:                             ;   in Loop: Header=BB2_4213 Depth=3
	v_cmp_ne_u16_e32 vcc_lo, 0, v77
	v_mov_b32_e32 v76, 0
	s_andn2_b32 s17, s17, exec_lo
	s_and_b32 s73, vcc_lo, exec_lo
	s_or_b32 s17, s17, s73
	s_or_b32 exec_lo, exec_lo, s23
	s_and_saveexec_b32 s23, s17
	s_cbranch_execnz .LBB2_4455
	s_branch .LBB2_4456
.LBB2_4843:                             ;   in Loop: Header=BB2_4213 Depth=3
	s_or_saveexec_b32 s23, s23
	v_mov_b32_e32 v76, 0x7f800001
	s_xor_b32 exec_lo, exec_lo, s23
	s_cbranch_execz .LBB2_4470
.LBB2_4844:                             ;   in Loop: Header=BB2_4213 Depth=3
	v_cmp_ne_u16_sdwa s73, v13, v2 src0_sel:BYTE_3 src1_sel:DWORD
	v_mov_b32_e32 v76, 0
	s_andn2_b32 s17, s17, exec_lo
	s_and_b32 s73, s73, exec_lo
	s_or_b32 s17, s17, s73
	s_or_b32 exec_lo, exec_lo, s23
	s_and_saveexec_b32 s23, s17
	s_cbranch_execnz .LBB2_4471
	s_branch .LBB2_4472
.LBB2_4845:                             ;   in Loop: Header=BB2_4213 Depth=3
	s_or_saveexec_b32 s23, s23
	v_mov_b32_e32 v77, 0x7f800001
	s_xor_b32 exec_lo, exec_lo, s23
	s_cbranch_execz .LBB2_4476
.LBB2_4846:                             ;   in Loop: Header=BB2_4213 Depth=3
	v_cmp_ne_u16_sdwa s73, v9, v2 src0_sel:BYTE_3 src1_sel:DWORD
	v_mov_b32_e32 v77, 0
	s_andn2_b32 s17, s17, exec_lo
	s_and_b32 s73, s73, exec_lo
	s_or_b32 s17, s17, s73
	s_or_b32 exec_lo, exec_lo, s23
	s_and_saveexec_b32 s23, s17
	s_cbranch_execnz .LBB2_4477
	s_branch .LBB2_4478
.LBB2_4847:                             ;   in Loop: Header=BB2_4213 Depth=3
	s_or_saveexec_b32 s23, s23
	v_mov_b32_e32 v76, 0x7f800001
	s_xor_b32 exec_lo, exec_lo, s23
	s_cbranch_execz .LBB2_4484
.LBB2_4848:                             ;   in Loop: Header=BB2_4213 Depth=3
	v_cmp_ne_u16_sdwa s73, v13, v2 src0_sel:BYTE_3 src1_sel:DWORD
	v_mov_b32_e32 v76, 0
	s_andn2_b32 s17, s17, exec_lo
	s_and_b32 s73, s73, exec_lo
	s_or_b32 s17, s17, s73
	s_or_b32 exec_lo, exec_lo, s23
	s_and_saveexec_b32 s23, s17
	s_cbranch_execnz .LBB2_4485
	s_branch .LBB2_4486
.LBB2_4849:                             ;   in Loop: Header=BB2_4213 Depth=3
	s_or_saveexec_b32 s23, s23
	v_mov_b32_e32 v13, 0x7f800001
	s_xor_b32 exec_lo, exec_lo, s23
	s_cbranch_execz .LBB2_4490
.LBB2_4850:                             ;   in Loop: Header=BB2_4213 Depth=3
	v_cmp_ne_u16_sdwa s73, v9, v2 src0_sel:BYTE_3 src1_sel:DWORD
	v_mov_b32_e32 v13, 0
	s_andn2_b32 s17, s17, exec_lo
	s_and_b32 s73, s73, exec_lo
	s_or_b32 s17, s17, s73
	s_or_b32 exec_lo, exec_lo, s23
	s_and_saveexec_b32 s23, s17
	s_cbranch_execnz .LBB2_4491
	s_branch .LBB2_4492
.LBB2_4851:                             ;   in Loop: Header=BB2_4213 Depth=3
	s_or_saveexec_b32 s23, s23
	v_mov_b32_e32 v9, 0x7f800001
	s_xor_b32 exec_lo, exec_lo, s23
	s_cbranch_execz .LBB2_4506
.LBB2_4852:                             ;   in Loop: Header=BB2_4213 Depth=3
	v_cmp_ne_u16_sdwa s73, v14, v2 src0_sel:BYTE_0 src1_sel:DWORD
	v_mov_b32_e32 v9, 0
	s_andn2_b32 s17, s17, exec_lo
	s_and_b32 s73, s73, exec_lo
	s_or_b32 s17, s17, s73
	s_or_b32 exec_lo, exec_lo, s23
	s_and_saveexec_b32 s23, s17
	s_cbranch_execnz .LBB2_4507
	s_branch .LBB2_4508
.LBB2_4853:                             ;   in Loop: Header=BB2_4213 Depth=3
	s_or_saveexec_b32 s23, s23
	v_mov_b32_e32 v76, 0x7f800001
	s_xor_b32 exec_lo, exec_lo, s23
	s_cbranch_execz .LBB2_4512
.LBB2_4854:                             ;   in Loop: Header=BB2_4213 Depth=3
	v_cmp_ne_u16_sdwa s73, v10, v2 src0_sel:BYTE_0 src1_sel:DWORD
	v_mov_b32_e32 v76, 0
	s_andn2_b32 s17, s17, exec_lo
	s_and_b32 s73, s73, exec_lo
	s_or_b32 s17, s17, s73
	s_or_b32 exec_lo, exec_lo, s23
	s_and_saveexec_b32 s23, s17
	s_cbranch_execnz .LBB2_4513
	s_branch .LBB2_4514
.LBB2_4855:                             ;   in Loop: Header=BB2_4213 Depth=3
	s_or_saveexec_b32 s23, s23
	v_mov_b32_e32 v9, 0x7f800001
	s_xor_b32 exec_lo, exec_lo, s23
	s_cbranch_execz .LBB2_4520
.LBB2_4856:                             ;   in Loop: Header=BB2_4213 Depth=3
	v_cmp_ne_u16_sdwa s73, v14, v2 src0_sel:BYTE_0 src1_sel:DWORD
	v_mov_b32_e32 v9, 0
	s_andn2_b32 s17, s17, exec_lo
	s_and_b32 s73, s73, exec_lo
	s_or_b32 s17, s17, s73
	s_or_b32 exec_lo, exec_lo, s23
	s_and_saveexec_b32 s23, s17
	s_cbranch_execnz .LBB2_4521
	s_branch .LBB2_4522
.LBB2_4857:                             ;   in Loop: Header=BB2_4213 Depth=3
	s_or_saveexec_b32 s23, s23
	v_mov_b32_e32 v76, 0x7f800001
	s_xor_b32 exec_lo, exec_lo, s23
	s_cbranch_execz .LBB2_4526
.LBB2_4858:                             ;   in Loop: Header=BB2_4213 Depth=3
	v_cmp_ne_u16_sdwa s73, v10, v2 src0_sel:BYTE_0 src1_sel:DWORD
	v_mov_b32_e32 v76, 0
	s_andn2_b32 s17, s17, exec_lo
	s_and_b32 s73, s73, exec_lo
	s_or_b32 s17, s17, s73
	s_or_b32 exec_lo, exec_lo, s23
	s_and_saveexec_b32 s23, s17
	s_cbranch_execnz .LBB2_4527
	s_branch .LBB2_4528
.LBB2_4859:                             ;   in Loop: Header=BB2_4213 Depth=3
	s_or_saveexec_b32 s23, s23
	v_mov_b32_e32 v9, 0x7f800001
	s_xor_b32 exec_lo, exec_lo, s23
	s_cbranch_execz .LBB2_4542
.LBB2_4860:                             ;   in Loop: Header=BB2_4213 Depth=3
	v_cmp_ne_u16_sdwa s73, v14, v2 src0_sel:BYTE_1 src1_sel:DWORD
	v_mov_b32_e32 v9, 0
	s_andn2_b32 s17, s17, exec_lo
	s_and_b32 s73, s73, exec_lo
	s_or_b32 s17, s17, s73
	s_or_b32 exec_lo, exec_lo, s23
	s_and_saveexec_b32 s23, s17
	s_cbranch_execnz .LBB2_4543
	s_branch .LBB2_4544
.LBB2_4861:                             ;   in Loop: Header=BB2_4213 Depth=3
	s_or_saveexec_b32 s23, s23
	v_mov_b32_e32 v77, 0x7f800001
	s_xor_b32 exec_lo, exec_lo, s23
	s_cbranch_execz .LBB2_4548
.LBB2_4862:                             ;   in Loop: Header=BB2_4213 Depth=3
	v_cmp_ne_u16_sdwa s73, v10, v2 src0_sel:BYTE_1 src1_sel:DWORD
	v_mov_b32_e32 v77, 0
	s_andn2_b32 s17, s17, exec_lo
	s_and_b32 s73, s73, exec_lo
	s_or_b32 s17, s17, s73
	s_or_b32 exec_lo, exec_lo, s23
	s_and_saveexec_b32 s23, s17
	s_cbranch_execnz .LBB2_4549
	s_branch .LBB2_4550
.LBB2_4863:                             ;   in Loop: Header=BB2_4213 Depth=3
	s_or_saveexec_b32 s23, s23
	v_mov_b32_e32 v9, 0x7f800001
	s_xor_b32 exec_lo, exec_lo, s23
	s_cbranch_execz .LBB2_4556
.LBB2_4864:                             ;   in Loop: Header=BB2_4213 Depth=3
	v_cmp_ne_u16_sdwa s73, v14, v2 src0_sel:BYTE_1 src1_sel:DWORD
	v_mov_b32_e32 v9, 0
	s_andn2_b32 s17, s17, exec_lo
	s_and_b32 s73, s73, exec_lo
	s_or_b32 s17, s17, s73
	s_or_b32 exec_lo, exec_lo, s23
	s_and_saveexec_b32 s23, s17
	s_cbranch_execnz .LBB2_4557
	s_branch .LBB2_4558
.LBB2_4865:                             ;   in Loop: Header=BB2_4213 Depth=3
	s_or_saveexec_b32 s23, s23
	v_mov_b32_e32 v77, 0x7f800001
	s_xor_b32 exec_lo, exec_lo, s23
	s_cbranch_execz .LBB2_4562
.LBB2_4866:                             ;   in Loop: Header=BB2_4213 Depth=3
	v_cmp_ne_u16_sdwa s73, v10, v2 src0_sel:BYTE_1 src1_sel:DWORD
	v_mov_b32_e32 v77, 0
	s_andn2_b32 s17, s17, exec_lo
	s_and_b32 s73, s73, exec_lo
	s_or_b32 s17, s17, s73
	s_or_b32 exec_lo, exec_lo, s23
	s_and_saveexec_b32 s23, s17
	s_cbranch_execnz .LBB2_4563
	s_branch .LBB2_4564
.LBB2_4867:                             ;   in Loop: Header=BB2_4213 Depth=3
	s_or_saveexec_b32 s23, s23
	v_mov_b32_e32 v9, 0x7f800001
	s_xor_b32 exec_lo, exec_lo, s23
	s_cbranch_execz .LBB2_4578
.LBB2_4868:                             ;   in Loop: Header=BB2_4213 Depth=3
	v_cmp_ne_u16_e32 vcc_lo, 0, v78
	v_mov_b32_e32 v9, 0
	s_andn2_b32 s17, s17, exec_lo
	s_and_b32 s73, vcc_lo, exec_lo
	s_or_b32 s17, s17, s73
	s_or_b32 exec_lo, exec_lo, s23
	s_and_saveexec_b32 s23, s17
	s_cbranch_execnz .LBB2_4579
	s_branch .LBB2_4580
.LBB2_4869:                             ;   in Loop: Header=BB2_4213 Depth=3
	s_or_saveexec_b32 s23, s23
	v_mov_b32_e32 v78, 0x7f800001
	s_xor_b32 exec_lo, exec_lo, s23
	s_cbranch_execz .LBB2_4584
.LBB2_4870:                             ;   in Loop: Header=BB2_4213 Depth=3
	v_cmp_ne_u16_e32 vcc_lo, 0, v79
	v_mov_b32_e32 v78, 0
	s_andn2_b32 s17, s17, exec_lo
	s_and_b32 s73, vcc_lo, exec_lo
	s_or_b32 s17, s17, s73
	s_or_b32 exec_lo, exec_lo, s23
	s_and_saveexec_b32 s23, s17
	s_cbranch_execnz .LBB2_4585
	s_branch .LBB2_4586
.LBB2_4871:                             ;   in Loop: Header=BB2_4213 Depth=3
	s_or_saveexec_b32 s23, s23
	v_mov_b32_e32 v9, 0x7f800001
	s_xor_b32 exec_lo, exec_lo, s23
	s_cbranch_execz .LBB2_4592
.LBB2_4872:                             ;   in Loop: Header=BB2_4213 Depth=3
	v_cmp_ne_u16_e32 vcc_lo, 0, v78
	v_mov_b32_e32 v9, 0
	s_andn2_b32 s17, s17, exec_lo
	s_and_b32 s73, vcc_lo, exec_lo
	s_or_b32 s17, s17, s73
	s_or_b32 exec_lo, exec_lo, s23
	s_and_saveexec_b32 s23, s17
	s_cbranch_execnz .LBB2_4593
	s_branch .LBB2_4594
.LBB2_4873:                             ;   in Loop: Header=BB2_4213 Depth=3
	s_or_saveexec_b32 s23, s23
	v_mov_b32_e32 v78, 0x7f800001
	s_xor_b32 exec_lo, exec_lo, s23
	s_cbranch_execz .LBB2_4598
.LBB2_4874:                             ;   in Loop: Header=BB2_4213 Depth=3
	v_cmp_ne_u16_e32 vcc_lo, 0, v79
	v_mov_b32_e32 v78, 0
	s_andn2_b32 s17, s17, exec_lo
	s_and_b32 s73, vcc_lo, exec_lo
	s_or_b32 s17, s17, s73
	s_or_b32 exec_lo, exec_lo, s23
	s_and_saveexec_b32 s23, s17
	s_cbranch_execnz .LBB2_4599
	s_branch .LBB2_4600
.LBB2_4875:                             ;   in Loop: Header=BB2_4213 Depth=3
	s_or_saveexec_b32 s23, s23
	v_mov_b32_e32 v9, 0x7f800001
	s_xor_b32 exec_lo, exec_lo, s23
	s_cbranch_execz .LBB2_4614
.LBB2_4876:                             ;   in Loop: Header=BB2_4213 Depth=3
	v_cmp_ne_u16_sdwa s73, v14, v2 src0_sel:BYTE_3 src1_sel:DWORD
	v_mov_b32_e32 v9, 0
	s_andn2_b32 s17, s17, exec_lo
	s_and_b32 s73, s73, exec_lo
	s_or_b32 s17, s17, s73
	s_or_b32 exec_lo, exec_lo, s23
	s_and_saveexec_b32 s23, s17
	s_cbranch_execnz .LBB2_4615
	s_branch .LBB2_4616
.LBB2_4877:                             ;   in Loop: Header=BB2_4213 Depth=3
	s_or_saveexec_b32 s23, s23
	v_mov_b32_e32 v79, 0x7f800001
	s_xor_b32 exec_lo, exec_lo, s23
	s_cbranch_execz .LBB2_4620
.LBB2_4878:                             ;   in Loop: Header=BB2_4213 Depth=3
	v_cmp_ne_u16_sdwa s73, v10, v2 src0_sel:BYTE_3 src1_sel:DWORD
	v_mov_b32_e32 v79, 0
	s_andn2_b32 s17, s17, exec_lo
	s_and_b32 s73, s73, exec_lo
	s_or_b32 s17, s17, s73
	s_or_b32 exec_lo, exec_lo, s23
	s_and_saveexec_b32 s23, s17
	s_cbranch_execnz .LBB2_4621
	s_branch .LBB2_4622
.LBB2_4879:                             ;   in Loop: Header=BB2_4213 Depth=3
	s_or_saveexec_b32 s23, s23
	v_mov_b32_e32 v9, 0x7f800001
	s_xor_b32 exec_lo, exec_lo, s23
	s_cbranch_execz .LBB2_4628
.LBB2_4880:                             ;   in Loop: Header=BB2_4213 Depth=3
	v_cmp_ne_u16_sdwa s73, v14, v2 src0_sel:BYTE_3 src1_sel:DWORD
	v_mov_b32_e32 v9, 0
	s_andn2_b32 s17, s17, exec_lo
	s_and_b32 s73, s73, exec_lo
	s_or_b32 s17, s17, s73
	s_or_b32 exec_lo, exec_lo, s23
	s_and_saveexec_b32 s23, s17
	s_cbranch_execnz .LBB2_4629
	s_branch .LBB2_4630
.LBB2_4881:                             ;   in Loop: Header=BB2_4213 Depth=3
	s_or_saveexec_b32 s23, s23
	v_mov_b32_e32 v14, 0x7f800001
	s_xor_b32 exec_lo, exec_lo, s23
	s_cbranch_execz .LBB2_4634
.LBB2_4882:                             ;   in Loop: Header=BB2_4213 Depth=3
	v_cmp_ne_u16_sdwa s73, v10, v2 src0_sel:BYTE_3 src1_sel:DWORD
	v_mov_b32_e32 v14, 0
	s_andn2_b32 s17, s17, exec_lo
	s_and_b32 s73, s73, exec_lo
	s_or_b32 s17, s17, s73
	s_or_b32 exec_lo, exec_lo, s23
	s_and_saveexec_b32 s23, s17
	s_cbranch_execnz .LBB2_4635
	s_branch .LBB2_4636
.LBB2_4883:                             ;   in Loop: Header=BB2_4213 Depth=3
	s_or_saveexec_b32 s23, s23
	v_mov_b32_e32 v9, 0x7f800001
	s_xor_b32 exec_lo, exec_lo, s23
	s_cbranch_execz .LBB2_4650
.LBB2_4884:                             ;   in Loop: Header=BB2_4213 Depth=3
	v_cmp_ne_u16_sdwa s73, v15, v2 src0_sel:BYTE_0 src1_sel:DWORD
	v_mov_b32_e32 v9, 0
	s_andn2_b32 s17, s17, exec_lo
	s_and_b32 s73, s73, exec_lo
	s_or_b32 s17, s17, s73
	s_or_b32 exec_lo, exec_lo, s23
	s_and_saveexec_b32 s23, s17
	s_cbranch_execnz .LBB2_4651
	s_branch .LBB2_4652
.LBB2_4885:                             ;   in Loop: Header=BB2_4213 Depth=3
	s_or_saveexec_b32 s23, s23
	v_mov_b32_e32 v10, 0x7f800001
	s_xor_b32 exec_lo, exec_lo, s23
	s_cbranch_execz .LBB2_4656
.LBB2_4886:                             ;   in Loop: Header=BB2_4213 Depth=3
	v_cmp_ne_u16_sdwa s73, v11, v2 src0_sel:BYTE_0 src1_sel:DWORD
	v_mov_b32_e32 v10, 0
	s_andn2_b32 s17, s17, exec_lo
	s_and_b32 s73, s73, exec_lo
	s_or_b32 s17, s17, s73
	s_or_b32 exec_lo, exec_lo, s23
	s_and_saveexec_b32 s23, s17
	s_cbranch_execnz .LBB2_4657
	s_branch .LBB2_4658
.LBB2_4887:                             ;   in Loop: Header=BB2_4213 Depth=3
	s_or_saveexec_b32 s23, s23
	v_mov_b32_e32 v9, 0x7f800001
	s_xor_b32 exec_lo, exec_lo, s23
	s_cbranch_execz .LBB2_4664
.LBB2_4888:                             ;   in Loop: Header=BB2_4213 Depth=3
	v_cmp_ne_u16_sdwa s73, v15, v2 src0_sel:BYTE_0 src1_sel:DWORD
	v_mov_b32_e32 v9, 0
	s_andn2_b32 s17, s17, exec_lo
	s_and_b32 s73, s73, exec_lo
	s_or_b32 s17, s17, s73
	s_or_b32 exec_lo, exec_lo, s23
	s_and_saveexec_b32 s23, s17
	s_cbranch_execnz .LBB2_4665
	s_branch .LBB2_4666
.LBB2_4889:                             ;   in Loop: Header=BB2_4213 Depth=3
	s_or_saveexec_b32 s23, s23
	v_mov_b32_e32 v10, 0x7f800001
	s_xor_b32 exec_lo, exec_lo, s23
	s_cbranch_execz .LBB2_4670
.LBB2_4890:                             ;   in Loop: Header=BB2_4213 Depth=3
	v_cmp_ne_u16_sdwa s73, v11, v2 src0_sel:BYTE_0 src1_sel:DWORD
	v_mov_b32_e32 v10, 0
	s_andn2_b32 s17, s17, exec_lo
	s_and_b32 s73, s73, exec_lo
	s_or_b32 s17, s17, s73
	s_or_b32 exec_lo, exec_lo, s23
	s_and_saveexec_b32 s23, s17
	s_cbranch_execnz .LBB2_4671
	s_branch .LBB2_4672
.LBB2_4891:                             ;   in Loop: Header=BB2_4213 Depth=3
	s_or_saveexec_b32 s23, s23
	v_mov_b32_e32 v9, 0x7f800001
	s_xor_b32 exec_lo, exec_lo, s23
	s_cbranch_execz .LBB2_4686
.LBB2_4892:                             ;   in Loop: Header=BB2_4213 Depth=3
	v_cmp_ne_u16_sdwa s73, v15, v2 src0_sel:BYTE_1 src1_sel:DWORD
	v_mov_b32_e32 v9, 0
	s_andn2_b32 s17, s17, exec_lo
	s_and_b32 s73, s73, exec_lo
	s_or_b32 s17, s17, s73
	s_or_b32 exec_lo, exec_lo, s23
	s_and_saveexec_b32 s23, s17
	s_cbranch_execnz .LBB2_4687
	s_branch .LBB2_4688
.LBB2_4893:                             ;   in Loop: Header=BB2_4213 Depth=3
	s_or_saveexec_b32 s23, s23
	v_mov_b32_e32 v10, 0x7f800001
	s_xor_b32 exec_lo, exec_lo, s23
	s_cbranch_execz .LBB2_4692
.LBB2_4894:                             ;   in Loop: Header=BB2_4213 Depth=3
	v_cmp_ne_u16_sdwa s73, v11, v2 src0_sel:BYTE_1 src1_sel:DWORD
	v_mov_b32_e32 v10, 0
	s_andn2_b32 s17, s17, exec_lo
	s_and_b32 s73, s73, exec_lo
	s_or_b32 s17, s17, s73
	s_or_b32 exec_lo, exec_lo, s23
	s_and_saveexec_b32 s23, s17
	s_cbranch_execnz .LBB2_4693
	s_branch .LBB2_4694
.LBB2_4895:                             ;   in Loop: Header=BB2_4213 Depth=3
	s_or_saveexec_b32 s23, s23
	v_mov_b32_e32 v9, 0x7f800001
	s_xor_b32 exec_lo, exec_lo, s23
	s_cbranch_execz .LBB2_4700
.LBB2_4896:                             ;   in Loop: Header=BB2_4213 Depth=3
	v_cmp_ne_u16_sdwa s73, v15, v2 src0_sel:BYTE_1 src1_sel:DWORD
	v_mov_b32_e32 v9, 0
	s_andn2_b32 s17, s17, exec_lo
	s_and_b32 s73, s73, exec_lo
	s_or_b32 s17, s17, s73
	s_or_b32 exec_lo, exec_lo, s23
	s_and_saveexec_b32 s23, s17
	s_cbranch_execnz .LBB2_4701
	s_branch .LBB2_4702
.LBB2_4897:                             ;   in Loop: Header=BB2_4213 Depth=3
	s_or_saveexec_b32 s23, s23
	v_mov_b32_e32 v10, 0x7f800001
	s_xor_b32 exec_lo, exec_lo, s23
	s_cbranch_execz .LBB2_4706
.LBB2_4898:                             ;   in Loop: Header=BB2_4213 Depth=3
	v_cmp_ne_u16_sdwa s73, v11, v2 src0_sel:BYTE_1 src1_sel:DWORD
	v_mov_b32_e32 v10, 0
	s_andn2_b32 s17, s17, exec_lo
	s_and_b32 s73, s73, exec_lo
	s_or_b32 s17, s17, s73
	s_or_b32 exec_lo, exec_lo, s23
	s_and_saveexec_b32 s23, s17
	s_cbranch_execnz .LBB2_4707
	s_branch .LBB2_4708
.LBB2_4899:                             ;   in Loop: Header=BB2_4213 Depth=3
	s_or_saveexec_b32 s23, s23
	v_mov_b32_e32 v9, 0x7f800001
	s_xor_b32 exec_lo, exec_lo, s23
	s_cbranch_execz .LBB2_4722
.LBB2_4900:                             ;   in Loop: Header=BB2_4213 Depth=3
	v_cmp_ne_u16_e32 vcc_lo, 0, v10
	v_mov_b32_e32 v9, 0
	s_andn2_b32 s17, s17, exec_lo
	s_and_b32 s73, vcc_lo, exec_lo
	s_or_b32 s17, s17, s73
	s_or_b32 exec_lo, exec_lo, s23
	s_and_saveexec_b32 s23, s17
	s_cbranch_execnz .LBB2_4723
	s_branch .LBB2_4724
.LBB2_4901:                             ;   in Loop: Header=BB2_4213 Depth=3
	s_or_saveexec_b32 s23, s23
	v_mov_b32_e32 v10, 0x7f800001
	s_xor_b32 exec_lo, exec_lo, s23
	s_cbranch_execz .LBB2_4728
.LBB2_4902:                             ;   in Loop: Header=BB2_4213 Depth=3
	v_cmp_ne_u16_e32 vcc_lo, 0, v89
	v_mov_b32_e32 v10, 0
	s_andn2_b32 s17, s17, exec_lo
	s_and_b32 s73, vcc_lo, exec_lo
	s_or_b32 s17, s17, s73
	s_or_b32 exec_lo, exec_lo, s23
	s_and_saveexec_b32 s23, s17
	s_cbranch_execnz .LBB2_4729
	s_branch .LBB2_4730
.LBB2_4903:                             ;   in Loop: Header=BB2_4213 Depth=3
	s_or_saveexec_b32 s23, s23
	v_mov_b32_e32 v9, 0x7f800001
	s_xor_b32 exec_lo, exec_lo, s23
	s_cbranch_execz .LBB2_4736
.LBB2_4904:                             ;   in Loop: Header=BB2_4213 Depth=3
	v_cmp_ne_u16_e32 vcc_lo, 0, v10
	v_mov_b32_e32 v9, 0
	s_andn2_b32 s17, s17, exec_lo
	s_and_b32 s73, vcc_lo, exec_lo
	s_or_b32 s17, s17, s73
	s_or_b32 exec_lo, exec_lo, s23
	s_and_saveexec_b32 s23, s17
	s_cbranch_execnz .LBB2_4737
	s_branch .LBB2_4738
.LBB2_4905:                             ;   in Loop: Header=BB2_4213 Depth=3
	s_or_saveexec_b32 s23, s23
	v_mov_b32_e32 v10, 0x7f800001
	s_xor_b32 exec_lo, exec_lo, s23
	s_cbranch_execz .LBB2_4742
.LBB2_4906:                             ;   in Loop: Header=BB2_4213 Depth=3
	v_cmp_ne_u16_e32 vcc_lo, 0, v89
	v_mov_b32_e32 v10, 0
	s_andn2_b32 s17, s17, exec_lo
	s_and_b32 s73, vcc_lo, exec_lo
	s_or_b32 s17, s17, s73
	s_or_b32 exec_lo, exec_lo, s23
	s_and_saveexec_b32 s23, s17
	s_cbranch_execnz .LBB2_4743
	s_branch .LBB2_4744
.LBB2_4907:                             ;   in Loop: Header=BB2_4213 Depth=3
	s_or_saveexec_b32 s23, s23
	v_mov_b32_e32 v8, 0x7f800001
	s_xor_b32 exec_lo, exec_lo, s23
	s_cbranch_execz .LBB2_4758
.LBB2_4908:                             ;   in Loop: Header=BB2_4213 Depth=3
	v_cmp_ne_u16_sdwa s73, v15, v2 src0_sel:BYTE_3 src1_sel:DWORD
	v_mov_b32_e32 v8, 0
	s_andn2_b32 s17, s17, exec_lo
	s_and_b32 s73, s73, exec_lo
	s_or_b32 s17, s17, s73
	s_or_b32 exec_lo, exec_lo, s23
	s_and_saveexec_b32 s23, s17
	s_cbranch_execnz .LBB2_4759
	s_branch .LBB2_4760
.LBB2_4909:                             ;   in Loop: Header=BB2_4213 Depth=3
	s_or_saveexec_b32 s23, s23
	v_mov_b32_e32 v9, 0x7f800001
	s_xor_b32 exec_lo, exec_lo, s23
	s_cbranch_execz .LBB2_4764
.LBB2_4910:                             ;   in Loop: Header=BB2_4213 Depth=3
	v_cmp_ne_u16_sdwa s73, v11, v2 src0_sel:BYTE_3 src1_sel:DWORD
	v_mov_b32_e32 v9, 0
	s_andn2_b32 s17, s17, exec_lo
	s_and_b32 s73, s73, exec_lo
	s_or_b32 s17, s17, s73
	s_or_b32 exec_lo, exec_lo, s23
	s_and_saveexec_b32 s23, s17
	s_cbranch_execnz .LBB2_4765
	s_branch .LBB2_4766
.LBB2_4911:                             ;   in Loop: Header=BB2_4213 Depth=3
	s_or_saveexec_b32 s23, s23
	v_mov_b32_e32 v91, 0x7f800001
	s_xor_b32 exec_lo, exec_lo, s23
	s_cbranch_execz .LBB2_4772
.LBB2_4912:                             ;   in Loop: Header=BB2_4213 Depth=3
	v_cmp_ne_u16_sdwa s73, v15, v2 src0_sel:BYTE_3 src1_sel:DWORD
	v_mov_b32_e32 v91, 0
	s_andn2_b32 s17, s17, exec_lo
	s_and_b32 s73, s73, exec_lo
	s_or_b32 s17, s17, s73
	s_or_b32 exec_lo, exec_lo, s23
	s_and_saveexec_b32 s23, s17
	s_cbranch_execnz .LBB2_4773
	s_branch .LBB2_4774
.LBB2_4913:                             ;   in Loop: Header=BB2_4213 Depth=3
	s_or_saveexec_b32 s23, s23
	v_mov_b32_e32 v8, 0x7f800001
	s_xor_b32 exec_lo, exec_lo, s23
	s_cbranch_execz .LBB2_4778
.LBB2_4914:                             ;   in Loop: Header=BB2_4213 Depth=3
	v_cmp_ne_u16_sdwa s73, v11, v2 src0_sel:BYTE_3 src1_sel:DWORD
	v_mov_b32_e32 v8, 0
	s_andn2_b32 s17, s17, exec_lo
	s_and_b32 s73, s73, exec_lo
	s_or_b32 s17, s17, s73
	s_or_b32 exec_lo, exec_lo, s23
	s_and_saveexec_b32 s23, s17
	s_cbranch_execnz .LBB2_4779
	s_branch .LBB2_4780
.LBB2_4915:                             ;   in Loop: Header=BB2_2295 Depth=2
	s_or_b32 exec_lo, exec_lo, s19
.LBB2_4916:                             ;   in Loop: Header=BB2_2295 Depth=2
	s_or_b32 exec_lo, exec_lo, s18
	v_and_b32_e32 v8, 15, v55
	v_mov_b32_e32 v14, 0
	s_mov_b32 s19, 0
	s_mov_b32 s18, exec_lo
                                        ; implicit-def: $vgpr15
                                        ; implicit-def: $vgpr68
	v_cndmask_b32_e64 v58, v60, v8, s16
	v_cmpx_ne_u32_e32 0, v58
	s_cbranch_execz .LBB2_5626
; %bb.4917:                             ;   in Loop: Header=BB2_2295 Depth=2
	v_cmp_lt_i32_e32 vcc_lo, 0, v61
	v_ashrrev_i32_e32 v11, 31, v58
	s_mov_b32 s19, exec_lo
	v_cndmask_b32_e32 v9, 0, v87, vcc_lo
	v_lshrrev_b32_e32 v11, 23, v11
	v_sub_nc_u32_e32 v9, v9, v61
	v_add_nc_u32_e32 v11, v58, v11
	v_lshl_or_b32 v9, v9, 5, v96
	v_and_b32_e32 v62, 0xfffffe00, v11
	v_ashrrev_i32_e32 v11, 9, v11
	v_ashrrev_i32_e32 v10, 31, v9
	v_lshrrev_b32_e32 v10, 27, v10
	v_add_nc_u32_e32 v10, v9, v10
	v_and_b32_e32 v12, 0xffffffe0, v10
	v_sub_nc_u32_e32 v61, v9, v12
	v_ashrrev_i32_e32 v9, 5, v10
	v_sub_nc_u32_e32 v12, v60, v8
	v_sub_nc_u32_e32 v60, v58, v62
	v_lshlrev_b32_e32 v10, 4, v61
	v_lshl_add_u32 v8, v9, 9, v10
	v_cndmask_b32_e64 v10, 0, v12, s16
	v_cmp_lt_i32_e64 s16, 15, v60
	v_sub_nc_u32_e32 v72, v58, v8
	v_add_nc_u32_e32 v59, v10, v59
	v_add_co_ci_u32_e64 v11, null, 0, v11, s16
	v_sub_nc_u32_e32 v63, v11, v9
	v_cmpx_lt_i32_e32 15, v72
	s_cbranch_execz .LBB2_5625
; %bb.4918:                             ;   in Loop: Header=BB2_2295 Depth=2
	s_trap 2
	ds_read_b64 v[9:10], v0
	v_add_nc_u32_e32 v8, v8, v59
	s_bitcmp1_b32 s72, 0
	s_mov_b32 s22, 0
	s_cselect_b32 s23, -1, 0
	v_ashrrev_i32_e32 v11, 31, v8
	v_add_co_u32 v68, vcc_lo, v8, v64
	v_add_co_ci_u32_e64 v69, null, v11, v65, vcc_lo
	s_waitcnt lgkmcnt(0)
	v_add_co_u32 v70, vcc_lo, v9, v8
	v_add_co_ci_u32_e64 v71, null, v10, v11, vcc_lo
	v_add_co_u32 v80, vcc_lo, v8, v66
	v_add_co_ci_u32_e64 v81, null, v11, v67, vcc_lo
	s_branch .LBB2_4922
.LBB2_4919:                             ;   in Loop: Header=BB2_4922 Depth=3
	s_or_b32 exec_lo, exec_lo, s17
	v_lshrrev_b32_e32 v10, 20, v10
	v_min_i32_e32 v11, 15, v9
	v_cmp_gt_i32_e32 vcc_lo, 16, v9
	v_and_b32_sdwa v8, v8, v103 dst_sel:DWORD dst_unused:UNUSED_PAD src0_sel:BYTE_3 src1_sel:DWORD
	v_lshlrev_b32_e32 v11, 3, v11
	v_cndmask_b32_e32 v10, 7, v10, vcc_lo
	v_and_b32_e32 v11, 0xf8, v11
	v_and_b32_e32 v15, 7, v10
	v_or_b32_e32 v9, v9, v10
	v_or3_b32 v8, v8, v11, v15
	v_cmp_ne_u32_e32 vcc_lo, 0, v9
	v_lshlrev_b32_e32 v8, 8, v8
	v_cndmask_b32_e32 v9, 0, v8, vcc_lo
.LBB2_4920:                             ;   in Loop: Header=BB2_4922 Depth=3
	s_or_b32 exec_lo, exec_lo, s74
.LBB2_4921:                             ;   in Loop: Header=BB2_4922 Depth=3
	s_or_b32 exec_lo, exec_lo, s73
	v_or_b32_sdwa v8, v13, v78 dst_sel:WORD_1 dst_unused:UNUSED_PAD src0_sel:DWORD src1_sel:DWORD
	v_or_b32_sdwa v10, v12, v75 dst_sel:WORD_1 dst_unused:UNUSED_PAD src0_sel:DWORD src1_sel:DWORD
	;; [unrolled: 1-line block ×4, first 2 shown]
	v_sub_nc_u32_e32 v72, v72, v117
	v_or3_b32 v9, v77, v76, v8
	v_or3_b32 v8, v74, v73, v10
	;; [unrolled: 1-line block ×4, first 2 shown]
	v_add_co_u32 v68, vcc_lo, v68, v117
	v_add_co_ci_u32_e64 v69, null, 0, v69, vcc_lo
	v_add_co_u32 v70, vcc_lo, v70, v117
	global_store_dwordx4 v[80:81], v[8:11], off glc slc
	v_add_co_ci_u32_e64 v71, null, 0, v71, vcc_lo
	v_cmp_gt_i32_e32 vcc_lo, 16, v72
	v_add_co_u32 v80, s17, v80, v117
	v_add_co_ci_u32_e64 v81, null, 0, v81, s17
	v_sub_nc_u32_e32 v63, v63, v87
	s_or_b32 s22, vcc_lo, s22
	s_andn2_b32 exec_lo, exec_lo, s22
	s_cbranch_execz .LBB2_5624
.LBB2_4922:                             ;   Parent Loop BB2_47 Depth=1
                                        ;     Parent Loop BB2_2295 Depth=2
                                        ; =>    This Inner Loop Header: Depth=3
	global_load_dwordx4 v[8:11], v[70:71], off slc
	global_load_dwordx4 v[12:15], v[68:69], off slc
	s_mov_b32 s17, -1
	s_waitcnt vmcnt(1)
	v_and_b32_e32 v73, 7, v8
	v_bfe_u32 v76, v8, 3, 4
	v_lshlrev_b32_e32 v77, 24, v8
	s_waitcnt vmcnt(0)
	v_cmp_gt_i16_sdwa s73, v12, v102 src0_sel:BYTE_0 src1_sel:DWORD
	v_ffbh_u32_e32 v74, v73
	v_cmp_eq_u32_e32 vcc_lo, 0, v76
	v_min_u32_e32 v74, 32, v74
	v_subrev_nc_u32_e32 v75, 28, v74
	v_sub_nc_u32_e32 v74, 29, v74
	v_lshlrev_b32_e32 v75, v75, v8
	v_cndmask_b32_e32 v74, v76, v74, vcc_lo
	v_and_b32_e32 v75, 7, v75
	v_lshl_add_u32 v74, v74, 23, 0x3b800000
	v_cndmask_b32_e32 v73, v73, v75, vcc_lo
	v_and_b32_e32 v75, 0x80000000, v77
	s_and_b32 vcc_lo, exec_lo, s23
	v_lshlrev_b32_e32 v73, 20, v73
	v_or3_b32 v73, v75, v74, v73
                                        ; implicit-def: $vgpr74
	s_cbranch_vccz .LBB2_4936
; %bb.4923:                             ;   in Loop: Header=BB2_4922 Depth=3
	s_mov_b32 s17, 0
	s_and_saveexec_b32 s74, s73
	s_xor_b32 s73, exec_lo, s74
	s_cbranch_execz .LBB2_5496
; %bb.4924:                             ;   in Loop: Header=BB2_4922 Depth=3
	v_cmp_eq_u16_sdwa s75, v12, v103 src0_sel:BYTE_0 src1_sel:DWORD
	s_mov_b32 s17, -1
	s_and_saveexec_b32 s74, s75
; %bb.4925:                             ;   in Loop: Header=BB2_4922 Depth=3
	s_xor_b32 s17, exec_lo, -1
; %bb.4926:                             ;   in Loop: Header=BB2_4922 Depth=3
	s_or_b32 exec_lo, exec_lo, s74
	s_and_b32 s17, s17, exec_lo
	s_or_saveexec_b32 s73, s73
	v_mov_b32_e32 v74, 0x7f800001
	s_xor_b32 exec_lo, exec_lo, s73
	s_cbranch_execnz .LBB2_5497
.LBB2_4927:                             ;   in Loop: Header=BB2_4922 Depth=3
	s_or_b32 exec_lo, exec_lo, s73
	s_and_saveexec_b32 s73, s17
	s_cbranch_execz .LBB2_4929
.LBB2_4928:                             ;   in Loop: Header=BB2_4922 Depth=3
	v_and_b32_e32 v74, 7, v12
	v_bfe_u32 v77, v12, 3, 4
	v_lshlrev_b32_e32 v78, 24, v12
	v_ffbh_u32_e32 v75, v74
	v_cmp_eq_u32_e32 vcc_lo, 0, v77
	v_min_u32_e32 v75, 32, v75
	v_subrev_nc_u32_e32 v76, 28, v75
	v_sub_nc_u32_e32 v75, 29, v75
	v_lshlrev_b32_e32 v76, v76, v12
	v_cndmask_b32_e32 v75, v77, v75, vcc_lo
	v_and_b32_e32 v76, 7, v76
	v_lshl_add_u32 v75, v75, 23, 0x3b800000
	v_cndmask_b32_e32 v74, v74, v76, vcc_lo
	v_and_b32_e32 v76, 0x80000000, v78
	v_lshlrev_b32_e32 v74, 20, v74
	v_or3_b32 v74, v76, v75, v74
.LBB2_4929:                             ;   in Loop: Header=BB2_4922 Depth=3
	s_or_b32 exec_lo, exec_lo, s73
	v_cmp_gt_i16_sdwa s73, v8, v102 src0_sel:BYTE_0 src1_sel:DWORD
	s_mov_b32 s17, 0
	s_and_saveexec_b32 s74, s73
	s_xor_b32 s73, exec_lo, s74
	s_cbranch_execz .LBB2_5498
; %bb.4930:                             ;   in Loop: Header=BB2_4922 Depth=3
	v_cmp_eq_u16_sdwa s75, v8, v103 src0_sel:BYTE_0 src1_sel:DWORD
	s_mov_b32 s17, -1
	s_and_saveexec_b32 s74, s75
; %bb.4931:                             ;   in Loop: Header=BB2_4922 Depth=3
	s_xor_b32 s17, exec_lo, -1
; %bb.4932:                             ;   in Loop: Header=BB2_4922 Depth=3
	s_or_b32 exec_lo, exec_lo, s74
	s_and_b32 s17, s17, exec_lo
	s_or_saveexec_b32 s73, s73
	v_mov_b32_e32 v75, 0x7f800001
	s_xor_b32 exec_lo, exec_lo, s73
	s_cbranch_execnz .LBB2_5499
.LBB2_4933:                             ;   in Loop: Header=BB2_4922 Depth=3
	s_or_b32 exec_lo, exec_lo, s73
	s_and_saveexec_b32 s73, s17
.LBB2_4934:                             ;   in Loop: Header=BB2_4922 Depth=3
	v_mov_b32_e32 v75, v73
.LBB2_4935:                             ;   in Loop: Header=BB2_4922 Depth=3
	s_or_b32 exec_lo, exec_lo, s73
	v_max_f32_e32 v75, v75, v75
	v_max_f32_e32 v74, v74, v74
	s_mov_b32 s17, 0
	v_max_f32_e32 v74, v74, v75
.LBB2_4936:                             ;   in Loop: Header=BB2_4922 Depth=3
	s_and_b32 vcc_lo, exec_lo, s17
	s_cbranch_vccz .LBB2_4950
; %bb.4937:                             ;   in Loop: Header=BB2_4922 Depth=3
	v_cmp_gt_i16_sdwa s73, v12, v102 src0_sel:BYTE_0 src1_sel:DWORD
	s_mov_b32 s17, 0
	s_and_saveexec_b32 s74, s73
	s_xor_b32 s73, exec_lo, s74
	s_cbranch_execz .LBB2_5500
; %bb.4938:                             ;   in Loop: Header=BB2_4922 Depth=3
	v_cmp_eq_u16_sdwa s75, v12, v103 src0_sel:BYTE_0 src1_sel:DWORD
	s_mov_b32 s17, -1
	s_and_saveexec_b32 s74, s75
; %bb.4939:                             ;   in Loop: Header=BB2_4922 Depth=3
	s_xor_b32 s17, exec_lo, -1
; %bb.4940:                             ;   in Loop: Header=BB2_4922 Depth=3
	s_or_b32 exec_lo, exec_lo, s74
	s_and_b32 s17, s17, exec_lo
	s_or_saveexec_b32 s73, s73
	v_mov_b32_e32 v74, 0x7f800001
	s_xor_b32 exec_lo, exec_lo, s73
	s_cbranch_execnz .LBB2_5501
.LBB2_4941:                             ;   in Loop: Header=BB2_4922 Depth=3
	s_or_b32 exec_lo, exec_lo, s73
	s_and_saveexec_b32 s73, s17
	s_cbranch_execz .LBB2_4943
.LBB2_4942:                             ;   in Loop: Header=BB2_4922 Depth=3
	v_and_b32_e32 v74, 7, v12
	v_bfe_u32 v77, v12, 3, 4
	v_lshlrev_b32_e32 v78, 24, v12
	v_ffbh_u32_e32 v75, v74
	v_cmp_eq_u32_e32 vcc_lo, 0, v77
	v_min_u32_e32 v75, 32, v75
	v_subrev_nc_u32_e32 v76, 28, v75
	v_sub_nc_u32_e32 v75, 29, v75
	v_lshlrev_b32_e32 v76, v76, v12
	v_cndmask_b32_e32 v75, v77, v75, vcc_lo
	v_and_b32_e32 v76, 7, v76
	v_lshl_add_u32 v75, v75, 23, 0x3b800000
	v_cndmask_b32_e32 v74, v74, v76, vcc_lo
	v_and_b32_e32 v76, 0x80000000, v78
	v_lshlrev_b32_e32 v74, 20, v74
	v_or3_b32 v74, v76, v75, v74
.LBB2_4943:                             ;   in Loop: Header=BB2_4922 Depth=3
	s_or_b32 exec_lo, exec_lo, s73
	v_cmp_gt_i16_sdwa s73, v8, v102 src0_sel:BYTE_0 src1_sel:DWORD
	s_mov_b32 s17, 0
	s_and_saveexec_b32 s74, s73
	s_xor_b32 s73, exec_lo, s74
	s_cbranch_execz .LBB2_5502
; %bb.4944:                             ;   in Loop: Header=BB2_4922 Depth=3
	v_cmp_eq_u16_sdwa s75, v8, v103 src0_sel:BYTE_0 src1_sel:DWORD
	s_mov_b32 s17, -1
	s_and_saveexec_b32 s74, s75
; %bb.4945:                             ;   in Loop: Header=BB2_4922 Depth=3
	s_xor_b32 s17, exec_lo, -1
; %bb.4946:                             ;   in Loop: Header=BB2_4922 Depth=3
	s_or_b32 exec_lo, exec_lo, s74
	s_and_b32 s17, s17, exec_lo
	s_or_saveexec_b32 s73, s73
	v_mov_b32_e32 v75, 0x7f800001
	s_xor_b32 exec_lo, exec_lo, s73
	s_cbranch_execnz .LBB2_5503
.LBB2_4947:                             ;   in Loop: Header=BB2_4922 Depth=3
	s_or_b32 exec_lo, exec_lo, s73
	s_and_saveexec_b32 s73, s17
.LBB2_4948:                             ;   in Loop: Header=BB2_4922 Depth=3
	v_mov_b32_e32 v75, v73
.LBB2_4949:                             ;   in Loop: Header=BB2_4922 Depth=3
	s_or_b32 exec_lo, exec_lo, s73
	v_max_f32_e32 v73, v75, v75
	v_max_f32_e32 v74, v74, v74
	v_min_f32_e32 v74, v74, v73
.LBB2_4950:                             ;   in Loop: Header=BB2_4922 Depth=3
	v_and_b32_e32 v73, 0x7f800000, v74
	v_cmp_ne_u32_e32 vcc_lo, 0x7f800000, v73
	v_mov_b32_e32 v73, 0x80
	s_and_saveexec_b32 s73, vcc_lo
	s_cbranch_execz .LBB2_4958
; %bb.4951:                             ;   in Loop: Header=BB2_4922 Depth=3
	v_mov_b32_e32 v73, 0
	s_mov_b32 s74, exec_lo
	v_cmpx_ne_u32_e32 0, v74
	s_cbranch_execz .LBB2_4957
; %bb.4952:                             ;   in Loop: Header=BB2_4922 Depth=3
	v_bfe_u32 v73, v74, 23, 8
	v_and_b32_e32 v75, 0x7fffff, v74
	v_sub_nc_u32_e32 v76, 0x78, v73
	v_cmp_gt_u32_e32 vcc_lo, 0x79, v73
	v_or_b32_e32 v77, 0x800000, v75
	v_cndmask_b32_e32 v76, 0, v76, vcc_lo
	v_cmp_eq_u32_e32 vcc_lo, 0, v73
	v_add_nc_u32_e32 v73, 0xffffff89, v73
	v_cndmask_b32_e64 v76, v76, 0x77, vcc_lo
	v_cndmask_b32_e32 v75, v77, v75, vcc_lo
	v_cndmask_b32_e64 v73, v73, 0xffffff8a, vcc_lo
	v_lshl_add_u32 v77, 0x100000, v76, -1
	v_lshrrev_b32_e32 v78, v76, v75
	v_lshlrev_b32_e64 v88, v76, 0x80000
	v_add_nc_u32_e32 v76, v76, v73
	v_and_b32_e32 v75, v77, v75
	v_bfe_u32 v79, v78, 20, 1
	v_cmp_eq_u32_e64 s17, v75, v88
	v_add_nc_u32_e32 v77, -1, v79
	v_cndmask_b32_e64 v75, 0, v77, s17
	v_lshrrev_b32_e32 v77, 23, v78
	s_mov_b32 s17, exec_lo
	v_add_nc_u32_e32 v75, v75, v78
	v_xor_b32_e32 v77, 1, v77
	v_and_b32_e32 v73, 0xfffff, v75
	v_add_nc_u32_e32 v75, v73, v78
                                        ; implicit-def: $vgpr73
	v_cmpx_ne_u32_e64 v76, v77
	s_xor_b32 s17, exec_lo, s17
; %bb.4953:                             ;   in Loop: Header=BB2_4922 Depth=3
	v_cmp_lt_u32_e32 vcc_lo, 0xffffff, v75
	v_sub_nc_u32_e32 v73, v76, v77
	v_cndmask_b32_e64 v76, 0, 1, vcc_lo
	v_add_co_ci_u32_e64 v73, null, 0, v73, vcc_lo
	v_lshrrev_b32_e32 v75, v76, v75
; %bb.4954:                             ;   in Loop: Header=BB2_4922 Depth=3
	s_andn2_saveexec_b32 s17, s17
; %bb.4955:                             ;   in Loop: Header=BB2_4922 Depth=3
	v_bfe_u32 v73, v75, 23, 1
; %bb.4956:                             ;   in Loop: Header=BB2_4922 Depth=3
	s_or_b32 exec_lo, exec_lo, s17
	v_lshrrev_b32_e32 v75, 20, v75
	v_min_i32_e32 v76, 15, v73
	v_cmp_gt_i32_e32 vcc_lo, 16, v73
	v_and_b32_sdwa v74, v74, v103 dst_sel:DWORD dst_unused:UNUSED_PAD src0_sel:BYTE_3 src1_sel:DWORD
	v_lshlrev_b32_e32 v76, 3, v76
	v_cndmask_b32_e32 v75, 7, v75, vcc_lo
	v_and_b32_e32 v76, 0xf8, v76
	v_and_b32_e32 v77, 7, v75
	v_or_b32_e32 v73, v73, v75
	v_or3_b32 v74, v76, v74, v77
	v_cmp_ne_u32_e32 vcc_lo, 0, v73
	v_cndmask_b32_e32 v73, 0, v74, vcc_lo
.LBB2_4957:                             ;   in Loop: Header=BB2_4922 Depth=3
	s_or_b32 exec_lo, exec_lo, s74
.LBB2_4958:                             ;   in Loop: Header=BB2_4922 Depth=3
	s_or_b32 exec_lo, exec_lo, s73
	v_and_b32_sdwa v74, v112, v8 dst_sel:DWORD dst_unused:UNUSED_PAD src0_sel:DWORD src1_sel:BYTE_1
	v_cmp_gt_i16_sdwa s73, v12, v102 src0_sel:BYTE_1 src1_sel:DWORD
	s_mov_b32 s17, -1
	v_and_b32_e32 v75, 7, v74
	v_bfe_u32 v78, v74, 3, 4
	v_ffbh_u32_e32 v76, v75
	v_cmp_eq_u32_e32 vcc_lo, 0, v78
	v_min_u32_e32 v76, 32, v76
	v_subrev_nc_u32_e32 v77, 28, v76
	v_sub_nc_u32_e32 v76, 29, v76
	v_lshlrev_b32_e32 v74, v77, v74
	v_lshlrev_b32_sdwa v77, v113, v8 dst_sel:DWORD dst_unused:UNUSED_PAD src0_sel:DWORD src1_sel:BYTE_1
	v_cndmask_b32_e32 v76, v78, v76, vcc_lo
	v_and_b32_e32 v74, 7, v74
	v_lshl_add_u32 v76, v76, 23, 0x3b800000
	v_cndmask_b32_e32 v74, v75, v74, vcc_lo
	v_and_b32_e32 v75, 0x80000000, v77
	s_and_b32 vcc_lo, exec_lo, s23
	v_lshlrev_b32_e32 v74, 20, v74
	v_or3_b32 v74, v75, v76, v74
                                        ; implicit-def: $vgpr75
	s_cbranch_vccz .LBB2_4972
; %bb.4959:                             ;   in Loop: Header=BB2_4922 Depth=3
	s_mov_b32 s17, 0
	s_and_saveexec_b32 s74, s73
	s_xor_b32 s73, exec_lo, s74
	s_cbranch_execz .LBB2_5504
; %bb.4960:                             ;   in Loop: Header=BB2_4922 Depth=3
	v_cmp_eq_u16_sdwa s75, v12, v103 src0_sel:BYTE_1 src1_sel:DWORD
	s_mov_b32 s17, -1
	s_and_saveexec_b32 s74, s75
; %bb.4961:                             ;   in Loop: Header=BB2_4922 Depth=3
	s_xor_b32 s17, exec_lo, -1
; %bb.4962:                             ;   in Loop: Header=BB2_4922 Depth=3
	s_or_b32 exec_lo, exec_lo, s74
	s_and_b32 s17, s17, exec_lo
	s_or_saveexec_b32 s73, s73
	v_mov_b32_e32 v75, 0x7f800001
	s_xor_b32 exec_lo, exec_lo, s73
	s_cbranch_execnz .LBB2_5505
.LBB2_4963:                             ;   in Loop: Header=BB2_4922 Depth=3
	s_or_b32 exec_lo, exec_lo, s73
	s_and_saveexec_b32 s73, s17
	s_cbranch_execz .LBB2_4965
.LBB2_4964:                             ;   in Loop: Header=BB2_4922 Depth=3
	v_and_b32_sdwa v75, v112, v12 dst_sel:DWORD dst_unused:UNUSED_PAD src0_sel:DWORD src1_sel:BYTE_1
	v_and_b32_e32 v76, 7, v75
	v_bfe_u32 v79, v75, 3, 4
	v_ffbh_u32_e32 v77, v76
	v_cmp_eq_u32_e32 vcc_lo, 0, v79
	v_min_u32_e32 v77, 32, v77
	v_subrev_nc_u32_e32 v78, 28, v77
	v_sub_nc_u32_e32 v77, 29, v77
	v_lshlrev_b32_e32 v75, v78, v75
	v_lshlrev_b32_e32 v78, 16, v12
	v_cndmask_b32_e32 v77, v79, v77, vcc_lo
	v_and_b32_e32 v75, 7, v75
	v_lshl_add_u32 v77, v77, 23, 0x3b800000
	v_cndmask_b32_e32 v75, v76, v75, vcc_lo
	v_and_b32_e32 v76, 0x80000000, v78
	v_lshlrev_b32_e32 v75, 20, v75
	v_or3_b32 v75, v76, v77, v75
.LBB2_4965:                             ;   in Loop: Header=BB2_4922 Depth=3
	s_or_b32 exec_lo, exec_lo, s73
	v_cmp_gt_i16_sdwa s73, v8, v102 src0_sel:BYTE_1 src1_sel:DWORD
	s_mov_b32 s17, 0
	s_and_saveexec_b32 s74, s73
	s_xor_b32 s73, exec_lo, s74
	s_cbranch_execz .LBB2_5506
; %bb.4966:                             ;   in Loop: Header=BB2_4922 Depth=3
	v_cmp_eq_u16_sdwa s75, v8, v103 src0_sel:BYTE_1 src1_sel:DWORD
	s_mov_b32 s17, -1
	s_and_saveexec_b32 s74, s75
; %bb.4967:                             ;   in Loop: Header=BB2_4922 Depth=3
	s_xor_b32 s17, exec_lo, -1
; %bb.4968:                             ;   in Loop: Header=BB2_4922 Depth=3
	s_or_b32 exec_lo, exec_lo, s74
	s_and_b32 s17, s17, exec_lo
	s_or_saveexec_b32 s73, s73
	v_mov_b32_e32 v76, 0x7f800001
	s_xor_b32 exec_lo, exec_lo, s73
	s_cbranch_execnz .LBB2_5507
.LBB2_4969:                             ;   in Loop: Header=BB2_4922 Depth=3
	s_or_b32 exec_lo, exec_lo, s73
	s_and_saveexec_b32 s73, s17
.LBB2_4970:                             ;   in Loop: Header=BB2_4922 Depth=3
	v_mov_b32_e32 v76, v74
.LBB2_4971:                             ;   in Loop: Header=BB2_4922 Depth=3
	s_or_b32 exec_lo, exec_lo, s73
	v_max_f32_e32 v76, v76, v76
	v_max_f32_e32 v75, v75, v75
	s_mov_b32 s17, 0
	v_max_f32_e32 v75, v75, v76
.LBB2_4972:                             ;   in Loop: Header=BB2_4922 Depth=3
	s_and_b32 vcc_lo, exec_lo, s17
	s_cbranch_vccz .LBB2_4986
; %bb.4973:                             ;   in Loop: Header=BB2_4922 Depth=3
	v_cmp_gt_i16_sdwa s73, v12, v102 src0_sel:BYTE_1 src1_sel:DWORD
	s_mov_b32 s17, 0
	s_and_saveexec_b32 s74, s73
	s_xor_b32 s73, exec_lo, s74
	s_cbranch_execz .LBB2_5508
; %bb.4974:                             ;   in Loop: Header=BB2_4922 Depth=3
	v_cmp_eq_u16_sdwa s75, v12, v103 src0_sel:BYTE_1 src1_sel:DWORD
	s_mov_b32 s17, -1
	s_and_saveexec_b32 s74, s75
; %bb.4975:                             ;   in Loop: Header=BB2_4922 Depth=3
	s_xor_b32 s17, exec_lo, -1
; %bb.4976:                             ;   in Loop: Header=BB2_4922 Depth=3
	s_or_b32 exec_lo, exec_lo, s74
	s_and_b32 s17, s17, exec_lo
	s_or_saveexec_b32 s73, s73
	v_mov_b32_e32 v75, 0x7f800001
	s_xor_b32 exec_lo, exec_lo, s73
	s_cbranch_execnz .LBB2_5509
.LBB2_4977:                             ;   in Loop: Header=BB2_4922 Depth=3
	s_or_b32 exec_lo, exec_lo, s73
	s_and_saveexec_b32 s73, s17
	s_cbranch_execz .LBB2_4979
.LBB2_4978:                             ;   in Loop: Header=BB2_4922 Depth=3
	v_and_b32_sdwa v75, v112, v12 dst_sel:DWORD dst_unused:UNUSED_PAD src0_sel:DWORD src1_sel:BYTE_1
	v_and_b32_e32 v76, 7, v75
	v_bfe_u32 v79, v75, 3, 4
	v_ffbh_u32_e32 v77, v76
	v_cmp_eq_u32_e32 vcc_lo, 0, v79
	v_min_u32_e32 v77, 32, v77
	v_subrev_nc_u32_e32 v78, 28, v77
	v_sub_nc_u32_e32 v77, 29, v77
	v_lshlrev_b32_e32 v75, v78, v75
	v_lshlrev_b32_e32 v78, 16, v12
	v_cndmask_b32_e32 v77, v79, v77, vcc_lo
	v_and_b32_e32 v75, 7, v75
	v_lshl_add_u32 v77, v77, 23, 0x3b800000
	v_cndmask_b32_e32 v75, v76, v75, vcc_lo
	v_and_b32_e32 v76, 0x80000000, v78
	v_lshlrev_b32_e32 v75, 20, v75
	v_or3_b32 v75, v76, v77, v75
.LBB2_4979:                             ;   in Loop: Header=BB2_4922 Depth=3
	s_or_b32 exec_lo, exec_lo, s73
	v_cmp_gt_i16_sdwa s73, v8, v102 src0_sel:BYTE_1 src1_sel:DWORD
	s_mov_b32 s17, 0
	s_and_saveexec_b32 s74, s73
	s_xor_b32 s73, exec_lo, s74
	s_cbranch_execz .LBB2_5510
; %bb.4980:                             ;   in Loop: Header=BB2_4922 Depth=3
	v_cmp_eq_u16_sdwa s75, v8, v103 src0_sel:BYTE_1 src1_sel:DWORD
	s_mov_b32 s17, -1
	s_and_saveexec_b32 s74, s75
; %bb.4981:                             ;   in Loop: Header=BB2_4922 Depth=3
	s_xor_b32 s17, exec_lo, -1
; %bb.4982:                             ;   in Loop: Header=BB2_4922 Depth=3
	s_or_b32 exec_lo, exec_lo, s74
	s_and_b32 s17, s17, exec_lo
	s_or_saveexec_b32 s73, s73
	v_mov_b32_e32 v76, 0x7f800001
	s_xor_b32 exec_lo, exec_lo, s73
	s_cbranch_execnz .LBB2_5511
.LBB2_4983:                             ;   in Loop: Header=BB2_4922 Depth=3
	s_or_b32 exec_lo, exec_lo, s73
	s_and_saveexec_b32 s73, s17
.LBB2_4984:                             ;   in Loop: Header=BB2_4922 Depth=3
	v_mov_b32_e32 v76, v74
.LBB2_4985:                             ;   in Loop: Header=BB2_4922 Depth=3
	s_or_b32 exec_lo, exec_lo, s73
	v_max_f32_e32 v74, v76, v76
	v_max_f32_e32 v75, v75, v75
	v_min_f32_e32 v75, v75, v74
.LBB2_4986:                             ;   in Loop: Header=BB2_4922 Depth=3
	v_and_b32_e32 v74, 0x7f800000, v75
	v_cmp_ne_u32_e32 vcc_lo, 0x7f800000, v74
	v_mov_b32_e32 v74, 0x8000
	s_and_saveexec_b32 s73, vcc_lo
	s_cbranch_execz .LBB2_4994
; %bb.4987:                             ;   in Loop: Header=BB2_4922 Depth=3
	v_mov_b32_e32 v74, 0
	s_mov_b32 s74, exec_lo
	v_cmpx_ne_u32_e32 0, v75
	s_cbranch_execz .LBB2_4993
; %bb.4988:                             ;   in Loop: Header=BB2_4922 Depth=3
	v_bfe_u32 v74, v75, 23, 8
	v_and_b32_e32 v76, 0x7fffff, v75
	v_sub_nc_u32_e32 v77, 0x78, v74
	v_cmp_gt_u32_e32 vcc_lo, 0x79, v74
	v_or_b32_e32 v78, 0x800000, v76
	v_cndmask_b32_e32 v77, 0, v77, vcc_lo
	v_cmp_eq_u32_e32 vcc_lo, 0, v74
	v_add_nc_u32_e32 v74, 0xffffff89, v74
	v_cndmask_b32_e64 v77, v77, 0x77, vcc_lo
	v_cndmask_b32_e32 v76, v78, v76, vcc_lo
	v_cndmask_b32_e64 v74, v74, 0xffffff8a, vcc_lo
	v_lshl_add_u32 v78, 0x100000, v77, -1
	v_lshrrev_b32_e32 v79, v77, v76
	v_lshlrev_b32_e64 v89, v77, 0x80000
	v_add_nc_u32_e32 v77, v77, v74
	v_and_b32_e32 v76, v78, v76
	v_bfe_u32 v88, v79, 20, 1
	v_cmp_eq_u32_e64 s17, v76, v89
	v_add_nc_u32_e32 v78, -1, v88
	v_cndmask_b32_e64 v76, 0, v78, s17
	v_lshrrev_b32_e32 v78, 23, v79
	s_mov_b32 s17, exec_lo
	v_add_nc_u32_e32 v76, v76, v79
	v_xor_b32_e32 v78, 1, v78
	v_and_b32_e32 v74, 0xfffff, v76
	v_add_nc_u32_e32 v76, v74, v79
                                        ; implicit-def: $vgpr74
	v_cmpx_ne_u32_e64 v77, v78
	s_xor_b32 s17, exec_lo, s17
; %bb.4989:                             ;   in Loop: Header=BB2_4922 Depth=3
	v_cmp_lt_u32_e32 vcc_lo, 0xffffff, v76
	v_sub_nc_u32_e32 v74, v77, v78
	v_cndmask_b32_e64 v77, 0, 1, vcc_lo
	v_add_co_ci_u32_e64 v74, null, 0, v74, vcc_lo
	v_lshrrev_b32_e32 v76, v77, v76
; %bb.4990:                             ;   in Loop: Header=BB2_4922 Depth=3
	s_andn2_saveexec_b32 s17, s17
; %bb.4991:                             ;   in Loop: Header=BB2_4922 Depth=3
	v_bfe_u32 v74, v76, 23, 1
; %bb.4992:                             ;   in Loop: Header=BB2_4922 Depth=3
	s_or_b32 exec_lo, exec_lo, s17
	v_lshrrev_b32_e32 v76, 20, v76
	v_min_i32_e32 v77, 15, v74
	v_cmp_gt_i32_e32 vcc_lo, 16, v74
	v_and_b32_sdwa v75, v75, v103 dst_sel:DWORD dst_unused:UNUSED_PAD src0_sel:BYTE_3 src1_sel:DWORD
	v_lshlrev_b32_e32 v77, 3, v77
	v_cndmask_b32_e32 v76, 7, v76, vcc_lo
	v_and_b32_e32 v77, 0xf8, v77
	v_and_b32_e32 v78, 7, v76
	v_or_b32_e32 v74, v74, v76
	v_or3_b32 v75, v75, v77, v78
	v_cmp_ne_u32_e32 vcc_lo, 0, v74
	v_lshlrev_b32_e32 v75, 8, v75
	v_cndmask_b32_e32 v74, 0, v75, vcc_lo
.LBB2_4993:                             ;   in Loop: Header=BB2_4922 Depth=3
	s_or_b32 exec_lo, exec_lo, s74
.LBB2_4994:                             ;   in Loop: Header=BB2_4922 Depth=3
	s_or_b32 exec_lo, exec_lo, s73
	v_bfe_u32 v75, v8, 16, 3
	v_bfe_u32 v78, v8, 19, 4
	v_lshlrev_b32_e32 v79, 8, v8
	s_mov_b32 s73, -1
	v_ffbh_u32_e32 v76, v75
	v_cmp_eq_u32_e32 vcc_lo, 0, v78
	v_min_u32_e32 v76, 32, v76
	v_subrev_nc_u32_e32 v77, 28, v76
	v_sub_nc_u32_e32 v76, 29, v76
	v_lshlrev_b32_sdwa v77, v77, v8 dst_sel:DWORD dst_unused:UNUSED_PAD src0_sel:DWORD src1_sel:WORD_1
	v_cndmask_b32_e32 v76, v78, v76, vcc_lo
	v_and_b32_e32 v77, 7, v77
	v_lshl_add_u32 v78, v76, 23, 0x3b800000
	v_and_b32_sdwa v76, v12, v114 dst_sel:DWORD dst_unused:UNUSED_PAD src0_sel:WORD_1 src1_sel:DWORD
	v_cndmask_b32_e32 v75, v75, v77, vcc_lo
	v_and_b32_e32 v77, 0x80000000, v79
	v_cmp_lt_i16_e64 s17, 0x7f, v76
	s_and_b32 vcc_lo, exec_lo, s23
	v_lshlrev_b32_e32 v75, 20, v75
	v_or3_b32 v75, v77, v78, v75
                                        ; implicit-def: $vgpr77
	s_cbranch_vccz .LBB2_5008
; %bb.4995:                             ;   in Loop: Header=BB2_4922 Depth=3
	s_mov_b32 s73, 0
	s_and_saveexec_b32 s74, s17
	s_xor_b32 s17, exec_lo, s74
	s_cbranch_execz .LBB2_5512
; %bb.4996:                             ;   in Loop: Header=BB2_4922 Depth=3
	s_mov_b32 s73, -1
	s_mov_b32 s74, exec_lo
	v_cmpx_eq_u16_e32 0x80, v76
; %bb.4997:                             ;   in Loop: Header=BB2_4922 Depth=3
	s_xor_b32 s73, exec_lo, -1
; %bb.4998:                             ;   in Loop: Header=BB2_4922 Depth=3
	s_or_b32 exec_lo, exec_lo, s74
	s_and_b32 s73, s73, exec_lo
	s_or_saveexec_b32 s17, s17
	v_mov_b32_e32 v77, 0x7f800001
	s_xor_b32 exec_lo, exec_lo, s17
	s_cbranch_execnz .LBB2_5513
.LBB2_4999:                             ;   in Loop: Header=BB2_4922 Depth=3
	s_or_b32 exec_lo, exec_lo, s17
	s_and_saveexec_b32 s17, s73
	s_cbranch_execz .LBB2_5001
.LBB2_5000:                             ;   in Loop: Header=BB2_4922 Depth=3
	v_bfe_u32 v77, v12, 16, 3
	v_bfe_u32 v88, v12, 19, 4
	v_lshlrev_b32_sdwa v89, v113, v12 dst_sel:DWORD dst_unused:UNUSED_PAD src0_sel:DWORD src1_sel:WORD_1
	v_ffbh_u32_e32 v78, v77
	v_cmp_eq_u32_e32 vcc_lo, 0, v88
	v_min_u32_e32 v78, 32, v78
	v_subrev_nc_u32_e32 v79, 28, v78
	v_sub_nc_u32_e32 v78, 29, v78
	v_lshlrev_b32_sdwa v79, v79, v12 dst_sel:DWORD dst_unused:UNUSED_PAD src0_sel:DWORD src1_sel:WORD_1
	v_cndmask_b32_e32 v78, v88, v78, vcc_lo
	v_and_b32_e32 v79, 7, v79
	v_lshl_add_u32 v78, v78, 23, 0x3b800000
	v_cndmask_b32_e32 v77, v77, v79, vcc_lo
	v_and_b32_e32 v79, 0x80000000, v89
	v_lshlrev_b32_e32 v77, 20, v77
	v_or3_b32 v77, v79, v78, v77
.LBB2_5001:                             ;   in Loop: Header=BB2_4922 Depth=3
	s_or_b32 exec_lo, exec_lo, s17
	v_and_b32_sdwa v79, v8, v114 dst_sel:DWORD dst_unused:UNUSED_PAD src0_sel:WORD_1 src1_sel:DWORD
	s_mov_b32 s17, 0
	s_mov_b32 s73, exec_lo
	v_cmpx_lt_i16_e32 0x7f, v79
	s_xor_b32 s73, exec_lo, s73
	s_cbranch_execz .LBB2_5514
; %bb.5002:                             ;   in Loop: Header=BB2_4922 Depth=3
	s_mov_b32 s17, -1
	s_mov_b32 s74, exec_lo
	v_cmpx_eq_u16_e32 0x80, v79
; %bb.5003:                             ;   in Loop: Header=BB2_4922 Depth=3
	s_xor_b32 s17, exec_lo, -1
; %bb.5004:                             ;   in Loop: Header=BB2_4922 Depth=3
	s_or_b32 exec_lo, exec_lo, s74
	s_and_b32 s17, s17, exec_lo
                                        ; implicit-def: $vgpr79
	s_or_saveexec_b32 s73, s73
	v_mov_b32_e32 v78, 0x7f800001
	s_xor_b32 exec_lo, exec_lo, s73
	s_cbranch_execnz .LBB2_5515
.LBB2_5005:                             ;   in Loop: Header=BB2_4922 Depth=3
	s_or_b32 exec_lo, exec_lo, s73
	s_and_saveexec_b32 s73, s17
.LBB2_5006:                             ;   in Loop: Header=BB2_4922 Depth=3
	v_mov_b32_e32 v78, v75
.LBB2_5007:                             ;   in Loop: Header=BB2_4922 Depth=3
	s_or_b32 exec_lo, exec_lo, s73
	v_max_f32_e32 v78, v78, v78
	v_max_f32_e32 v77, v77, v77
	s_mov_b32 s73, 0
	v_max_f32_e32 v77, v77, v78
.LBB2_5008:                             ;   in Loop: Header=BB2_4922 Depth=3
	s_and_b32 vcc_lo, exec_lo, s73
	s_cbranch_vccz .LBB2_5022
; %bb.5009:                             ;   in Loop: Header=BB2_4922 Depth=3
	s_mov_b32 s17, 0
	s_mov_b32 s73, exec_lo
	v_cmpx_lt_i16_e32 0x7f, v76
	s_xor_b32 s73, exec_lo, s73
	s_cbranch_execz .LBB2_5516
; %bb.5010:                             ;   in Loop: Header=BB2_4922 Depth=3
	s_mov_b32 s17, -1
	s_mov_b32 s74, exec_lo
	v_cmpx_eq_u16_e32 0x80, v76
; %bb.5011:                             ;   in Loop: Header=BB2_4922 Depth=3
	s_xor_b32 s17, exec_lo, -1
; %bb.5012:                             ;   in Loop: Header=BB2_4922 Depth=3
	s_or_b32 exec_lo, exec_lo, s74
	s_and_b32 s17, s17, exec_lo
                                        ; implicit-def: $vgpr76
	s_or_saveexec_b32 s73, s73
	v_mov_b32_e32 v77, 0x7f800001
	s_xor_b32 exec_lo, exec_lo, s73
	s_cbranch_execnz .LBB2_5517
.LBB2_5013:                             ;   in Loop: Header=BB2_4922 Depth=3
	s_or_b32 exec_lo, exec_lo, s73
	s_and_saveexec_b32 s73, s17
	s_cbranch_execz .LBB2_5015
.LBB2_5014:                             ;   in Loop: Header=BB2_4922 Depth=3
	v_bfe_u32 v76, v12, 16, 3
	v_bfe_u32 v79, v12, 19, 4
	v_lshlrev_b32_sdwa v88, v113, v12 dst_sel:DWORD dst_unused:UNUSED_PAD src0_sel:DWORD src1_sel:WORD_1
	v_ffbh_u32_e32 v77, v76
	v_cmp_eq_u32_e32 vcc_lo, 0, v79
	v_min_u32_e32 v77, 32, v77
	v_subrev_nc_u32_e32 v78, 28, v77
	v_sub_nc_u32_e32 v77, 29, v77
	v_lshlrev_b32_sdwa v78, v78, v12 dst_sel:DWORD dst_unused:UNUSED_PAD src0_sel:DWORD src1_sel:WORD_1
	v_cndmask_b32_e32 v77, v79, v77, vcc_lo
	v_and_b32_e32 v78, 7, v78
	v_lshl_add_u32 v77, v77, 23, 0x3b800000
	v_cndmask_b32_e32 v76, v76, v78, vcc_lo
	v_and_b32_e32 v78, 0x80000000, v88
	v_lshlrev_b32_e32 v76, 20, v76
	v_or3_b32 v77, v78, v77, v76
.LBB2_5015:                             ;   in Loop: Header=BB2_4922 Depth=3
	s_or_b32 exec_lo, exec_lo, s73
	v_and_b32_sdwa v78, v8, v114 dst_sel:DWORD dst_unused:UNUSED_PAD src0_sel:WORD_1 src1_sel:DWORD
	s_mov_b32 s17, 0
	s_mov_b32 s73, exec_lo
	v_cmpx_lt_i16_e32 0x7f, v78
	s_xor_b32 s73, exec_lo, s73
	s_cbranch_execz .LBB2_5518
; %bb.5016:                             ;   in Loop: Header=BB2_4922 Depth=3
	s_mov_b32 s17, -1
	s_mov_b32 s74, exec_lo
	v_cmpx_eq_u16_e32 0x80, v78
; %bb.5017:                             ;   in Loop: Header=BB2_4922 Depth=3
	s_xor_b32 s17, exec_lo, -1
; %bb.5018:                             ;   in Loop: Header=BB2_4922 Depth=3
	s_or_b32 exec_lo, exec_lo, s74
	s_and_b32 s17, s17, exec_lo
                                        ; implicit-def: $vgpr78
	s_or_saveexec_b32 s73, s73
	v_mov_b32_e32 v76, 0x7f800001
	s_xor_b32 exec_lo, exec_lo, s73
	s_cbranch_execnz .LBB2_5519
.LBB2_5019:                             ;   in Loop: Header=BB2_4922 Depth=3
	s_or_b32 exec_lo, exec_lo, s73
	s_and_saveexec_b32 s73, s17
.LBB2_5020:                             ;   in Loop: Header=BB2_4922 Depth=3
	v_mov_b32_e32 v76, v75
.LBB2_5021:                             ;   in Loop: Header=BB2_4922 Depth=3
	s_or_b32 exec_lo, exec_lo, s73
	v_max_f32_e32 v75, v76, v76
	v_max_f32_e32 v76, v77, v77
	v_min_f32_e32 v77, v76, v75
.LBB2_5022:                             ;   in Loop: Header=BB2_4922 Depth=3
	v_and_b32_e32 v75, 0x7f800000, v77
	v_cmp_ne_u32_e32 vcc_lo, 0x7f800000, v75
	v_mov_b32_e32 v75, 0x80
	s_and_saveexec_b32 s73, vcc_lo
	s_cbranch_execz .LBB2_5030
; %bb.5023:                             ;   in Loop: Header=BB2_4922 Depth=3
	v_mov_b32_e32 v75, 0
	s_mov_b32 s74, exec_lo
	v_cmpx_ne_u32_e32 0, v77
	s_cbranch_execz .LBB2_5029
; %bb.5024:                             ;   in Loop: Header=BB2_4922 Depth=3
	v_bfe_u32 v75, v77, 23, 8
	v_and_b32_e32 v76, 0x7fffff, v77
	v_sub_nc_u32_e32 v78, 0x78, v75
	v_cmp_gt_u32_e32 vcc_lo, 0x79, v75
	v_or_b32_e32 v79, 0x800000, v76
	v_cndmask_b32_e32 v78, 0, v78, vcc_lo
	v_cmp_eq_u32_e32 vcc_lo, 0, v75
	v_add_nc_u32_e32 v75, 0xffffff89, v75
	v_cndmask_b32_e64 v78, v78, 0x77, vcc_lo
	v_cndmask_b32_e32 v76, v79, v76, vcc_lo
	v_cndmask_b32_e64 v75, v75, 0xffffff8a, vcc_lo
	v_lshl_add_u32 v79, 0x100000, v78, -1
	v_lshrrev_b32_e32 v88, v78, v76
	v_lshlrev_b32_e64 v90, v78, 0x80000
	v_add_nc_u32_e32 v78, v78, v75
	v_and_b32_e32 v76, v79, v76
	v_bfe_u32 v89, v88, 20, 1
	v_cmp_eq_u32_e64 s17, v76, v90
	v_add_nc_u32_e32 v79, -1, v89
	v_cndmask_b32_e64 v76, 0, v79, s17
	v_lshrrev_b32_e32 v79, 23, v88
	s_mov_b32 s17, exec_lo
	v_add_nc_u32_e32 v76, v76, v88
	v_xor_b32_e32 v79, 1, v79
	v_and_b32_e32 v75, 0xfffff, v76
	v_add_nc_u32_e32 v76, v75, v88
                                        ; implicit-def: $vgpr75
	v_cmpx_ne_u32_e64 v78, v79
	s_xor_b32 s17, exec_lo, s17
; %bb.5025:                             ;   in Loop: Header=BB2_4922 Depth=3
	v_cmp_lt_u32_e32 vcc_lo, 0xffffff, v76
	v_sub_nc_u32_e32 v75, v78, v79
	v_cndmask_b32_e64 v78, 0, 1, vcc_lo
	v_add_co_ci_u32_e64 v75, null, 0, v75, vcc_lo
	v_lshrrev_b32_e32 v76, v78, v76
; %bb.5026:                             ;   in Loop: Header=BB2_4922 Depth=3
	s_andn2_saveexec_b32 s17, s17
; %bb.5027:                             ;   in Loop: Header=BB2_4922 Depth=3
	v_bfe_u32 v75, v76, 23, 1
; %bb.5028:                             ;   in Loop: Header=BB2_4922 Depth=3
	s_or_b32 exec_lo, exec_lo, s17
	v_lshrrev_b32_e32 v76, 20, v76
	v_min_i32_e32 v78, 15, v75
	v_cmp_gt_i32_e32 vcc_lo, 16, v75
	v_and_b32_sdwa v77, v77, v103 dst_sel:DWORD dst_unused:UNUSED_PAD src0_sel:BYTE_3 src1_sel:DWORD
	v_lshlrev_b32_e32 v78, 3, v78
	v_cndmask_b32_e32 v76, 7, v76, vcc_lo
	v_and_b32_e32 v78, 0xf8, v78
	v_and_b32_e32 v79, 7, v76
	v_or_b32_e32 v75, v75, v76
	v_or3_b32 v76, v78, v77, v79
	v_cmp_ne_u32_e32 vcc_lo, 0, v75
	v_cndmask_b32_e32 v75, 0, v76, vcc_lo
.LBB2_5029:                             ;   in Loop: Header=BB2_4922 Depth=3
	s_or_b32 exec_lo, exec_lo, s74
.LBB2_5030:                             ;   in Loop: Header=BB2_4922 Depth=3
	s_or_b32 exec_lo, exec_lo, s73
	v_bfe_u32 v76, v8, 24, 3
	v_bfe_u32 v79, v8, 27, 4
	v_cmp_gt_i16_sdwa s73, v12, v102 src0_sel:BYTE_3 src1_sel:DWORD
	s_mov_b32 s17, -1
	v_ffbh_u32_e32 v77, v76
	v_cmp_eq_u32_e32 vcc_lo, 0, v79
	v_min_u32_e32 v77, 32, v77
	v_subrev_nc_u32_e32 v78, 28, v77
	v_sub_nc_u32_e32 v77, 29, v77
	v_lshlrev_b32_sdwa v78, v78, v8 dst_sel:DWORD dst_unused:UNUSED_PAD src0_sel:DWORD src1_sel:BYTE_3
	v_cndmask_b32_e32 v77, v79, v77, vcc_lo
	v_and_b32_e32 v78, 7, v78
	v_lshl_add_u32 v77, v77, 23, 0x3b800000
	v_cndmask_b32_e32 v76, v76, v78, vcc_lo
	v_and_b32_e32 v78, 0x80000000, v8
	s_and_b32 vcc_lo, exec_lo, s23
	v_lshlrev_b32_e32 v76, 20, v76
	v_or3_b32 v76, v78, v77, v76
                                        ; implicit-def: $vgpr77
	s_cbranch_vccz .LBB2_5044
; %bb.5031:                             ;   in Loop: Header=BB2_4922 Depth=3
	s_mov_b32 s17, 0
	s_and_saveexec_b32 s74, s73
	s_xor_b32 s73, exec_lo, s74
	s_cbranch_execz .LBB2_5520
; %bb.5032:                             ;   in Loop: Header=BB2_4922 Depth=3
	v_cmp_eq_u16_sdwa s75, v12, v103 src0_sel:BYTE_3 src1_sel:DWORD
	s_mov_b32 s17, -1
	s_and_saveexec_b32 s74, s75
; %bb.5033:                             ;   in Loop: Header=BB2_4922 Depth=3
	s_xor_b32 s17, exec_lo, -1
; %bb.5034:                             ;   in Loop: Header=BB2_4922 Depth=3
	s_or_b32 exec_lo, exec_lo, s74
	s_and_b32 s17, s17, exec_lo
	s_or_saveexec_b32 s73, s73
	v_mov_b32_e32 v77, 0x7f800001
	s_xor_b32 exec_lo, exec_lo, s73
	s_cbranch_execnz .LBB2_5521
.LBB2_5035:                             ;   in Loop: Header=BB2_4922 Depth=3
	s_or_b32 exec_lo, exec_lo, s73
	s_and_saveexec_b32 s73, s17
	s_cbranch_execz .LBB2_5037
.LBB2_5036:                             ;   in Loop: Header=BB2_4922 Depth=3
	v_bfe_u32 v77, v12, 24, 3
	v_bfe_u32 v88, v12, 27, 4
	v_ffbh_u32_e32 v78, v77
	v_cmp_eq_u32_e32 vcc_lo, 0, v88
	v_min_u32_e32 v78, 32, v78
	v_subrev_nc_u32_e32 v79, 28, v78
	v_sub_nc_u32_e32 v78, 29, v78
	v_lshlrev_b32_sdwa v79, v79, v12 dst_sel:DWORD dst_unused:UNUSED_PAD src0_sel:DWORD src1_sel:BYTE_3
	v_cndmask_b32_e32 v78, v88, v78, vcc_lo
	v_and_b32_e32 v79, 7, v79
	v_lshl_add_u32 v78, v78, 23, 0x3b800000
	v_cndmask_b32_e32 v77, v77, v79, vcc_lo
	v_and_b32_e32 v79, 0x80000000, v12
	v_lshlrev_b32_e32 v77, 20, v77
	v_or3_b32 v77, v79, v78, v77
.LBB2_5037:                             ;   in Loop: Header=BB2_4922 Depth=3
	s_or_b32 exec_lo, exec_lo, s73
	v_cmp_gt_i16_sdwa s73, v8, v102 src0_sel:BYTE_3 src1_sel:DWORD
	s_mov_b32 s17, 0
	s_and_saveexec_b32 s74, s73
	s_xor_b32 s73, exec_lo, s74
	s_cbranch_execz .LBB2_5522
; %bb.5038:                             ;   in Loop: Header=BB2_4922 Depth=3
	v_cmp_eq_u16_sdwa s75, v8, v103 src0_sel:BYTE_3 src1_sel:DWORD
	s_mov_b32 s17, -1
	s_and_saveexec_b32 s74, s75
; %bb.5039:                             ;   in Loop: Header=BB2_4922 Depth=3
	s_xor_b32 s17, exec_lo, -1
; %bb.5040:                             ;   in Loop: Header=BB2_4922 Depth=3
	s_or_b32 exec_lo, exec_lo, s74
	s_and_b32 s17, s17, exec_lo
	s_or_saveexec_b32 s73, s73
	v_mov_b32_e32 v78, 0x7f800001
	s_xor_b32 exec_lo, exec_lo, s73
	s_cbranch_execnz .LBB2_5523
.LBB2_5041:                             ;   in Loop: Header=BB2_4922 Depth=3
	s_or_b32 exec_lo, exec_lo, s73
	s_and_saveexec_b32 s73, s17
.LBB2_5042:                             ;   in Loop: Header=BB2_4922 Depth=3
	v_mov_b32_e32 v78, v76
.LBB2_5043:                             ;   in Loop: Header=BB2_4922 Depth=3
	s_or_b32 exec_lo, exec_lo, s73
	v_max_f32_e32 v78, v78, v78
	v_max_f32_e32 v77, v77, v77
	s_mov_b32 s17, 0
	v_max_f32_e32 v77, v77, v78
.LBB2_5044:                             ;   in Loop: Header=BB2_4922 Depth=3
	s_and_b32 vcc_lo, exec_lo, s17
	s_cbranch_vccz .LBB2_5058
; %bb.5045:                             ;   in Loop: Header=BB2_4922 Depth=3
	v_cmp_gt_i16_sdwa s73, v12, v102 src0_sel:BYTE_3 src1_sel:DWORD
	s_mov_b32 s17, 0
	s_and_saveexec_b32 s74, s73
	s_xor_b32 s73, exec_lo, s74
	s_cbranch_execz .LBB2_5524
; %bb.5046:                             ;   in Loop: Header=BB2_4922 Depth=3
	v_cmp_eq_u16_sdwa s75, v12, v103 src0_sel:BYTE_3 src1_sel:DWORD
	s_mov_b32 s17, -1
	s_and_saveexec_b32 s74, s75
; %bb.5047:                             ;   in Loop: Header=BB2_4922 Depth=3
	s_xor_b32 s17, exec_lo, -1
; %bb.5048:                             ;   in Loop: Header=BB2_4922 Depth=3
	s_or_b32 exec_lo, exec_lo, s74
	s_and_b32 s17, s17, exec_lo
	s_or_saveexec_b32 s73, s73
	v_mov_b32_e32 v77, 0x7f800001
	s_xor_b32 exec_lo, exec_lo, s73
	s_cbranch_execnz .LBB2_5525
.LBB2_5049:                             ;   in Loop: Header=BB2_4922 Depth=3
	s_or_b32 exec_lo, exec_lo, s73
	s_and_saveexec_b32 s73, s17
	s_cbranch_execz .LBB2_5051
.LBB2_5050:                             ;   in Loop: Header=BB2_4922 Depth=3
	v_bfe_u32 v77, v12, 24, 3
	v_bfe_u32 v88, v12, 27, 4
	v_ffbh_u32_e32 v78, v77
	v_cmp_eq_u32_e32 vcc_lo, 0, v88
	v_min_u32_e32 v78, 32, v78
	v_subrev_nc_u32_e32 v79, 28, v78
	v_sub_nc_u32_e32 v78, 29, v78
	v_lshlrev_b32_sdwa v79, v79, v12 dst_sel:DWORD dst_unused:UNUSED_PAD src0_sel:DWORD src1_sel:BYTE_3
	v_cndmask_b32_e32 v78, v88, v78, vcc_lo
	v_and_b32_e32 v12, 0x80000000, v12
	v_and_b32_e32 v79, 7, v79
	v_lshl_add_u32 v78, v78, 23, 0x3b800000
	v_cndmask_b32_e32 v77, v77, v79, vcc_lo
	v_lshlrev_b32_e32 v77, 20, v77
	v_or3_b32 v77, v12, v78, v77
.LBB2_5051:                             ;   in Loop: Header=BB2_4922 Depth=3
	s_or_b32 exec_lo, exec_lo, s73
	v_cmp_gt_i16_sdwa s73, v8, v102 src0_sel:BYTE_3 src1_sel:DWORD
	s_mov_b32 s17, 0
	s_and_saveexec_b32 s74, s73
	s_xor_b32 s73, exec_lo, s74
	s_cbranch_execz .LBB2_5526
; %bb.5052:                             ;   in Loop: Header=BB2_4922 Depth=3
	v_cmp_eq_u16_sdwa s75, v8, v103 src0_sel:BYTE_3 src1_sel:DWORD
	s_mov_b32 s17, -1
	s_and_saveexec_b32 s74, s75
; %bb.5053:                             ;   in Loop: Header=BB2_4922 Depth=3
	s_xor_b32 s17, exec_lo, -1
; %bb.5054:                             ;   in Loop: Header=BB2_4922 Depth=3
	s_or_b32 exec_lo, exec_lo, s74
	s_and_b32 s17, s17, exec_lo
	s_or_saveexec_b32 s73, s73
	v_mov_b32_e32 v12, 0x7f800001
	s_xor_b32 exec_lo, exec_lo, s73
	s_cbranch_execnz .LBB2_5527
.LBB2_5055:                             ;   in Loop: Header=BB2_4922 Depth=3
	s_or_b32 exec_lo, exec_lo, s73
	s_and_saveexec_b32 s73, s17
.LBB2_5056:                             ;   in Loop: Header=BB2_4922 Depth=3
	v_mov_b32_e32 v12, v76
.LBB2_5057:                             ;   in Loop: Header=BB2_4922 Depth=3
	s_or_b32 exec_lo, exec_lo, s73
	v_max_f32_e32 v8, v12, v12
	v_max_f32_e32 v12, v77, v77
	v_min_f32_e32 v77, v12, v8
.LBB2_5058:                             ;   in Loop: Header=BB2_4922 Depth=3
	v_and_b32_e32 v8, 0x7f800000, v77
	v_mov_b32_e32 v12, 0x8000
	s_mov_b32 s73, exec_lo
	v_cmpx_ne_u32_e32 0x7f800000, v8
	s_cbranch_execz .LBB2_5066
; %bb.5059:                             ;   in Loop: Header=BB2_4922 Depth=3
	v_mov_b32_e32 v12, 0
	s_mov_b32 s74, exec_lo
	v_cmpx_ne_u32_e32 0, v77
	s_cbranch_execz .LBB2_5065
; %bb.5060:                             ;   in Loop: Header=BB2_4922 Depth=3
	v_bfe_u32 v8, v77, 23, 8
	v_and_b32_e32 v12, 0x7fffff, v77
	v_sub_nc_u32_e32 v76, 0x78, v8
	v_cmp_gt_u32_e32 vcc_lo, 0x79, v8
	v_or_b32_e32 v78, 0x800000, v12
	v_cndmask_b32_e32 v76, 0, v76, vcc_lo
	v_cmp_eq_u32_e32 vcc_lo, 0, v8
	v_add_nc_u32_e32 v8, 0xffffff89, v8
	v_cndmask_b32_e64 v76, v76, 0x77, vcc_lo
	v_cndmask_b32_e32 v12, v78, v12, vcc_lo
	v_cndmask_b32_e64 v8, v8, 0xffffff8a, vcc_lo
	v_lshl_add_u32 v78, 0x100000, v76, -1
	v_lshrrev_b32_e32 v79, v76, v12
	v_lshlrev_b32_e64 v89, v76, 0x80000
	v_add_nc_u32_e32 v76, v76, v8
	v_and_b32_e32 v12, v78, v12
	v_bfe_u32 v88, v79, 20, 1
	v_cmp_eq_u32_e64 s17, v12, v89
	v_add_nc_u32_e32 v78, -1, v88
	v_cndmask_b32_e64 v12, 0, v78, s17
	v_lshrrev_b32_e32 v78, 23, v79
	s_mov_b32 s17, exec_lo
	v_add_nc_u32_e32 v12, v12, v79
	v_xor_b32_e32 v78, 1, v78
	v_and_b32_e32 v8, 0xfffff, v12
	v_add_nc_u32_e32 v12, v8, v79
                                        ; implicit-def: $vgpr8
	v_cmpx_ne_u32_e64 v76, v78
	s_xor_b32 s17, exec_lo, s17
; %bb.5061:                             ;   in Loop: Header=BB2_4922 Depth=3
	v_cmp_lt_u32_e32 vcc_lo, 0xffffff, v12
	v_sub_nc_u32_e32 v8, v76, v78
	v_cndmask_b32_e64 v76, 0, 1, vcc_lo
	v_add_co_ci_u32_e64 v8, null, 0, v8, vcc_lo
	v_lshrrev_b32_e32 v12, v76, v12
; %bb.5062:                             ;   in Loop: Header=BB2_4922 Depth=3
	s_andn2_saveexec_b32 s17, s17
; %bb.5063:                             ;   in Loop: Header=BB2_4922 Depth=3
	v_bfe_u32 v8, v12, 23, 1
; %bb.5064:                             ;   in Loop: Header=BB2_4922 Depth=3
	s_or_b32 exec_lo, exec_lo, s17
	v_lshrrev_b32_e32 v12, 20, v12
	v_min_i32_e32 v76, 15, v8
	v_cmp_gt_i32_e32 vcc_lo, 16, v8
	v_and_b32_sdwa v77, v77, v103 dst_sel:DWORD dst_unused:UNUSED_PAD src0_sel:BYTE_3 src1_sel:DWORD
	v_lshlrev_b32_e32 v76, 3, v76
	v_cndmask_b32_e32 v12, 7, v12, vcc_lo
	v_and_b32_e32 v76, 0xf8, v76
	v_and_b32_e32 v78, 7, v12
	v_or_b32_e32 v8, v8, v12
	v_or3_b32 v76, v77, v76, v78
	v_cmp_ne_u32_e32 vcc_lo, 0, v8
	v_lshlrev_b32_e32 v12, 8, v76
	v_cndmask_b32_e32 v12, 0, v12, vcc_lo
.LBB2_5065:                             ;   in Loop: Header=BB2_4922 Depth=3
	s_or_b32 exec_lo, exec_lo, s74
.LBB2_5066:                             ;   in Loop: Header=BB2_4922 Depth=3
	s_or_b32 exec_lo, exec_lo, s73
	v_and_b32_e32 v8, 7, v9
	v_bfe_u32 v78, v9, 3, 4
	v_lshlrev_b32_e32 v79, 24, v9
	v_cmp_gt_i16_sdwa s73, v13, v102 src0_sel:BYTE_0 src1_sel:DWORD
	s_mov_b32 s17, -1
	v_ffbh_u32_e32 v76, v8
	v_cmp_eq_u32_e32 vcc_lo, 0, v78
	v_min_u32_e32 v76, 32, v76
	v_subrev_nc_u32_e32 v77, 28, v76
	v_sub_nc_u32_e32 v76, 29, v76
	v_lshlrev_b32_e32 v77, v77, v9
	v_cndmask_b32_e32 v76, v78, v76, vcc_lo
	v_and_b32_e32 v77, 7, v77
	v_lshl_add_u32 v76, v76, 23, 0x3b800000
	v_cndmask_b32_e32 v8, v8, v77, vcc_lo
	v_and_b32_e32 v77, 0x80000000, v79
	s_and_b32 vcc_lo, exec_lo, s23
	v_lshlrev_b32_e32 v8, 20, v8
	v_or3_b32 v8, v77, v76, v8
                                        ; implicit-def: $vgpr77
	s_cbranch_vccz .LBB2_5080
; %bb.5067:                             ;   in Loop: Header=BB2_4922 Depth=3
	s_mov_b32 s17, 0
	s_and_saveexec_b32 s74, s73
	s_xor_b32 s73, exec_lo, s74
	s_cbranch_execz .LBB2_5528
; %bb.5068:                             ;   in Loop: Header=BB2_4922 Depth=3
	v_cmp_eq_u16_sdwa s75, v13, v103 src0_sel:BYTE_0 src1_sel:DWORD
	s_mov_b32 s17, -1
	s_and_saveexec_b32 s74, s75
; %bb.5069:                             ;   in Loop: Header=BB2_4922 Depth=3
	s_xor_b32 s17, exec_lo, -1
; %bb.5070:                             ;   in Loop: Header=BB2_4922 Depth=3
	s_or_b32 exec_lo, exec_lo, s74
	s_and_b32 s17, s17, exec_lo
	s_or_saveexec_b32 s73, s73
	v_mov_b32_e32 v76, 0x7f800001
	s_xor_b32 exec_lo, exec_lo, s73
	s_cbranch_execnz .LBB2_5529
.LBB2_5071:                             ;   in Loop: Header=BB2_4922 Depth=3
	s_or_b32 exec_lo, exec_lo, s73
	s_and_saveexec_b32 s73, s17
	s_cbranch_execz .LBB2_5073
.LBB2_5072:                             ;   in Loop: Header=BB2_4922 Depth=3
	v_and_b32_e32 v76, 7, v13
	v_bfe_u32 v79, v13, 3, 4
	v_lshlrev_b32_e32 v88, 24, v13
	v_ffbh_u32_e32 v77, v76
	v_cmp_eq_u32_e32 vcc_lo, 0, v79
	v_min_u32_e32 v77, 32, v77
	v_subrev_nc_u32_e32 v78, 28, v77
	v_sub_nc_u32_e32 v77, 29, v77
	v_lshlrev_b32_e32 v78, v78, v13
	v_cndmask_b32_e32 v77, v79, v77, vcc_lo
	v_and_b32_e32 v78, 7, v78
	v_lshl_add_u32 v77, v77, 23, 0x3b800000
	v_cndmask_b32_e32 v76, v76, v78, vcc_lo
	v_and_b32_e32 v78, 0x80000000, v88
	v_lshlrev_b32_e32 v76, 20, v76
	v_or3_b32 v76, v78, v77, v76
.LBB2_5073:                             ;   in Loop: Header=BB2_4922 Depth=3
	s_or_b32 exec_lo, exec_lo, s73
	v_cmp_gt_i16_sdwa s73, v9, v102 src0_sel:BYTE_0 src1_sel:DWORD
	s_mov_b32 s17, 0
	s_and_saveexec_b32 s74, s73
	s_xor_b32 s73, exec_lo, s74
	s_cbranch_execz .LBB2_5530
; %bb.5074:                             ;   in Loop: Header=BB2_4922 Depth=3
	v_cmp_eq_u16_sdwa s75, v9, v103 src0_sel:BYTE_0 src1_sel:DWORD
	s_mov_b32 s17, -1
	s_and_saveexec_b32 s74, s75
; %bb.5075:                             ;   in Loop: Header=BB2_4922 Depth=3
	s_xor_b32 s17, exec_lo, -1
; %bb.5076:                             ;   in Loop: Header=BB2_4922 Depth=3
	s_or_b32 exec_lo, exec_lo, s74
	s_and_b32 s17, s17, exec_lo
	s_or_saveexec_b32 s73, s73
	v_mov_b32_e32 v77, 0x7f800001
	s_xor_b32 exec_lo, exec_lo, s73
	s_cbranch_execnz .LBB2_5531
.LBB2_5077:                             ;   in Loop: Header=BB2_4922 Depth=3
	s_or_b32 exec_lo, exec_lo, s73
	s_and_saveexec_b32 s73, s17
.LBB2_5078:                             ;   in Loop: Header=BB2_4922 Depth=3
	v_mov_b32_e32 v77, v8
.LBB2_5079:                             ;   in Loop: Header=BB2_4922 Depth=3
	s_or_b32 exec_lo, exec_lo, s73
	v_max_f32_e32 v77, v77, v77
	v_max_f32_e32 v76, v76, v76
	s_mov_b32 s17, 0
	v_max_f32_e32 v77, v76, v77
.LBB2_5080:                             ;   in Loop: Header=BB2_4922 Depth=3
	s_and_b32 vcc_lo, exec_lo, s17
	s_cbranch_vccz .LBB2_5094
; %bb.5081:                             ;   in Loop: Header=BB2_4922 Depth=3
	v_cmp_gt_i16_sdwa s73, v13, v102 src0_sel:BYTE_0 src1_sel:DWORD
	s_mov_b32 s17, 0
	s_and_saveexec_b32 s74, s73
	s_xor_b32 s73, exec_lo, s74
	s_cbranch_execz .LBB2_5532
; %bb.5082:                             ;   in Loop: Header=BB2_4922 Depth=3
	v_cmp_eq_u16_sdwa s75, v13, v103 src0_sel:BYTE_0 src1_sel:DWORD
	s_mov_b32 s17, -1
	s_and_saveexec_b32 s74, s75
; %bb.5083:                             ;   in Loop: Header=BB2_4922 Depth=3
	s_xor_b32 s17, exec_lo, -1
; %bb.5084:                             ;   in Loop: Header=BB2_4922 Depth=3
	s_or_b32 exec_lo, exec_lo, s74
	s_and_b32 s17, s17, exec_lo
	s_or_saveexec_b32 s73, s73
	v_mov_b32_e32 v76, 0x7f800001
	s_xor_b32 exec_lo, exec_lo, s73
	s_cbranch_execnz .LBB2_5533
.LBB2_5085:                             ;   in Loop: Header=BB2_4922 Depth=3
	s_or_b32 exec_lo, exec_lo, s73
	s_and_saveexec_b32 s73, s17
	s_cbranch_execz .LBB2_5087
.LBB2_5086:                             ;   in Loop: Header=BB2_4922 Depth=3
	v_and_b32_e32 v76, 7, v13
	v_bfe_u32 v79, v13, 3, 4
	v_lshlrev_b32_e32 v88, 24, v13
	v_ffbh_u32_e32 v77, v76
	v_cmp_eq_u32_e32 vcc_lo, 0, v79
	v_min_u32_e32 v77, 32, v77
	v_subrev_nc_u32_e32 v78, 28, v77
	v_sub_nc_u32_e32 v77, 29, v77
	v_lshlrev_b32_e32 v78, v78, v13
	v_cndmask_b32_e32 v77, v79, v77, vcc_lo
	v_and_b32_e32 v78, 7, v78
	v_lshl_add_u32 v77, v77, 23, 0x3b800000
	v_cndmask_b32_e32 v76, v76, v78, vcc_lo
	v_and_b32_e32 v78, 0x80000000, v88
	v_lshlrev_b32_e32 v76, 20, v76
	v_or3_b32 v76, v78, v77, v76
.LBB2_5087:                             ;   in Loop: Header=BB2_4922 Depth=3
	s_or_b32 exec_lo, exec_lo, s73
	v_cmp_gt_i16_sdwa s73, v9, v102 src0_sel:BYTE_0 src1_sel:DWORD
	s_mov_b32 s17, 0
	s_and_saveexec_b32 s74, s73
	s_xor_b32 s73, exec_lo, s74
	s_cbranch_execz .LBB2_5534
; %bb.5088:                             ;   in Loop: Header=BB2_4922 Depth=3
	v_cmp_eq_u16_sdwa s75, v9, v103 src0_sel:BYTE_0 src1_sel:DWORD
	s_mov_b32 s17, -1
	s_and_saveexec_b32 s74, s75
; %bb.5089:                             ;   in Loop: Header=BB2_4922 Depth=3
	s_xor_b32 s17, exec_lo, -1
; %bb.5090:                             ;   in Loop: Header=BB2_4922 Depth=3
	s_or_b32 exec_lo, exec_lo, s74
	s_and_b32 s17, s17, exec_lo
	s_or_saveexec_b32 s73, s73
	v_mov_b32_e32 v77, 0x7f800001
	s_xor_b32 exec_lo, exec_lo, s73
	s_cbranch_execnz .LBB2_5535
.LBB2_5091:                             ;   in Loop: Header=BB2_4922 Depth=3
	s_or_b32 exec_lo, exec_lo, s73
	s_and_saveexec_b32 s73, s17
.LBB2_5092:                             ;   in Loop: Header=BB2_4922 Depth=3
	v_mov_b32_e32 v77, v8
.LBB2_5093:                             ;   in Loop: Header=BB2_4922 Depth=3
	s_or_b32 exec_lo, exec_lo, s73
	v_max_f32_e32 v8, v77, v77
	v_max_f32_e32 v76, v76, v76
	v_min_f32_e32 v77, v76, v8
.LBB2_5094:                             ;   in Loop: Header=BB2_4922 Depth=3
	v_and_b32_e32 v8, 0x7f800000, v77
	v_mov_b32_e32 v76, 0x80
	s_mov_b32 s73, exec_lo
	v_cmpx_ne_u32_e32 0x7f800000, v8
	s_cbranch_execz .LBB2_5102
; %bb.5095:                             ;   in Loop: Header=BB2_4922 Depth=3
	v_mov_b32_e32 v76, 0
	s_mov_b32 s74, exec_lo
	v_cmpx_ne_u32_e32 0, v77
	s_cbranch_execz .LBB2_5101
; %bb.5096:                             ;   in Loop: Header=BB2_4922 Depth=3
	v_bfe_u32 v8, v77, 23, 8
	v_and_b32_e32 v76, 0x7fffff, v77
	v_sub_nc_u32_e32 v78, 0x78, v8
	v_cmp_gt_u32_e32 vcc_lo, 0x79, v8
	v_or_b32_e32 v79, 0x800000, v76
	v_cndmask_b32_e32 v78, 0, v78, vcc_lo
	v_cmp_eq_u32_e32 vcc_lo, 0, v8
	v_add_nc_u32_e32 v8, 0xffffff89, v8
	v_cndmask_b32_e64 v78, v78, 0x77, vcc_lo
	v_cndmask_b32_e32 v76, v79, v76, vcc_lo
	v_cndmask_b32_e64 v8, v8, 0xffffff8a, vcc_lo
	v_lshl_add_u32 v79, 0x100000, v78, -1
	v_lshrrev_b32_e32 v88, v78, v76
	v_lshlrev_b32_e64 v90, v78, 0x80000
	v_add_nc_u32_e32 v78, v78, v8
	v_and_b32_e32 v76, v79, v76
	v_bfe_u32 v89, v88, 20, 1
	v_cmp_eq_u32_e64 s17, v76, v90
	v_add_nc_u32_e32 v79, -1, v89
	v_cndmask_b32_e64 v76, 0, v79, s17
	v_lshrrev_b32_e32 v79, 23, v88
	s_mov_b32 s17, exec_lo
	v_add_nc_u32_e32 v76, v76, v88
	v_xor_b32_e32 v79, 1, v79
	v_and_b32_e32 v8, 0xfffff, v76
	v_add_nc_u32_e32 v76, v8, v88
                                        ; implicit-def: $vgpr8
	v_cmpx_ne_u32_e64 v78, v79
	s_xor_b32 s17, exec_lo, s17
; %bb.5097:                             ;   in Loop: Header=BB2_4922 Depth=3
	v_cmp_lt_u32_e32 vcc_lo, 0xffffff, v76
	v_sub_nc_u32_e32 v8, v78, v79
	v_cndmask_b32_e64 v78, 0, 1, vcc_lo
	v_add_co_ci_u32_e64 v8, null, 0, v8, vcc_lo
	v_lshrrev_b32_e32 v76, v78, v76
; %bb.5098:                             ;   in Loop: Header=BB2_4922 Depth=3
	s_andn2_saveexec_b32 s17, s17
; %bb.5099:                             ;   in Loop: Header=BB2_4922 Depth=3
	v_bfe_u32 v8, v76, 23, 1
; %bb.5100:                             ;   in Loop: Header=BB2_4922 Depth=3
	s_or_b32 exec_lo, exec_lo, s17
	v_lshrrev_b32_e32 v76, 20, v76
	v_min_i32_e32 v78, 15, v8
	v_cmp_gt_i32_e32 vcc_lo, 16, v8
	v_and_b32_sdwa v77, v77, v103 dst_sel:DWORD dst_unused:UNUSED_PAD src0_sel:BYTE_3 src1_sel:DWORD
	v_lshlrev_b32_e32 v78, 3, v78
	v_cndmask_b32_e32 v76, 7, v76, vcc_lo
	v_and_b32_e32 v78, 0xf8, v78
	v_and_b32_e32 v79, 7, v76
	v_or_b32_e32 v8, v8, v76
	v_or3_b32 v76, v78, v77, v79
	v_cmp_ne_u32_e32 vcc_lo, 0, v8
	v_cndmask_b32_e32 v76, 0, v76, vcc_lo
.LBB2_5101:                             ;   in Loop: Header=BB2_4922 Depth=3
	s_or_b32 exec_lo, exec_lo, s74
.LBB2_5102:                             ;   in Loop: Header=BB2_4922 Depth=3
	s_or_b32 exec_lo, exec_lo, s73
	v_and_b32_sdwa v8, v112, v9 dst_sel:DWORD dst_unused:UNUSED_PAD src0_sel:DWORD src1_sel:BYTE_1
	v_cmp_gt_i16_sdwa s73, v13, v102 src0_sel:BYTE_1 src1_sel:DWORD
	s_mov_b32 s17, -1
	v_and_b32_e32 v77, 7, v8
	v_bfe_u32 v88, v8, 3, 4
	v_ffbh_u32_e32 v78, v77
	v_cmp_eq_u32_e32 vcc_lo, 0, v88
	v_min_u32_e32 v78, 32, v78
	v_subrev_nc_u32_e32 v79, 28, v78
	v_sub_nc_u32_e32 v78, 29, v78
	v_lshlrev_b32_e32 v8, v79, v8
	v_lshlrev_b32_sdwa v79, v113, v9 dst_sel:DWORD dst_unused:UNUSED_PAD src0_sel:DWORD src1_sel:BYTE_1
	v_cndmask_b32_e32 v78, v88, v78, vcc_lo
	v_and_b32_e32 v8, 7, v8
	v_lshl_add_u32 v78, v78, 23, 0x3b800000
	v_cndmask_b32_e32 v8, v77, v8, vcc_lo
	v_and_b32_e32 v77, 0x80000000, v79
	s_and_b32 vcc_lo, exec_lo, s23
	v_lshlrev_b32_e32 v8, 20, v8
	v_or3_b32 v8, v77, v78, v8
                                        ; implicit-def: $vgpr78
	s_cbranch_vccz .LBB2_5116
; %bb.5103:                             ;   in Loop: Header=BB2_4922 Depth=3
	s_mov_b32 s17, 0
	s_and_saveexec_b32 s74, s73
	s_xor_b32 s73, exec_lo, s74
	s_cbranch_execz .LBB2_5536
; %bb.5104:                             ;   in Loop: Header=BB2_4922 Depth=3
	v_cmp_eq_u16_sdwa s75, v13, v103 src0_sel:BYTE_1 src1_sel:DWORD
	s_mov_b32 s17, -1
	s_and_saveexec_b32 s74, s75
; %bb.5105:                             ;   in Loop: Header=BB2_4922 Depth=3
	s_xor_b32 s17, exec_lo, -1
; %bb.5106:                             ;   in Loop: Header=BB2_4922 Depth=3
	s_or_b32 exec_lo, exec_lo, s74
	s_and_b32 s17, s17, exec_lo
	s_or_saveexec_b32 s73, s73
	v_mov_b32_e32 v77, 0x7f800001
	s_xor_b32 exec_lo, exec_lo, s73
	s_cbranch_execnz .LBB2_5537
.LBB2_5107:                             ;   in Loop: Header=BB2_4922 Depth=3
	s_or_b32 exec_lo, exec_lo, s73
	s_and_saveexec_b32 s73, s17
	s_cbranch_execz .LBB2_5109
.LBB2_5108:                             ;   in Loop: Header=BB2_4922 Depth=3
	v_and_b32_sdwa v77, v112, v13 dst_sel:DWORD dst_unused:UNUSED_PAD src0_sel:DWORD src1_sel:BYTE_1
	v_and_b32_e32 v78, 7, v77
	v_bfe_u32 v89, v77, 3, 4
	v_ffbh_u32_e32 v79, v78
	v_cmp_eq_u32_e32 vcc_lo, 0, v89
	v_min_u32_e32 v79, 32, v79
	v_subrev_nc_u32_e32 v88, 28, v79
	v_sub_nc_u32_e32 v79, 29, v79
	v_lshlrev_b32_e32 v77, v88, v77
	v_lshlrev_b32_e32 v88, 16, v13
	v_cndmask_b32_e32 v79, v89, v79, vcc_lo
	v_and_b32_e32 v77, 7, v77
	v_lshl_add_u32 v79, v79, 23, 0x3b800000
	v_cndmask_b32_e32 v77, v78, v77, vcc_lo
	v_and_b32_e32 v78, 0x80000000, v88
	v_lshlrev_b32_e32 v77, 20, v77
	v_or3_b32 v77, v78, v79, v77
.LBB2_5109:                             ;   in Loop: Header=BB2_4922 Depth=3
	s_or_b32 exec_lo, exec_lo, s73
	v_cmp_gt_i16_sdwa s73, v9, v102 src0_sel:BYTE_1 src1_sel:DWORD
	s_mov_b32 s17, 0
	s_and_saveexec_b32 s74, s73
	s_xor_b32 s73, exec_lo, s74
	s_cbranch_execz .LBB2_5538
; %bb.5110:                             ;   in Loop: Header=BB2_4922 Depth=3
	v_cmp_eq_u16_sdwa s75, v9, v103 src0_sel:BYTE_1 src1_sel:DWORD
	s_mov_b32 s17, -1
	s_and_saveexec_b32 s74, s75
; %bb.5111:                             ;   in Loop: Header=BB2_4922 Depth=3
	s_xor_b32 s17, exec_lo, -1
; %bb.5112:                             ;   in Loop: Header=BB2_4922 Depth=3
	s_or_b32 exec_lo, exec_lo, s74
	s_and_b32 s17, s17, exec_lo
	s_or_saveexec_b32 s73, s73
	v_mov_b32_e32 v78, 0x7f800001
	s_xor_b32 exec_lo, exec_lo, s73
	s_cbranch_execnz .LBB2_5539
.LBB2_5113:                             ;   in Loop: Header=BB2_4922 Depth=3
	s_or_b32 exec_lo, exec_lo, s73
	s_and_saveexec_b32 s73, s17
.LBB2_5114:                             ;   in Loop: Header=BB2_4922 Depth=3
	v_mov_b32_e32 v78, v8
.LBB2_5115:                             ;   in Loop: Header=BB2_4922 Depth=3
	s_or_b32 exec_lo, exec_lo, s73
	v_max_f32_e32 v78, v78, v78
	v_max_f32_e32 v77, v77, v77
	s_mov_b32 s17, 0
	v_max_f32_e32 v78, v77, v78
.LBB2_5116:                             ;   in Loop: Header=BB2_4922 Depth=3
	s_and_b32 vcc_lo, exec_lo, s17
	s_cbranch_vccz .LBB2_5130
; %bb.5117:                             ;   in Loop: Header=BB2_4922 Depth=3
	v_cmp_gt_i16_sdwa s73, v13, v102 src0_sel:BYTE_1 src1_sel:DWORD
	s_mov_b32 s17, 0
	s_and_saveexec_b32 s74, s73
	s_xor_b32 s73, exec_lo, s74
	s_cbranch_execz .LBB2_5540
; %bb.5118:                             ;   in Loop: Header=BB2_4922 Depth=3
	v_cmp_eq_u16_sdwa s75, v13, v103 src0_sel:BYTE_1 src1_sel:DWORD
	s_mov_b32 s17, -1
	s_and_saveexec_b32 s74, s75
; %bb.5119:                             ;   in Loop: Header=BB2_4922 Depth=3
	s_xor_b32 s17, exec_lo, -1
; %bb.5120:                             ;   in Loop: Header=BB2_4922 Depth=3
	s_or_b32 exec_lo, exec_lo, s74
	s_and_b32 s17, s17, exec_lo
	s_or_saveexec_b32 s73, s73
	v_mov_b32_e32 v77, 0x7f800001
	s_xor_b32 exec_lo, exec_lo, s73
	s_cbranch_execnz .LBB2_5541
.LBB2_5121:                             ;   in Loop: Header=BB2_4922 Depth=3
	s_or_b32 exec_lo, exec_lo, s73
	s_and_saveexec_b32 s73, s17
	s_cbranch_execz .LBB2_5123
.LBB2_5122:                             ;   in Loop: Header=BB2_4922 Depth=3
	v_and_b32_sdwa v77, v112, v13 dst_sel:DWORD dst_unused:UNUSED_PAD src0_sel:DWORD src1_sel:BYTE_1
	v_and_b32_e32 v78, 7, v77
	v_bfe_u32 v89, v77, 3, 4
	v_ffbh_u32_e32 v79, v78
	v_cmp_eq_u32_e32 vcc_lo, 0, v89
	v_min_u32_e32 v79, 32, v79
	v_subrev_nc_u32_e32 v88, 28, v79
	v_sub_nc_u32_e32 v79, 29, v79
	v_lshlrev_b32_e32 v77, v88, v77
	v_lshlrev_b32_e32 v88, 16, v13
	v_cndmask_b32_e32 v79, v89, v79, vcc_lo
	v_and_b32_e32 v77, 7, v77
	v_lshl_add_u32 v79, v79, 23, 0x3b800000
	v_cndmask_b32_e32 v77, v78, v77, vcc_lo
	v_and_b32_e32 v78, 0x80000000, v88
	v_lshlrev_b32_e32 v77, 20, v77
	v_or3_b32 v77, v78, v79, v77
.LBB2_5123:                             ;   in Loop: Header=BB2_4922 Depth=3
	s_or_b32 exec_lo, exec_lo, s73
	v_cmp_gt_i16_sdwa s73, v9, v102 src0_sel:BYTE_1 src1_sel:DWORD
	s_mov_b32 s17, 0
	s_and_saveexec_b32 s74, s73
	s_xor_b32 s73, exec_lo, s74
	s_cbranch_execz .LBB2_5542
; %bb.5124:                             ;   in Loop: Header=BB2_4922 Depth=3
	v_cmp_eq_u16_sdwa s75, v9, v103 src0_sel:BYTE_1 src1_sel:DWORD
	s_mov_b32 s17, -1
	s_and_saveexec_b32 s74, s75
; %bb.5125:                             ;   in Loop: Header=BB2_4922 Depth=3
	s_xor_b32 s17, exec_lo, -1
; %bb.5126:                             ;   in Loop: Header=BB2_4922 Depth=3
	s_or_b32 exec_lo, exec_lo, s74
	s_and_b32 s17, s17, exec_lo
	s_or_saveexec_b32 s73, s73
	v_mov_b32_e32 v78, 0x7f800001
	s_xor_b32 exec_lo, exec_lo, s73
	s_cbranch_execnz .LBB2_5543
.LBB2_5127:                             ;   in Loop: Header=BB2_4922 Depth=3
	s_or_b32 exec_lo, exec_lo, s73
	s_and_saveexec_b32 s73, s17
.LBB2_5128:                             ;   in Loop: Header=BB2_4922 Depth=3
	v_mov_b32_e32 v78, v8
.LBB2_5129:                             ;   in Loop: Header=BB2_4922 Depth=3
	s_or_b32 exec_lo, exec_lo, s73
	v_max_f32_e32 v8, v78, v78
	v_max_f32_e32 v77, v77, v77
	v_min_f32_e32 v78, v77, v8
.LBB2_5130:                             ;   in Loop: Header=BB2_4922 Depth=3
	v_and_b32_e32 v8, 0x7f800000, v78
	v_mov_b32_e32 v77, 0x8000
	s_mov_b32 s73, exec_lo
	v_cmpx_ne_u32_e32 0x7f800000, v8
	s_cbranch_execz .LBB2_5138
; %bb.5131:                             ;   in Loop: Header=BB2_4922 Depth=3
	v_mov_b32_e32 v77, 0
	s_mov_b32 s74, exec_lo
	v_cmpx_ne_u32_e32 0, v78
	s_cbranch_execz .LBB2_5137
; %bb.5132:                             ;   in Loop: Header=BB2_4922 Depth=3
	v_bfe_u32 v8, v78, 23, 8
	v_and_b32_e32 v77, 0x7fffff, v78
	v_sub_nc_u32_e32 v79, 0x78, v8
	v_cmp_gt_u32_e32 vcc_lo, 0x79, v8
	v_or_b32_e32 v88, 0x800000, v77
	v_cndmask_b32_e32 v79, 0, v79, vcc_lo
	v_cmp_eq_u32_e32 vcc_lo, 0, v8
	v_add_nc_u32_e32 v8, 0xffffff89, v8
	v_cndmask_b32_e64 v79, v79, 0x77, vcc_lo
	v_cndmask_b32_e32 v77, v88, v77, vcc_lo
	v_cndmask_b32_e64 v8, v8, 0xffffff8a, vcc_lo
	v_lshl_add_u32 v88, 0x100000, v79, -1
	v_lshrrev_b32_e32 v89, v79, v77
	v_lshlrev_b32_e64 v91, v79, 0x80000
	v_add_nc_u32_e32 v79, v79, v8
	v_and_b32_e32 v77, v88, v77
	v_bfe_u32 v90, v89, 20, 1
	v_cmp_eq_u32_e64 s17, v77, v91
	v_add_nc_u32_e32 v88, -1, v90
	v_cndmask_b32_e64 v77, 0, v88, s17
	v_lshrrev_b32_e32 v88, 23, v89
	s_mov_b32 s17, exec_lo
	v_add_nc_u32_e32 v77, v77, v89
	v_xor_b32_e32 v88, 1, v88
	v_and_b32_e32 v8, 0xfffff, v77
	v_add_nc_u32_e32 v77, v8, v89
                                        ; implicit-def: $vgpr8
	v_cmpx_ne_u32_e64 v79, v88
	s_xor_b32 s17, exec_lo, s17
; %bb.5133:                             ;   in Loop: Header=BB2_4922 Depth=3
	v_cmp_lt_u32_e32 vcc_lo, 0xffffff, v77
	v_sub_nc_u32_e32 v8, v79, v88
	v_cndmask_b32_e64 v79, 0, 1, vcc_lo
	v_add_co_ci_u32_e64 v8, null, 0, v8, vcc_lo
	v_lshrrev_b32_e32 v77, v79, v77
; %bb.5134:                             ;   in Loop: Header=BB2_4922 Depth=3
	s_andn2_saveexec_b32 s17, s17
; %bb.5135:                             ;   in Loop: Header=BB2_4922 Depth=3
	v_bfe_u32 v8, v77, 23, 1
; %bb.5136:                             ;   in Loop: Header=BB2_4922 Depth=3
	s_or_b32 exec_lo, exec_lo, s17
	v_lshrrev_b32_e32 v77, 20, v77
	v_min_i32_e32 v79, 15, v8
	v_cmp_gt_i32_e32 vcc_lo, 16, v8
	v_and_b32_sdwa v78, v78, v103 dst_sel:DWORD dst_unused:UNUSED_PAD src0_sel:BYTE_3 src1_sel:DWORD
	v_lshlrev_b32_e32 v79, 3, v79
	v_cndmask_b32_e32 v77, 7, v77, vcc_lo
	v_and_b32_e32 v79, 0xf8, v79
	v_and_b32_e32 v88, 7, v77
	v_or_b32_e32 v8, v8, v77
	v_or3_b32 v78, v78, v79, v88
	v_cmp_ne_u32_e32 vcc_lo, 0, v8
	v_lshlrev_b32_e32 v77, 8, v78
	v_cndmask_b32_e32 v77, 0, v77, vcc_lo
.LBB2_5137:                             ;   in Loop: Header=BB2_4922 Depth=3
	s_or_b32 exec_lo, exec_lo, s74
.LBB2_5138:                             ;   in Loop: Header=BB2_4922 Depth=3
	s_or_b32 exec_lo, exec_lo, s73
	v_bfe_u32 v8, v9, 16, 3
	v_bfe_u32 v88, v9, 19, 4
	v_lshlrev_b32_e32 v89, 8, v9
	s_mov_b32 s73, -1
	v_ffbh_u32_e32 v78, v8
	v_cmp_eq_u32_e32 vcc_lo, 0, v88
	v_min_u32_e32 v78, 32, v78
	v_subrev_nc_u32_e32 v79, 28, v78
	v_sub_nc_u32_e32 v78, 29, v78
	v_lshlrev_b32_sdwa v79, v79, v9 dst_sel:DWORD dst_unused:UNUSED_PAD src0_sel:DWORD src1_sel:WORD_1
	v_cndmask_b32_e32 v78, v88, v78, vcc_lo
	v_and_b32_e32 v79, 7, v79
	v_lshl_add_u32 v88, v78, 23, 0x3b800000
	v_and_b32_sdwa v78, v13, v114 dst_sel:DWORD dst_unused:UNUSED_PAD src0_sel:WORD_1 src1_sel:DWORD
	v_cndmask_b32_e32 v8, v8, v79, vcc_lo
	v_and_b32_e32 v79, 0x80000000, v89
	v_cmp_lt_i16_e64 s17, 0x7f, v78
	s_and_b32 vcc_lo, exec_lo, s23
	v_lshlrev_b32_e32 v8, 20, v8
	v_or3_b32 v8, v79, v88, v8
                                        ; implicit-def: $vgpr79
	s_cbranch_vccz .LBB2_5152
; %bb.5139:                             ;   in Loop: Header=BB2_4922 Depth=3
	s_mov_b32 s73, 0
	s_and_saveexec_b32 s74, s17
	s_xor_b32 s17, exec_lo, s74
	s_cbranch_execz .LBB2_5544
; %bb.5140:                             ;   in Loop: Header=BB2_4922 Depth=3
	s_mov_b32 s73, -1
	s_mov_b32 s74, exec_lo
	v_cmpx_eq_u16_e32 0x80, v78
; %bb.5141:                             ;   in Loop: Header=BB2_4922 Depth=3
	s_xor_b32 s73, exec_lo, -1
; %bb.5142:                             ;   in Loop: Header=BB2_4922 Depth=3
	s_or_b32 exec_lo, exec_lo, s74
	s_and_b32 s73, s73, exec_lo
	s_or_saveexec_b32 s17, s17
	v_mov_b32_e32 v79, 0x7f800001
	s_xor_b32 exec_lo, exec_lo, s17
	s_cbranch_execnz .LBB2_5545
.LBB2_5143:                             ;   in Loop: Header=BB2_4922 Depth=3
	s_or_b32 exec_lo, exec_lo, s17
	s_and_saveexec_b32 s17, s73
	s_cbranch_execz .LBB2_5145
.LBB2_5144:                             ;   in Loop: Header=BB2_4922 Depth=3
	v_bfe_u32 v79, v13, 16, 3
	v_bfe_u32 v90, v13, 19, 4
	v_lshlrev_b32_sdwa v91, v113, v13 dst_sel:DWORD dst_unused:UNUSED_PAD src0_sel:DWORD src1_sel:WORD_1
	v_ffbh_u32_e32 v88, v79
	v_cmp_eq_u32_e32 vcc_lo, 0, v90
	v_min_u32_e32 v88, 32, v88
	v_subrev_nc_u32_e32 v89, 28, v88
	v_sub_nc_u32_e32 v88, 29, v88
	v_lshlrev_b32_sdwa v89, v89, v13 dst_sel:DWORD dst_unused:UNUSED_PAD src0_sel:DWORD src1_sel:WORD_1
	v_cndmask_b32_e32 v88, v90, v88, vcc_lo
	v_and_b32_e32 v89, 7, v89
	v_lshl_add_u32 v88, v88, 23, 0x3b800000
	v_cndmask_b32_e32 v79, v79, v89, vcc_lo
	v_and_b32_e32 v89, 0x80000000, v91
	v_lshlrev_b32_e32 v79, 20, v79
	v_or3_b32 v79, v89, v88, v79
.LBB2_5145:                             ;   in Loop: Header=BB2_4922 Depth=3
	s_or_b32 exec_lo, exec_lo, s17
	v_and_b32_sdwa v89, v9, v114 dst_sel:DWORD dst_unused:UNUSED_PAD src0_sel:WORD_1 src1_sel:DWORD
	s_mov_b32 s17, 0
	s_mov_b32 s73, exec_lo
	v_cmpx_lt_i16_e32 0x7f, v89
	s_xor_b32 s73, exec_lo, s73
	s_cbranch_execz .LBB2_5546
; %bb.5146:                             ;   in Loop: Header=BB2_4922 Depth=3
	s_mov_b32 s17, -1
	s_mov_b32 s74, exec_lo
	v_cmpx_eq_u16_e32 0x80, v89
; %bb.5147:                             ;   in Loop: Header=BB2_4922 Depth=3
	s_xor_b32 s17, exec_lo, -1
; %bb.5148:                             ;   in Loop: Header=BB2_4922 Depth=3
	s_or_b32 exec_lo, exec_lo, s74
	s_and_b32 s17, s17, exec_lo
                                        ; implicit-def: $vgpr89
	s_or_saveexec_b32 s73, s73
	v_mov_b32_e32 v88, 0x7f800001
	s_xor_b32 exec_lo, exec_lo, s73
	s_cbranch_execnz .LBB2_5547
.LBB2_5149:                             ;   in Loop: Header=BB2_4922 Depth=3
	s_or_b32 exec_lo, exec_lo, s73
	s_and_saveexec_b32 s73, s17
.LBB2_5150:                             ;   in Loop: Header=BB2_4922 Depth=3
	v_mov_b32_e32 v88, v8
.LBB2_5151:                             ;   in Loop: Header=BB2_4922 Depth=3
	s_or_b32 exec_lo, exec_lo, s73
	v_max_f32_e32 v88, v88, v88
	v_max_f32_e32 v79, v79, v79
	s_mov_b32 s73, 0
	v_max_f32_e32 v79, v79, v88
.LBB2_5152:                             ;   in Loop: Header=BB2_4922 Depth=3
	s_and_b32 vcc_lo, exec_lo, s73
	s_cbranch_vccz .LBB2_5166
; %bb.5153:                             ;   in Loop: Header=BB2_4922 Depth=3
	s_mov_b32 s17, 0
	s_mov_b32 s73, exec_lo
	v_cmpx_lt_i16_e32 0x7f, v78
	s_xor_b32 s73, exec_lo, s73
	s_cbranch_execz .LBB2_5548
; %bb.5154:                             ;   in Loop: Header=BB2_4922 Depth=3
	s_mov_b32 s17, -1
	s_mov_b32 s74, exec_lo
	v_cmpx_eq_u16_e32 0x80, v78
; %bb.5155:                             ;   in Loop: Header=BB2_4922 Depth=3
	s_xor_b32 s17, exec_lo, -1
; %bb.5156:                             ;   in Loop: Header=BB2_4922 Depth=3
	s_or_b32 exec_lo, exec_lo, s74
	s_and_b32 s17, s17, exec_lo
                                        ; implicit-def: $vgpr78
	s_or_saveexec_b32 s73, s73
	v_mov_b32_e32 v79, 0x7f800001
	s_xor_b32 exec_lo, exec_lo, s73
	s_cbranch_execnz .LBB2_5549
.LBB2_5157:                             ;   in Loop: Header=BB2_4922 Depth=3
	s_or_b32 exec_lo, exec_lo, s73
	s_and_saveexec_b32 s73, s17
	s_cbranch_execz .LBB2_5159
.LBB2_5158:                             ;   in Loop: Header=BB2_4922 Depth=3
	v_bfe_u32 v78, v13, 16, 3
	v_bfe_u32 v89, v13, 19, 4
	v_lshlrev_b32_sdwa v90, v113, v13 dst_sel:DWORD dst_unused:UNUSED_PAD src0_sel:DWORD src1_sel:WORD_1
	v_ffbh_u32_e32 v79, v78
	v_cmp_eq_u32_e32 vcc_lo, 0, v89
	v_min_u32_e32 v79, 32, v79
	v_subrev_nc_u32_e32 v88, 28, v79
	v_sub_nc_u32_e32 v79, 29, v79
	v_lshlrev_b32_sdwa v88, v88, v13 dst_sel:DWORD dst_unused:UNUSED_PAD src0_sel:DWORD src1_sel:WORD_1
	v_cndmask_b32_e32 v79, v89, v79, vcc_lo
	v_and_b32_e32 v88, 7, v88
	v_lshl_add_u32 v79, v79, 23, 0x3b800000
	v_cndmask_b32_e32 v78, v78, v88, vcc_lo
	v_and_b32_e32 v88, 0x80000000, v90
	v_lshlrev_b32_e32 v78, 20, v78
	v_or3_b32 v79, v88, v79, v78
.LBB2_5159:                             ;   in Loop: Header=BB2_4922 Depth=3
	s_or_b32 exec_lo, exec_lo, s73
	v_and_b32_sdwa v88, v9, v114 dst_sel:DWORD dst_unused:UNUSED_PAD src0_sel:WORD_1 src1_sel:DWORD
	s_mov_b32 s17, 0
	s_mov_b32 s73, exec_lo
	v_cmpx_lt_i16_e32 0x7f, v88
	s_xor_b32 s73, exec_lo, s73
	s_cbranch_execz .LBB2_5550
; %bb.5160:                             ;   in Loop: Header=BB2_4922 Depth=3
	s_mov_b32 s17, -1
	s_mov_b32 s74, exec_lo
	v_cmpx_eq_u16_e32 0x80, v88
; %bb.5161:                             ;   in Loop: Header=BB2_4922 Depth=3
	s_xor_b32 s17, exec_lo, -1
; %bb.5162:                             ;   in Loop: Header=BB2_4922 Depth=3
	s_or_b32 exec_lo, exec_lo, s74
	s_and_b32 s17, s17, exec_lo
                                        ; implicit-def: $vgpr88
	s_or_saveexec_b32 s73, s73
	v_mov_b32_e32 v78, 0x7f800001
	s_xor_b32 exec_lo, exec_lo, s73
	s_cbranch_execnz .LBB2_5551
.LBB2_5163:                             ;   in Loop: Header=BB2_4922 Depth=3
	s_or_b32 exec_lo, exec_lo, s73
	s_and_saveexec_b32 s73, s17
.LBB2_5164:                             ;   in Loop: Header=BB2_4922 Depth=3
	v_mov_b32_e32 v78, v8
.LBB2_5165:                             ;   in Loop: Header=BB2_4922 Depth=3
	s_or_b32 exec_lo, exec_lo, s73
	v_max_f32_e32 v8, v78, v78
	v_max_f32_e32 v78, v79, v79
	v_min_f32_e32 v79, v78, v8
.LBB2_5166:                             ;   in Loop: Header=BB2_4922 Depth=3
	v_and_b32_e32 v8, 0x7f800000, v79
	v_mov_b32_e32 v78, 0x80
	s_mov_b32 s73, exec_lo
	v_cmpx_ne_u32_e32 0x7f800000, v8
	s_cbranch_execz .LBB2_5174
; %bb.5167:                             ;   in Loop: Header=BB2_4922 Depth=3
	v_mov_b32_e32 v78, 0
	s_mov_b32 s74, exec_lo
	v_cmpx_ne_u32_e32 0, v79
	s_cbranch_execz .LBB2_5173
; %bb.5168:                             ;   in Loop: Header=BB2_4922 Depth=3
	v_bfe_u32 v8, v79, 23, 8
	v_and_b32_e32 v78, 0x7fffff, v79
	v_sub_nc_u32_e32 v88, 0x78, v8
	v_cmp_gt_u32_e32 vcc_lo, 0x79, v8
	v_or_b32_e32 v89, 0x800000, v78
	v_cndmask_b32_e32 v88, 0, v88, vcc_lo
	v_cmp_eq_u32_e32 vcc_lo, 0, v8
	v_add_nc_u32_e32 v8, 0xffffff89, v8
	v_cndmask_b32_e64 v88, v88, 0x77, vcc_lo
	v_cndmask_b32_e32 v78, v89, v78, vcc_lo
	v_cndmask_b32_e64 v8, v8, 0xffffff8a, vcc_lo
	v_lshl_add_u32 v89, 0x100000, v88, -1
	v_lshrrev_b32_e32 v90, v88, v78
	v_lshlrev_b32_e64 v92, v88, 0x80000
	v_add_nc_u32_e32 v88, v88, v8
	v_and_b32_e32 v78, v89, v78
	v_bfe_u32 v91, v90, 20, 1
	v_cmp_eq_u32_e64 s17, v78, v92
	v_add_nc_u32_e32 v89, -1, v91
	v_cndmask_b32_e64 v78, 0, v89, s17
	v_lshrrev_b32_e32 v89, 23, v90
	s_mov_b32 s17, exec_lo
	v_add_nc_u32_e32 v78, v78, v90
	v_xor_b32_e32 v89, 1, v89
	v_and_b32_e32 v8, 0xfffff, v78
	v_add_nc_u32_e32 v78, v8, v90
                                        ; implicit-def: $vgpr8
	v_cmpx_ne_u32_e64 v88, v89
	s_xor_b32 s17, exec_lo, s17
; %bb.5169:                             ;   in Loop: Header=BB2_4922 Depth=3
	v_cmp_lt_u32_e32 vcc_lo, 0xffffff, v78
	v_sub_nc_u32_e32 v8, v88, v89
	v_cndmask_b32_e64 v88, 0, 1, vcc_lo
	v_add_co_ci_u32_e64 v8, null, 0, v8, vcc_lo
	v_lshrrev_b32_e32 v78, v88, v78
; %bb.5170:                             ;   in Loop: Header=BB2_4922 Depth=3
	s_andn2_saveexec_b32 s17, s17
; %bb.5171:                             ;   in Loop: Header=BB2_4922 Depth=3
	v_bfe_u32 v8, v78, 23, 1
; %bb.5172:                             ;   in Loop: Header=BB2_4922 Depth=3
	s_or_b32 exec_lo, exec_lo, s17
	v_lshrrev_b32_e32 v78, 20, v78
	v_min_i32_e32 v88, 15, v8
	v_cmp_gt_i32_e32 vcc_lo, 16, v8
	v_and_b32_sdwa v79, v79, v103 dst_sel:DWORD dst_unused:UNUSED_PAD src0_sel:BYTE_3 src1_sel:DWORD
	v_lshlrev_b32_e32 v88, 3, v88
	v_cndmask_b32_e32 v78, 7, v78, vcc_lo
	v_and_b32_e32 v88, 0xf8, v88
	v_and_b32_e32 v89, 7, v78
	v_or_b32_e32 v8, v8, v78
	v_or3_b32 v78, v88, v79, v89
	v_cmp_ne_u32_e32 vcc_lo, 0, v8
	v_cndmask_b32_e32 v78, 0, v78, vcc_lo
.LBB2_5173:                             ;   in Loop: Header=BB2_4922 Depth=3
	s_or_b32 exec_lo, exec_lo, s74
.LBB2_5174:                             ;   in Loop: Header=BB2_4922 Depth=3
	s_or_b32 exec_lo, exec_lo, s73
	v_bfe_u32 v8, v9, 24, 3
	v_bfe_u32 v89, v9, 27, 4
	v_cmp_gt_i16_sdwa s73, v13, v102 src0_sel:BYTE_3 src1_sel:DWORD
	s_mov_b32 s17, -1
	v_ffbh_u32_e32 v79, v8
	v_cmp_eq_u32_e32 vcc_lo, 0, v89
	v_min_u32_e32 v79, 32, v79
	v_subrev_nc_u32_e32 v88, 28, v79
	v_sub_nc_u32_e32 v79, 29, v79
	v_lshlrev_b32_sdwa v88, v88, v9 dst_sel:DWORD dst_unused:UNUSED_PAD src0_sel:DWORD src1_sel:BYTE_3
	v_cndmask_b32_e32 v79, v89, v79, vcc_lo
	v_and_b32_e32 v88, 7, v88
	v_lshl_add_u32 v79, v79, 23, 0x3b800000
	v_cndmask_b32_e32 v8, v8, v88, vcc_lo
	v_and_b32_e32 v88, 0x80000000, v9
	s_and_b32 vcc_lo, exec_lo, s23
	v_lshlrev_b32_e32 v8, 20, v8
	v_or3_b32 v8, v88, v79, v8
                                        ; implicit-def: $vgpr79
	s_cbranch_vccz .LBB2_5188
; %bb.5175:                             ;   in Loop: Header=BB2_4922 Depth=3
	s_mov_b32 s17, 0
	s_and_saveexec_b32 s74, s73
	s_xor_b32 s73, exec_lo, s74
	s_cbranch_execz .LBB2_5552
; %bb.5176:                             ;   in Loop: Header=BB2_4922 Depth=3
	v_cmp_eq_u16_sdwa s75, v13, v103 src0_sel:BYTE_3 src1_sel:DWORD
	s_mov_b32 s17, -1
	s_and_saveexec_b32 s74, s75
; %bb.5177:                             ;   in Loop: Header=BB2_4922 Depth=3
	s_xor_b32 s17, exec_lo, -1
; %bb.5178:                             ;   in Loop: Header=BB2_4922 Depth=3
	s_or_b32 exec_lo, exec_lo, s74
	s_and_b32 s17, s17, exec_lo
	s_or_saveexec_b32 s73, s73
	v_mov_b32_e32 v79, 0x7f800001
	s_xor_b32 exec_lo, exec_lo, s73
	s_cbranch_execnz .LBB2_5553
.LBB2_5179:                             ;   in Loop: Header=BB2_4922 Depth=3
	s_or_b32 exec_lo, exec_lo, s73
	s_and_saveexec_b32 s73, s17
	s_cbranch_execz .LBB2_5181
.LBB2_5180:                             ;   in Loop: Header=BB2_4922 Depth=3
	v_bfe_u32 v79, v13, 24, 3
	v_bfe_u32 v90, v13, 27, 4
	v_ffbh_u32_e32 v88, v79
	v_cmp_eq_u32_e32 vcc_lo, 0, v90
	v_min_u32_e32 v88, 32, v88
	v_subrev_nc_u32_e32 v89, 28, v88
	v_sub_nc_u32_e32 v88, 29, v88
	v_lshlrev_b32_sdwa v89, v89, v13 dst_sel:DWORD dst_unused:UNUSED_PAD src0_sel:DWORD src1_sel:BYTE_3
	v_cndmask_b32_e32 v88, v90, v88, vcc_lo
	v_and_b32_e32 v89, 7, v89
	v_lshl_add_u32 v88, v88, 23, 0x3b800000
	v_cndmask_b32_e32 v79, v79, v89, vcc_lo
	v_and_b32_e32 v89, 0x80000000, v13
	v_lshlrev_b32_e32 v79, 20, v79
	v_or3_b32 v79, v89, v88, v79
.LBB2_5181:                             ;   in Loop: Header=BB2_4922 Depth=3
	s_or_b32 exec_lo, exec_lo, s73
	v_cmp_gt_i16_sdwa s73, v9, v102 src0_sel:BYTE_3 src1_sel:DWORD
	s_mov_b32 s17, 0
	s_and_saveexec_b32 s74, s73
	s_xor_b32 s73, exec_lo, s74
	s_cbranch_execz .LBB2_5554
; %bb.5182:                             ;   in Loop: Header=BB2_4922 Depth=3
	v_cmp_eq_u16_sdwa s75, v9, v103 src0_sel:BYTE_3 src1_sel:DWORD
	s_mov_b32 s17, -1
	s_and_saveexec_b32 s74, s75
; %bb.5183:                             ;   in Loop: Header=BB2_4922 Depth=3
	s_xor_b32 s17, exec_lo, -1
; %bb.5184:                             ;   in Loop: Header=BB2_4922 Depth=3
	s_or_b32 exec_lo, exec_lo, s74
	s_and_b32 s17, s17, exec_lo
	s_or_saveexec_b32 s73, s73
	v_mov_b32_e32 v88, 0x7f800001
	s_xor_b32 exec_lo, exec_lo, s73
	s_cbranch_execnz .LBB2_5555
.LBB2_5185:                             ;   in Loop: Header=BB2_4922 Depth=3
	s_or_b32 exec_lo, exec_lo, s73
	s_and_saveexec_b32 s73, s17
.LBB2_5186:                             ;   in Loop: Header=BB2_4922 Depth=3
	v_mov_b32_e32 v88, v8
.LBB2_5187:                             ;   in Loop: Header=BB2_4922 Depth=3
	s_or_b32 exec_lo, exec_lo, s73
	v_max_f32_e32 v88, v88, v88
	v_max_f32_e32 v79, v79, v79
	s_mov_b32 s17, 0
	v_max_f32_e32 v79, v79, v88
.LBB2_5188:                             ;   in Loop: Header=BB2_4922 Depth=3
	s_and_b32 vcc_lo, exec_lo, s17
	s_cbranch_vccz .LBB2_5202
; %bb.5189:                             ;   in Loop: Header=BB2_4922 Depth=3
	v_cmp_gt_i16_sdwa s73, v13, v102 src0_sel:BYTE_3 src1_sel:DWORD
	s_mov_b32 s17, 0
	s_and_saveexec_b32 s74, s73
	s_xor_b32 s73, exec_lo, s74
	s_cbranch_execz .LBB2_5556
; %bb.5190:                             ;   in Loop: Header=BB2_4922 Depth=3
	v_cmp_eq_u16_sdwa s75, v13, v103 src0_sel:BYTE_3 src1_sel:DWORD
	s_mov_b32 s17, -1
	s_and_saveexec_b32 s74, s75
; %bb.5191:                             ;   in Loop: Header=BB2_4922 Depth=3
	s_xor_b32 s17, exec_lo, -1
; %bb.5192:                             ;   in Loop: Header=BB2_4922 Depth=3
	s_or_b32 exec_lo, exec_lo, s74
	s_and_b32 s17, s17, exec_lo
	s_or_saveexec_b32 s73, s73
	v_mov_b32_e32 v79, 0x7f800001
	s_xor_b32 exec_lo, exec_lo, s73
	s_cbranch_execnz .LBB2_5557
.LBB2_5193:                             ;   in Loop: Header=BB2_4922 Depth=3
	s_or_b32 exec_lo, exec_lo, s73
	s_and_saveexec_b32 s73, s17
	s_cbranch_execz .LBB2_5195
.LBB2_5194:                             ;   in Loop: Header=BB2_4922 Depth=3
	v_bfe_u32 v79, v13, 24, 3
	v_bfe_u32 v90, v13, 27, 4
	v_ffbh_u32_e32 v88, v79
	v_cmp_eq_u32_e32 vcc_lo, 0, v90
	v_min_u32_e32 v88, 32, v88
	v_subrev_nc_u32_e32 v89, 28, v88
	v_sub_nc_u32_e32 v88, 29, v88
	v_lshlrev_b32_sdwa v89, v89, v13 dst_sel:DWORD dst_unused:UNUSED_PAD src0_sel:DWORD src1_sel:BYTE_3
	v_cndmask_b32_e32 v88, v90, v88, vcc_lo
	v_and_b32_e32 v13, 0x80000000, v13
	v_and_b32_e32 v89, 7, v89
	v_lshl_add_u32 v88, v88, 23, 0x3b800000
	v_cndmask_b32_e32 v79, v79, v89, vcc_lo
	v_lshlrev_b32_e32 v79, 20, v79
	v_or3_b32 v79, v13, v88, v79
.LBB2_5195:                             ;   in Loop: Header=BB2_4922 Depth=3
	s_or_b32 exec_lo, exec_lo, s73
	v_cmp_gt_i16_sdwa s73, v9, v102 src0_sel:BYTE_3 src1_sel:DWORD
	s_mov_b32 s17, 0
	s_and_saveexec_b32 s74, s73
	s_xor_b32 s73, exec_lo, s74
	s_cbranch_execz .LBB2_5558
; %bb.5196:                             ;   in Loop: Header=BB2_4922 Depth=3
	v_cmp_eq_u16_sdwa s75, v9, v103 src0_sel:BYTE_3 src1_sel:DWORD
	s_mov_b32 s17, -1
	s_and_saveexec_b32 s74, s75
; %bb.5197:                             ;   in Loop: Header=BB2_4922 Depth=3
	s_xor_b32 s17, exec_lo, -1
; %bb.5198:                             ;   in Loop: Header=BB2_4922 Depth=3
	s_or_b32 exec_lo, exec_lo, s74
	s_and_b32 s17, s17, exec_lo
	s_or_saveexec_b32 s73, s73
	v_mov_b32_e32 v13, 0x7f800001
	s_xor_b32 exec_lo, exec_lo, s73
	s_cbranch_execnz .LBB2_5559
.LBB2_5199:                             ;   in Loop: Header=BB2_4922 Depth=3
	s_or_b32 exec_lo, exec_lo, s73
	s_and_saveexec_b32 s73, s17
.LBB2_5200:                             ;   in Loop: Header=BB2_4922 Depth=3
	v_mov_b32_e32 v13, v8
.LBB2_5201:                             ;   in Loop: Header=BB2_4922 Depth=3
	s_or_b32 exec_lo, exec_lo, s73
	v_max_f32_e32 v8, v13, v13
	v_max_f32_e32 v9, v79, v79
	v_min_f32_e32 v79, v9, v8
.LBB2_5202:                             ;   in Loop: Header=BB2_4922 Depth=3
	v_and_b32_e32 v8, 0x7f800000, v79
	v_mov_b32_e32 v13, 0x8000
	s_mov_b32 s73, exec_lo
	v_cmpx_ne_u32_e32 0x7f800000, v8
	s_cbranch_execz .LBB2_5210
; %bb.5203:                             ;   in Loop: Header=BB2_4922 Depth=3
	v_mov_b32_e32 v13, 0
	s_mov_b32 s74, exec_lo
	v_cmpx_ne_u32_e32 0, v79
	s_cbranch_execz .LBB2_5209
; %bb.5204:                             ;   in Loop: Header=BB2_4922 Depth=3
	v_bfe_u32 v8, v79, 23, 8
	v_and_b32_e32 v9, 0x7fffff, v79
	v_sub_nc_u32_e32 v13, 0x78, v8
	v_cmp_gt_u32_e32 vcc_lo, 0x79, v8
	v_or_b32_e32 v88, 0x800000, v9
	v_cndmask_b32_e32 v13, 0, v13, vcc_lo
	v_cmp_eq_u32_e32 vcc_lo, 0, v8
	v_add_nc_u32_e32 v8, 0xffffff89, v8
	v_cndmask_b32_e64 v13, v13, 0x77, vcc_lo
	v_cndmask_b32_e32 v9, v88, v9, vcc_lo
	v_cndmask_b32_e64 v8, v8, 0xffffff8a, vcc_lo
	v_lshl_add_u32 v88, 0x100000, v13, -1
	v_lshrrev_b32_e32 v89, v13, v9
	v_lshlrev_b32_e64 v91, v13, 0x80000
	v_add_nc_u32_e32 v13, v13, v8
	v_and_b32_e32 v9, v88, v9
	v_bfe_u32 v90, v89, 20, 1
	v_cmp_eq_u32_e64 s17, v9, v91
	v_add_nc_u32_e32 v88, -1, v90
	v_cndmask_b32_e64 v9, 0, v88, s17
	v_lshrrev_b32_e32 v88, 23, v89
	s_mov_b32 s17, exec_lo
	v_add_nc_u32_e32 v9, v9, v89
	v_xor_b32_e32 v88, 1, v88
	v_and_b32_e32 v8, 0xfffff, v9
	v_add_nc_u32_e32 v9, v8, v89
                                        ; implicit-def: $vgpr8
	v_cmpx_ne_u32_e64 v13, v88
	s_xor_b32 s17, exec_lo, s17
; %bb.5205:                             ;   in Loop: Header=BB2_4922 Depth=3
	v_cmp_lt_u32_e32 vcc_lo, 0xffffff, v9
	v_sub_nc_u32_e32 v8, v13, v88
	v_cndmask_b32_e64 v13, 0, 1, vcc_lo
	v_add_co_ci_u32_e64 v8, null, 0, v8, vcc_lo
	v_lshrrev_b32_e32 v9, v13, v9
; %bb.5206:                             ;   in Loop: Header=BB2_4922 Depth=3
	s_andn2_saveexec_b32 s17, s17
; %bb.5207:                             ;   in Loop: Header=BB2_4922 Depth=3
	v_bfe_u32 v8, v9, 23, 1
; %bb.5208:                             ;   in Loop: Header=BB2_4922 Depth=3
	s_or_b32 exec_lo, exec_lo, s17
	v_lshrrev_b32_e32 v9, 20, v9
	v_min_i32_e32 v13, 15, v8
	v_cmp_gt_i32_e32 vcc_lo, 16, v8
	v_and_b32_sdwa v79, v79, v103 dst_sel:DWORD dst_unused:UNUSED_PAD src0_sel:BYTE_3 src1_sel:DWORD
	v_lshlrev_b32_e32 v13, 3, v13
	v_cndmask_b32_e32 v9, 7, v9, vcc_lo
	v_and_b32_e32 v13, 0xf8, v13
	v_and_b32_e32 v88, 7, v9
	v_or_b32_e32 v8, v8, v9
	v_or3_b32 v13, v79, v13, v88
	v_cmp_ne_u32_e32 vcc_lo, 0, v8
	v_lshlrev_b32_e32 v9, 8, v13
	v_cndmask_b32_e32 v13, 0, v9, vcc_lo
.LBB2_5209:                             ;   in Loop: Header=BB2_4922 Depth=3
	s_or_b32 exec_lo, exec_lo, s74
.LBB2_5210:                             ;   in Loop: Header=BB2_4922 Depth=3
	s_or_b32 exec_lo, exec_lo, s73
	v_and_b32_e32 v8, 7, v10
	v_bfe_u32 v88, v10, 3, 4
	v_lshlrev_b32_e32 v89, 24, v10
	v_cmp_gt_i16_sdwa s73, v14, v102 src0_sel:BYTE_0 src1_sel:DWORD
	s_mov_b32 s17, -1
	v_ffbh_u32_e32 v9, v8
	v_cmp_eq_u32_e32 vcc_lo, 0, v88
	v_min_u32_e32 v9, 32, v9
	v_subrev_nc_u32_e32 v79, 28, v9
	v_sub_nc_u32_e32 v9, 29, v9
	v_lshlrev_b32_e32 v79, v79, v10
	v_cndmask_b32_e32 v9, v88, v9, vcc_lo
	v_and_b32_e32 v79, 7, v79
	v_lshl_add_u32 v9, v9, 23, 0x3b800000
	v_cndmask_b32_e32 v8, v8, v79, vcc_lo
	v_and_b32_e32 v79, 0x80000000, v89
	s_and_b32 vcc_lo, exec_lo, s23
	v_lshlrev_b32_e32 v8, 20, v8
	v_or3_b32 v8, v79, v9, v8
                                        ; implicit-def: $vgpr9
	s_cbranch_vccz .LBB2_5224
; %bb.5211:                             ;   in Loop: Header=BB2_4922 Depth=3
	s_mov_b32 s17, 0
	s_and_saveexec_b32 s74, s73
	s_xor_b32 s73, exec_lo, s74
	s_cbranch_execz .LBB2_5560
; %bb.5212:                             ;   in Loop: Header=BB2_4922 Depth=3
	v_cmp_eq_u16_sdwa s75, v14, v103 src0_sel:BYTE_0 src1_sel:DWORD
	s_mov_b32 s17, -1
	s_and_saveexec_b32 s74, s75
; %bb.5213:                             ;   in Loop: Header=BB2_4922 Depth=3
	s_xor_b32 s17, exec_lo, -1
; %bb.5214:                             ;   in Loop: Header=BB2_4922 Depth=3
	s_or_b32 exec_lo, exec_lo, s74
	s_and_b32 s17, s17, exec_lo
	s_or_saveexec_b32 s73, s73
	v_mov_b32_e32 v9, 0x7f800001
	s_xor_b32 exec_lo, exec_lo, s73
	s_cbranch_execnz .LBB2_5561
.LBB2_5215:                             ;   in Loop: Header=BB2_4922 Depth=3
	s_or_b32 exec_lo, exec_lo, s73
	s_and_saveexec_b32 s73, s17
	s_cbranch_execz .LBB2_5217
.LBB2_5216:                             ;   in Loop: Header=BB2_4922 Depth=3
	v_and_b32_e32 v9, 7, v14
	v_bfe_u32 v89, v14, 3, 4
	v_lshlrev_b32_e32 v90, 24, v14
	v_ffbh_u32_e32 v79, v9
	v_cmp_eq_u32_e32 vcc_lo, 0, v89
	v_min_u32_e32 v79, 32, v79
	v_subrev_nc_u32_e32 v88, 28, v79
	v_sub_nc_u32_e32 v79, 29, v79
	v_lshlrev_b32_e32 v88, v88, v14
	v_cndmask_b32_e32 v79, v89, v79, vcc_lo
	v_and_b32_e32 v88, 7, v88
	v_lshl_add_u32 v79, v79, 23, 0x3b800000
	v_cndmask_b32_e32 v9, v9, v88, vcc_lo
	v_and_b32_e32 v88, 0x80000000, v90
	v_lshlrev_b32_e32 v9, 20, v9
	v_or3_b32 v9, v88, v79, v9
.LBB2_5217:                             ;   in Loop: Header=BB2_4922 Depth=3
	s_or_b32 exec_lo, exec_lo, s73
	v_cmp_gt_i16_sdwa s73, v10, v102 src0_sel:BYTE_0 src1_sel:DWORD
	s_mov_b32 s17, 0
	s_and_saveexec_b32 s74, s73
	s_xor_b32 s73, exec_lo, s74
	s_cbranch_execz .LBB2_5562
; %bb.5218:                             ;   in Loop: Header=BB2_4922 Depth=3
	v_cmp_eq_u16_sdwa s75, v10, v103 src0_sel:BYTE_0 src1_sel:DWORD
	s_mov_b32 s17, -1
	s_and_saveexec_b32 s74, s75
; %bb.5219:                             ;   in Loop: Header=BB2_4922 Depth=3
	s_xor_b32 s17, exec_lo, -1
; %bb.5220:                             ;   in Loop: Header=BB2_4922 Depth=3
	s_or_b32 exec_lo, exec_lo, s74
	s_and_b32 s17, s17, exec_lo
	s_or_saveexec_b32 s73, s73
	v_mov_b32_e32 v79, 0x7f800001
	s_xor_b32 exec_lo, exec_lo, s73
	s_cbranch_execnz .LBB2_5563
.LBB2_5221:                             ;   in Loop: Header=BB2_4922 Depth=3
	s_or_b32 exec_lo, exec_lo, s73
	s_and_saveexec_b32 s73, s17
.LBB2_5222:                             ;   in Loop: Header=BB2_4922 Depth=3
	v_mov_b32_e32 v79, v8
.LBB2_5223:                             ;   in Loop: Header=BB2_4922 Depth=3
	s_or_b32 exec_lo, exec_lo, s73
	v_max_f32_e32 v79, v79, v79
	v_max_f32_e32 v9, v9, v9
	s_mov_b32 s17, 0
	v_max_f32_e32 v9, v9, v79
.LBB2_5224:                             ;   in Loop: Header=BB2_4922 Depth=3
	s_and_b32 vcc_lo, exec_lo, s17
	s_cbranch_vccz .LBB2_5238
; %bb.5225:                             ;   in Loop: Header=BB2_4922 Depth=3
	v_cmp_gt_i16_sdwa s73, v14, v102 src0_sel:BYTE_0 src1_sel:DWORD
	s_mov_b32 s17, 0
	s_and_saveexec_b32 s74, s73
	s_xor_b32 s73, exec_lo, s74
	s_cbranch_execz .LBB2_5564
; %bb.5226:                             ;   in Loop: Header=BB2_4922 Depth=3
	v_cmp_eq_u16_sdwa s75, v14, v103 src0_sel:BYTE_0 src1_sel:DWORD
	s_mov_b32 s17, -1
	s_and_saveexec_b32 s74, s75
; %bb.5227:                             ;   in Loop: Header=BB2_4922 Depth=3
	s_xor_b32 s17, exec_lo, -1
; %bb.5228:                             ;   in Loop: Header=BB2_4922 Depth=3
	s_or_b32 exec_lo, exec_lo, s74
	s_and_b32 s17, s17, exec_lo
	s_or_saveexec_b32 s73, s73
	v_mov_b32_e32 v9, 0x7f800001
	s_xor_b32 exec_lo, exec_lo, s73
	s_cbranch_execnz .LBB2_5565
.LBB2_5229:                             ;   in Loop: Header=BB2_4922 Depth=3
	s_or_b32 exec_lo, exec_lo, s73
	s_and_saveexec_b32 s73, s17
	s_cbranch_execz .LBB2_5231
.LBB2_5230:                             ;   in Loop: Header=BB2_4922 Depth=3
	v_and_b32_e32 v9, 7, v14
	v_bfe_u32 v89, v14, 3, 4
	v_lshlrev_b32_e32 v90, 24, v14
	v_ffbh_u32_e32 v79, v9
	v_cmp_eq_u32_e32 vcc_lo, 0, v89
	v_min_u32_e32 v79, 32, v79
	v_subrev_nc_u32_e32 v88, 28, v79
	v_sub_nc_u32_e32 v79, 29, v79
	v_lshlrev_b32_e32 v88, v88, v14
	v_cndmask_b32_e32 v79, v89, v79, vcc_lo
	v_and_b32_e32 v88, 7, v88
	v_lshl_add_u32 v79, v79, 23, 0x3b800000
	v_cndmask_b32_e32 v9, v9, v88, vcc_lo
	v_and_b32_e32 v88, 0x80000000, v90
	v_lshlrev_b32_e32 v9, 20, v9
	v_or3_b32 v9, v88, v79, v9
.LBB2_5231:                             ;   in Loop: Header=BB2_4922 Depth=3
	s_or_b32 exec_lo, exec_lo, s73
	v_cmp_gt_i16_sdwa s73, v10, v102 src0_sel:BYTE_0 src1_sel:DWORD
	s_mov_b32 s17, 0
	s_and_saveexec_b32 s74, s73
	s_xor_b32 s73, exec_lo, s74
	s_cbranch_execz .LBB2_5566
; %bb.5232:                             ;   in Loop: Header=BB2_4922 Depth=3
	v_cmp_eq_u16_sdwa s75, v10, v103 src0_sel:BYTE_0 src1_sel:DWORD
	s_mov_b32 s17, -1
	s_and_saveexec_b32 s74, s75
; %bb.5233:                             ;   in Loop: Header=BB2_4922 Depth=3
	s_xor_b32 s17, exec_lo, -1
; %bb.5234:                             ;   in Loop: Header=BB2_4922 Depth=3
	s_or_b32 exec_lo, exec_lo, s74
	s_and_b32 s17, s17, exec_lo
	s_or_saveexec_b32 s73, s73
	v_mov_b32_e32 v79, 0x7f800001
	s_xor_b32 exec_lo, exec_lo, s73
	s_cbranch_execnz .LBB2_5567
.LBB2_5235:                             ;   in Loop: Header=BB2_4922 Depth=3
	s_or_b32 exec_lo, exec_lo, s73
	s_and_saveexec_b32 s73, s17
.LBB2_5236:                             ;   in Loop: Header=BB2_4922 Depth=3
	v_mov_b32_e32 v79, v8
.LBB2_5237:                             ;   in Loop: Header=BB2_4922 Depth=3
	s_or_b32 exec_lo, exec_lo, s73
	v_max_f32_e32 v8, v79, v79
	v_max_f32_e32 v9, v9, v9
	v_min_f32_e32 v9, v9, v8
.LBB2_5238:                             ;   in Loop: Header=BB2_4922 Depth=3
	v_and_b32_e32 v8, 0x7f800000, v9
	v_mov_b32_e32 v79, 0x80
	s_mov_b32 s73, exec_lo
	v_cmpx_ne_u32_e32 0x7f800000, v8
	s_cbranch_execz .LBB2_5246
; %bb.5239:                             ;   in Loop: Header=BB2_4922 Depth=3
	v_mov_b32_e32 v79, 0
	s_mov_b32 s74, exec_lo
	v_cmpx_ne_u32_e32 0, v9
	s_cbranch_execz .LBB2_5245
; %bb.5240:                             ;   in Loop: Header=BB2_4922 Depth=3
	v_bfe_u32 v8, v9, 23, 8
	v_and_b32_e32 v79, 0x7fffff, v9
	v_sub_nc_u32_e32 v88, 0x78, v8
	v_cmp_gt_u32_e32 vcc_lo, 0x79, v8
	v_or_b32_e32 v89, 0x800000, v79
	v_cndmask_b32_e32 v88, 0, v88, vcc_lo
	v_cmp_eq_u32_e32 vcc_lo, 0, v8
	v_add_nc_u32_e32 v8, 0xffffff89, v8
	v_cndmask_b32_e64 v88, v88, 0x77, vcc_lo
	v_cndmask_b32_e32 v79, v89, v79, vcc_lo
	v_cndmask_b32_e64 v8, v8, 0xffffff8a, vcc_lo
	v_lshl_add_u32 v89, 0x100000, v88, -1
	v_lshrrev_b32_e32 v90, v88, v79
	v_lshlrev_b32_e64 v92, v88, 0x80000
	v_add_nc_u32_e32 v88, v88, v8
	v_and_b32_e32 v79, v89, v79
	v_bfe_u32 v91, v90, 20, 1
	v_cmp_eq_u32_e64 s17, v79, v92
	v_add_nc_u32_e32 v89, -1, v91
	v_cndmask_b32_e64 v79, 0, v89, s17
	v_lshrrev_b32_e32 v89, 23, v90
	s_mov_b32 s17, exec_lo
	v_add_nc_u32_e32 v79, v79, v90
	v_xor_b32_e32 v89, 1, v89
	v_and_b32_e32 v8, 0xfffff, v79
	v_add_nc_u32_e32 v79, v8, v90
                                        ; implicit-def: $vgpr8
	v_cmpx_ne_u32_e64 v88, v89
	s_xor_b32 s17, exec_lo, s17
; %bb.5241:                             ;   in Loop: Header=BB2_4922 Depth=3
	v_cmp_lt_u32_e32 vcc_lo, 0xffffff, v79
	v_sub_nc_u32_e32 v8, v88, v89
	v_cndmask_b32_e64 v88, 0, 1, vcc_lo
	v_add_co_ci_u32_e64 v8, null, 0, v8, vcc_lo
	v_lshrrev_b32_e32 v79, v88, v79
; %bb.5242:                             ;   in Loop: Header=BB2_4922 Depth=3
	s_andn2_saveexec_b32 s17, s17
; %bb.5243:                             ;   in Loop: Header=BB2_4922 Depth=3
	v_bfe_u32 v8, v79, 23, 1
; %bb.5244:                             ;   in Loop: Header=BB2_4922 Depth=3
	s_or_b32 exec_lo, exec_lo, s17
	v_lshrrev_b32_e32 v79, 20, v79
	v_min_i32_e32 v88, 15, v8
	v_cmp_gt_i32_e32 vcc_lo, 16, v8
	v_and_b32_sdwa v9, v9, v103 dst_sel:DWORD dst_unused:UNUSED_PAD src0_sel:BYTE_3 src1_sel:DWORD
	v_lshlrev_b32_e32 v88, 3, v88
	v_cndmask_b32_e32 v79, 7, v79, vcc_lo
	v_and_b32_e32 v88, 0xf8, v88
	v_and_b32_e32 v89, 7, v79
	v_or_b32_e32 v8, v8, v79
	v_or3_b32 v9, v88, v9, v89
	v_cmp_ne_u32_e32 vcc_lo, 0, v8
	v_cndmask_b32_e32 v79, 0, v9, vcc_lo
.LBB2_5245:                             ;   in Loop: Header=BB2_4922 Depth=3
	s_or_b32 exec_lo, exec_lo, s74
.LBB2_5246:                             ;   in Loop: Header=BB2_4922 Depth=3
	s_or_b32 exec_lo, exec_lo, s73
	v_and_b32_sdwa v8, v112, v10 dst_sel:DWORD dst_unused:UNUSED_PAD src0_sel:DWORD src1_sel:BYTE_1
	v_cmp_gt_i16_sdwa s73, v14, v102 src0_sel:BYTE_1 src1_sel:DWORD
	s_mov_b32 s17, -1
	v_and_b32_e32 v9, 7, v8
	v_bfe_u32 v90, v8, 3, 4
	v_ffbh_u32_e32 v88, v9
	v_cmp_eq_u32_e32 vcc_lo, 0, v90
	v_min_u32_e32 v88, 32, v88
	v_subrev_nc_u32_e32 v89, 28, v88
	v_sub_nc_u32_e32 v88, 29, v88
	v_lshlrev_b32_e32 v8, v89, v8
	v_lshlrev_b32_sdwa v89, v113, v10 dst_sel:DWORD dst_unused:UNUSED_PAD src0_sel:DWORD src1_sel:BYTE_1
	v_cndmask_b32_e32 v88, v90, v88, vcc_lo
	v_and_b32_e32 v8, 7, v8
	v_lshl_add_u32 v88, v88, 23, 0x3b800000
	v_cndmask_b32_e32 v8, v9, v8, vcc_lo
	v_and_b32_e32 v9, 0x80000000, v89
	s_and_b32 vcc_lo, exec_lo, s23
	v_lshlrev_b32_e32 v8, 20, v8
	v_or3_b32 v8, v9, v88, v8
                                        ; implicit-def: $vgpr9
	s_cbranch_vccz .LBB2_5260
; %bb.5247:                             ;   in Loop: Header=BB2_4922 Depth=3
	s_mov_b32 s17, 0
	s_and_saveexec_b32 s74, s73
	s_xor_b32 s73, exec_lo, s74
	s_cbranch_execz .LBB2_5568
; %bb.5248:                             ;   in Loop: Header=BB2_4922 Depth=3
	v_cmp_eq_u16_sdwa s75, v14, v103 src0_sel:BYTE_1 src1_sel:DWORD
	s_mov_b32 s17, -1
	s_and_saveexec_b32 s74, s75
; %bb.5249:                             ;   in Loop: Header=BB2_4922 Depth=3
	s_xor_b32 s17, exec_lo, -1
; %bb.5250:                             ;   in Loop: Header=BB2_4922 Depth=3
	s_or_b32 exec_lo, exec_lo, s74
	s_and_b32 s17, s17, exec_lo
	s_or_saveexec_b32 s73, s73
	v_mov_b32_e32 v9, 0x7f800001
	s_xor_b32 exec_lo, exec_lo, s73
	s_cbranch_execnz .LBB2_5569
.LBB2_5251:                             ;   in Loop: Header=BB2_4922 Depth=3
	s_or_b32 exec_lo, exec_lo, s73
	s_and_saveexec_b32 s73, s17
	s_cbranch_execz .LBB2_5253
.LBB2_5252:                             ;   in Loop: Header=BB2_4922 Depth=3
	v_and_b32_sdwa v9, v112, v14 dst_sel:DWORD dst_unused:UNUSED_PAD src0_sel:DWORD src1_sel:BYTE_1
	v_and_b32_e32 v88, 7, v9
	v_bfe_u32 v91, v9, 3, 4
	v_ffbh_u32_e32 v89, v88
	v_cmp_eq_u32_e32 vcc_lo, 0, v91
	v_min_u32_e32 v89, 32, v89
	v_subrev_nc_u32_e32 v90, 28, v89
	v_sub_nc_u32_e32 v89, 29, v89
	v_lshlrev_b32_e32 v9, v90, v9
	v_lshlrev_b32_e32 v90, 16, v14
	v_cndmask_b32_e32 v89, v91, v89, vcc_lo
	v_and_b32_e32 v9, 7, v9
	v_lshl_add_u32 v89, v89, 23, 0x3b800000
	v_cndmask_b32_e32 v9, v88, v9, vcc_lo
	v_and_b32_e32 v88, 0x80000000, v90
	v_lshlrev_b32_e32 v9, 20, v9
	v_or3_b32 v9, v88, v89, v9
.LBB2_5253:                             ;   in Loop: Header=BB2_4922 Depth=3
	s_or_b32 exec_lo, exec_lo, s73
	v_cmp_gt_i16_sdwa s73, v10, v102 src0_sel:BYTE_1 src1_sel:DWORD
	s_mov_b32 s17, 0
	s_and_saveexec_b32 s74, s73
	s_xor_b32 s73, exec_lo, s74
	s_cbranch_execz .LBB2_5570
; %bb.5254:                             ;   in Loop: Header=BB2_4922 Depth=3
	v_cmp_eq_u16_sdwa s75, v10, v103 src0_sel:BYTE_1 src1_sel:DWORD
	s_mov_b32 s17, -1
	s_and_saveexec_b32 s74, s75
; %bb.5255:                             ;   in Loop: Header=BB2_4922 Depth=3
	s_xor_b32 s17, exec_lo, -1
; %bb.5256:                             ;   in Loop: Header=BB2_4922 Depth=3
	s_or_b32 exec_lo, exec_lo, s74
	s_and_b32 s17, s17, exec_lo
	s_or_saveexec_b32 s73, s73
	v_mov_b32_e32 v88, 0x7f800001
	s_xor_b32 exec_lo, exec_lo, s73
	s_cbranch_execnz .LBB2_5571
.LBB2_5257:                             ;   in Loop: Header=BB2_4922 Depth=3
	s_or_b32 exec_lo, exec_lo, s73
	s_and_saveexec_b32 s73, s17
.LBB2_5258:                             ;   in Loop: Header=BB2_4922 Depth=3
	v_mov_b32_e32 v88, v8
.LBB2_5259:                             ;   in Loop: Header=BB2_4922 Depth=3
	s_or_b32 exec_lo, exec_lo, s73
	v_max_f32_e32 v88, v88, v88
	v_max_f32_e32 v9, v9, v9
	s_mov_b32 s17, 0
	v_max_f32_e32 v9, v9, v88
.LBB2_5260:                             ;   in Loop: Header=BB2_4922 Depth=3
	s_and_b32 vcc_lo, exec_lo, s17
	s_cbranch_vccz .LBB2_5274
; %bb.5261:                             ;   in Loop: Header=BB2_4922 Depth=3
	v_cmp_gt_i16_sdwa s73, v14, v102 src0_sel:BYTE_1 src1_sel:DWORD
	s_mov_b32 s17, 0
	s_and_saveexec_b32 s74, s73
	s_xor_b32 s73, exec_lo, s74
	s_cbranch_execz .LBB2_5572
; %bb.5262:                             ;   in Loop: Header=BB2_4922 Depth=3
	v_cmp_eq_u16_sdwa s75, v14, v103 src0_sel:BYTE_1 src1_sel:DWORD
	s_mov_b32 s17, -1
	s_and_saveexec_b32 s74, s75
; %bb.5263:                             ;   in Loop: Header=BB2_4922 Depth=3
	s_xor_b32 s17, exec_lo, -1
; %bb.5264:                             ;   in Loop: Header=BB2_4922 Depth=3
	s_or_b32 exec_lo, exec_lo, s74
	s_and_b32 s17, s17, exec_lo
	s_or_saveexec_b32 s73, s73
	v_mov_b32_e32 v9, 0x7f800001
	s_xor_b32 exec_lo, exec_lo, s73
	s_cbranch_execnz .LBB2_5573
.LBB2_5265:                             ;   in Loop: Header=BB2_4922 Depth=3
	s_or_b32 exec_lo, exec_lo, s73
	s_and_saveexec_b32 s73, s17
	s_cbranch_execz .LBB2_5267
.LBB2_5266:                             ;   in Loop: Header=BB2_4922 Depth=3
	v_and_b32_sdwa v9, v112, v14 dst_sel:DWORD dst_unused:UNUSED_PAD src0_sel:DWORD src1_sel:BYTE_1
	v_and_b32_e32 v88, 7, v9
	v_bfe_u32 v91, v9, 3, 4
	v_ffbh_u32_e32 v89, v88
	v_cmp_eq_u32_e32 vcc_lo, 0, v91
	v_min_u32_e32 v89, 32, v89
	v_subrev_nc_u32_e32 v90, 28, v89
	v_sub_nc_u32_e32 v89, 29, v89
	v_lshlrev_b32_e32 v9, v90, v9
	v_lshlrev_b32_e32 v90, 16, v14
	v_cndmask_b32_e32 v89, v91, v89, vcc_lo
	v_and_b32_e32 v9, 7, v9
	v_lshl_add_u32 v89, v89, 23, 0x3b800000
	v_cndmask_b32_e32 v9, v88, v9, vcc_lo
	v_and_b32_e32 v88, 0x80000000, v90
	v_lshlrev_b32_e32 v9, 20, v9
	v_or3_b32 v9, v88, v89, v9
.LBB2_5267:                             ;   in Loop: Header=BB2_4922 Depth=3
	s_or_b32 exec_lo, exec_lo, s73
	v_cmp_gt_i16_sdwa s73, v10, v102 src0_sel:BYTE_1 src1_sel:DWORD
	s_mov_b32 s17, 0
	s_and_saveexec_b32 s74, s73
	s_xor_b32 s73, exec_lo, s74
	s_cbranch_execz .LBB2_5574
; %bb.5268:                             ;   in Loop: Header=BB2_4922 Depth=3
	v_cmp_eq_u16_sdwa s75, v10, v103 src0_sel:BYTE_1 src1_sel:DWORD
	s_mov_b32 s17, -1
	s_and_saveexec_b32 s74, s75
; %bb.5269:                             ;   in Loop: Header=BB2_4922 Depth=3
	s_xor_b32 s17, exec_lo, -1
; %bb.5270:                             ;   in Loop: Header=BB2_4922 Depth=3
	s_or_b32 exec_lo, exec_lo, s74
	s_and_b32 s17, s17, exec_lo
	s_or_saveexec_b32 s73, s73
	v_mov_b32_e32 v88, 0x7f800001
	s_xor_b32 exec_lo, exec_lo, s73
	s_cbranch_execnz .LBB2_5575
.LBB2_5271:                             ;   in Loop: Header=BB2_4922 Depth=3
	s_or_b32 exec_lo, exec_lo, s73
	s_and_saveexec_b32 s73, s17
.LBB2_5272:                             ;   in Loop: Header=BB2_4922 Depth=3
	v_mov_b32_e32 v88, v8
.LBB2_5273:                             ;   in Loop: Header=BB2_4922 Depth=3
	s_or_b32 exec_lo, exec_lo, s73
	v_max_f32_e32 v8, v88, v88
	v_max_f32_e32 v9, v9, v9
	v_min_f32_e32 v9, v9, v8
.LBB2_5274:                             ;   in Loop: Header=BB2_4922 Depth=3
	v_and_b32_e32 v8, 0x7f800000, v9
	v_mov_b32_e32 v88, 0x8000
	s_mov_b32 s73, exec_lo
	v_cmpx_ne_u32_e32 0x7f800000, v8
	s_cbranch_execz .LBB2_5282
; %bb.5275:                             ;   in Loop: Header=BB2_4922 Depth=3
	v_mov_b32_e32 v88, 0
	s_mov_b32 s74, exec_lo
	v_cmpx_ne_u32_e32 0, v9
	s_cbranch_execz .LBB2_5281
; %bb.5276:                             ;   in Loop: Header=BB2_4922 Depth=3
	v_bfe_u32 v8, v9, 23, 8
	v_and_b32_e32 v88, 0x7fffff, v9
	v_sub_nc_u32_e32 v89, 0x78, v8
	v_cmp_gt_u32_e32 vcc_lo, 0x79, v8
	v_or_b32_e32 v90, 0x800000, v88
	v_cndmask_b32_e32 v89, 0, v89, vcc_lo
	v_cmp_eq_u32_e32 vcc_lo, 0, v8
	v_add_nc_u32_e32 v8, 0xffffff89, v8
	v_cndmask_b32_e64 v89, v89, 0x77, vcc_lo
	v_cndmask_b32_e32 v88, v90, v88, vcc_lo
	v_cndmask_b32_e64 v8, v8, 0xffffff8a, vcc_lo
	v_lshl_add_u32 v90, 0x100000, v89, -1
	v_lshrrev_b32_e32 v91, v89, v88
	v_lshlrev_b32_e64 v93, v89, 0x80000
	v_add_nc_u32_e32 v89, v89, v8
	v_and_b32_e32 v88, v90, v88
	v_bfe_u32 v92, v91, 20, 1
	v_cmp_eq_u32_e64 s17, v88, v93
	v_add_nc_u32_e32 v90, -1, v92
	v_cndmask_b32_e64 v88, 0, v90, s17
	v_lshrrev_b32_e32 v90, 23, v91
	s_mov_b32 s17, exec_lo
	v_add_nc_u32_e32 v88, v88, v91
	v_xor_b32_e32 v90, 1, v90
	v_and_b32_e32 v8, 0xfffff, v88
	v_add_nc_u32_e32 v88, v8, v91
                                        ; implicit-def: $vgpr8
	v_cmpx_ne_u32_e64 v89, v90
	s_xor_b32 s17, exec_lo, s17
; %bb.5277:                             ;   in Loop: Header=BB2_4922 Depth=3
	v_cmp_lt_u32_e32 vcc_lo, 0xffffff, v88
	v_sub_nc_u32_e32 v8, v89, v90
	v_cndmask_b32_e64 v89, 0, 1, vcc_lo
	v_add_co_ci_u32_e64 v8, null, 0, v8, vcc_lo
	v_lshrrev_b32_e32 v88, v89, v88
; %bb.5278:                             ;   in Loop: Header=BB2_4922 Depth=3
	s_andn2_saveexec_b32 s17, s17
; %bb.5279:                             ;   in Loop: Header=BB2_4922 Depth=3
	v_bfe_u32 v8, v88, 23, 1
; %bb.5280:                             ;   in Loop: Header=BB2_4922 Depth=3
	s_or_b32 exec_lo, exec_lo, s17
	v_lshrrev_b32_e32 v88, 20, v88
	v_min_i32_e32 v89, 15, v8
	v_cmp_gt_i32_e32 vcc_lo, 16, v8
	v_and_b32_sdwa v9, v9, v103 dst_sel:DWORD dst_unused:UNUSED_PAD src0_sel:BYTE_3 src1_sel:DWORD
	v_lshlrev_b32_e32 v89, 3, v89
	v_cndmask_b32_e32 v88, 7, v88, vcc_lo
	v_and_b32_e32 v89, 0xf8, v89
	v_and_b32_e32 v90, 7, v88
	v_or_b32_e32 v8, v8, v88
	v_or3_b32 v9, v9, v89, v90
	v_cmp_ne_u32_e32 vcc_lo, 0, v8
	v_lshlrev_b32_e32 v9, 8, v9
	v_cndmask_b32_e32 v88, 0, v9, vcc_lo
.LBB2_5281:                             ;   in Loop: Header=BB2_4922 Depth=3
	s_or_b32 exec_lo, exec_lo, s74
.LBB2_5282:                             ;   in Loop: Header=BB2_4922 Depth=3
	s_or_b32 exec_lo, exec_lo, s73
	v_bfe_u32 v8, v10, 16, 3
	v_bfe_u32 v90, v10, 19, 4
	v_lshlrev_b32_e32 v91, 8, v10
	s_mov_b32 s73, -1
	v_ffbh_u32_e32 v9, v8
	v_cmp_eq_u32_e32 vcc_lo, 0, v90
	v_min_u32_e32 v9, 32, v9
	v_subrev_nc_u32_e32 v89, 28, v9
	v_sub_nc_u32_e32 v9, 29, v9
	v_lshlrev_b32_sdwa v89, v89, v10 dst_sel:DWORD dst_unused:UNUSED_PAD src0_sel:DWORD src1_sel:WORD_1
	v_cndmask_b32_e32 v9, v90, v9, vcc_lo
	v_and_b32_e32 v89, 7, v89
	v_lshl_add_u32 v90, v9, 23, 0x3b800000
	v_and_b32_sdwa v9, v14, v114 dst_sel:DWORD dst_unused:UNUSED_PAD src0_sel:WORD_1 src1_sel:DWORD
	v_cndmask_b32_e32 v8, v8, v89, vcc_lo
	v_and_b32_e32 v89, 0x80000000, v91
	v_cmp_lt_i16_e64 s17, 0x7f, v9
	s_and_b32 vcc_lo, exec_lo, s23
	v_lshlrev_b32_e32 v8, 20, v8
	v_or3_b32 v8, v89, v90, v8
                                        ; implicit-def: $vgpr90
	s_cbranch_vccz .LBB2_5296
; %bb.5283:                             ;   in Loop: Header=BB2_4922 Depth=3
	s_mov_b32 s73, 0
	s_and_saveexec_b32 s74, s17
	s_xor_b32 s17, exec_lo, s74
	s_cbranch_execz .LBB2_5576
; %bb.5284:                             ;   in Loop: Header=BB2_4922 Depth=3
	s_mov_b32 s73, -1
	s_mov_b32 s74, exec_lo
	v_cmpx_eq_u16_e32 0x80, v9
; %bb.5285:                             ;   in Loop: Header=BB2_4922 Depth=3
	s_xor_b32 s73, exec_lo, -1
; %bb.5286:                             ;   in Loop: Header=BB2_4922 Depth=3
	s_or_b32 exec_lo, exec_lo, s74
	s_and_b32 s73, s73, exec_lo
	s_or_saveexec_b32 s17, s17
	v_mov_b32_e32 v89, 0x7f800001
	s_xor_b32 exec_lo, exec_lo, s17
	s_cbranch_execnz .LBB2_5577
.LBB2_5287:                             ;   in Loop: Header=BB2_4922 Depth=3
	s_or_b32 exec_lo, exec_lo, s17
	s_and_saveexec_b32 s17, s73
	s_cbranch_execz .LBB2_5289
.LBB2_5288:                             ;   in Loop: Header=BB2_4922 Depth=3
	v_bfe_u32 v89, v14, 16, 3
	v_bfe_u32 v92, v14, 19, 4
	v_lshlrev_b32_sdwa v93, v113, v14 dst_sel:DWORD dst_unused:UNUSED_PAD src0_sel:DWORD src1_sel:WORD_1
	v_ffbh_u32_e32 v90, v89
	v_cmp_eq_u32_e32 vcc_lo, 0, v92
	v_min_u32_e32 v90, 32, v90
	v_subrev_nc_u32_e32 v91, 28, v90
	v_sub_nc_u32_e32 v90, 29, v90
	v_lshlrev_b32_sdwa v91, v91, v14 dst_sel:DWORD dst_unused:UNUSED_PAD src0_sel:DWORD src1_sel:WORD_1
	v_cndmask_b32_e32 v90, v92, v90, vcc_lo
	v_and_b32_e32 v91, 7, v91
	v_lshl_add_u32 v90, v90, 23, 0x3b800000
	v_cndmask_b32_e32 v89, v89, v91, vcc_lo
	v_and_b32_e32 v91, 0x80000000, v93
	v_lshlrev_b32_e32 v89, 20, v89
	v_or3_b32 v89, v91, v90, v89
.LBB2_5289:                             ;   in Loop: Header=BB2_4922 Depth=3
	s_or_b32 exec_lo, exec_lo, s17
	v_and_b32_sdwa v91, v10, v114 dst_sel:DWORD dst_unused:UNUSED_PAD src0_sel:WORD_1 src1_sel:DWORD
	s_mov_b32 s17, 0
	s_mov_b32 s73, exec_lo
	v_cmpx_lt_i16_e32 0x7f, v91
	s_xor_b32 s73, exec_lo, s73
	s_cbranch_execz .LBB2_5578
; %bb.5290:                             ;   in Loop: Header=BB2_4922 Depth=3
	s_mov_b32 s17, -1
	s_mov_b32 s74, exec_lo
	v_cmpx_eq_u16_e32 0x80, v91
; %bb.5291:                             ;   in Loop: Header=BB2_4922 Depth=3
	s_xor_b32 s17, exec_lo, -1
; %bb.5292:                             ;   in Loop: Header=BB2_4922 Depth=3
	s_or_b32 exec_lo, exec_lo, s74
	s_and_b32 s17, s17, exec_lo
                                        ; implicit-def: $vgpr91
	s_or_saveexec_b32 s73, s73
	v_mov_b32_e32 v90, 0x7f800001
	s_xor_b32 exec_lo, exec_lo, s73
	s_cbranch_execnz .LBB2_5579
.LBB2_5293:                             ;   in Loop: Header=BB2_4922 Depth=3
	s_or_b32 exec_lo, exec_lo, s73
	s_and_saveexec_b32 s73, s17
.LBB2_5294:                             ;   in Loop: Header=BB2_4922 Depth=3
	v_mov_b32_e32 v90, v8
.LBB2_5295:                             ;   in Loop: Header=BB2_4922 Depth=3
	s_or_b32 exec_lo, exec_lo, s73
	v_max_f32_e32 v90, v90, v90
	v_max_f32_e32 v89, v89, v89
	s_mov_b32 s73, 0
	v_max_f32_e32 v90, v89, v90
.LBB2_5296:                             ;   in Loop: Header=BB2_4922 Depth=3
	s_and_b32 vcc_lo, exec_lo, s73
	s_cbranch_vccz .LBB2_5310
; %bb.5297:                             ;   in Loop: Header=BB2_4922 Depth=3
	s_mov_b32 s17, 0
	s_mov_b32 s73, exec_lo
	v_cmpx_lt_i16_e32 0x7f, v9
	s_xor_b32 s73, exec_lo, s73
	s_cbranch_execz .LBB2_5580
; %bb.5298:                             ;   in Loop: Header=BB2_4922 Depth=3
	s_mov_b32 s17, -1
	s_mov_b32 s74, exec_lo
	v_cmpx_eq_u16_e32 0x80, v9
; %bb.5299:                             ;   in Loop: Header=BB2_4922 Depth=3
	s_xor_b32 s17, exec_lo, -1
; %bb.5300:                             ;   in Loop: Header=BB2_4922 Depth=3
	s_or_b32 exec_lo, exec_lo, s74
	s_and_b32 s17, s17, exec_lo
                                        ; implicit-def: $vgpr9
	s_or_saveexec_b32 s73, s73
	v_mov_b32_e32 v89, 0x7f800001
	s_xor_b32 exec_lo, exec_lo, s73
	s_cbranch_execnz .LBB2_5581
.LBB2_5301:                             ;   in Loop: Header=BB2_4922 Depth=3
	s_or_b32 exec_lo, exec_lo, s73
	s_and_saveexec_b32 s73, s17
	s_cbranch_execz .LBB2_5303
.LBB2_5302:                             ;   in Loop: Header=BB2_4922 Depth=3
	v_bfe_u32 v9, v14, 16, 3
	v_bfe_u32 v91, v14, 19, 4
	v_lshlrev_b32_sdwa v92, v113, v14 dst_sel:DWORD dst_unused:UNUSED_PAD src0_sel:DWORD src1_sel:WORD_1
	v_ffbh_u32_e32 v89, v9
	v_cmp_eq_u32_e32 vcc_lo, 0, v91
	v_min_u32_e32 v89, 32, v89
	v_subrev_nc_u32_e32 v90, 28, v89
	v_sub_nc_u32_e32 v89, 29, v89
	v_lshlrev_b32_sdwa v90, v90, v14 dst_sel:DWORD dst_unused:UNUSED_PAD src0_sel:DWORD src1_sel:WORD_1
	v_cndmask_b32_e32 v89, v91, v89, vcc_lo
	v_and_b32_e32 v90, 7, v90
	v_lshl_add_u32 v89, v89, 23, 0x3b800000
	v_cndmask_b32_e32 v9, v9, v90, vcc_lo
	v_and_b32_e32 v90, 0x80000000, v92
	v_lshlrev_b32_e32 v9, 20, v9
	v_or3_b32 v89, v90, v89, v9
.LBB2_5303:                             ;   in Loop: Header=BB2_4922 Depth=3
	s_or_b32 exec_lo, exec_lo, s73
	v_and_b32_sdwa v90, v10, v114 dst_sel:DWORD dst_unused:UNUSED_PAD src0_sel:WORD_1 src1_sel:DWORD
	s_mov_b32 s17, 0
	s_mov_b32 s73, exec_lo
	v_cmpx_lt_i16_e32 0x7f, v90
	s_xor_b32 s73, exec_lo, s73
	s_cbranch_execz .LBB2_5582
; %bb.5304:                             ;   in Loop: Header=BB2_4922 Depth=3
	s_mov_b32 s17, -1
	s_mov_b32 s74, exec_lo
	v_cmpx_eq_u16_e32 0x80, v90
; %bb.5305:                             ;   in Loop: Header=BB2_4922 Depth=3
	s_xor_b32 s17, exec_lo, -1
; %bb.5306:                             ;   in Loop: Header=BB2_4922 Depth=3
	s_or_b32 exec_lo, exec_lo, s74
	s_and_b32 s17, s17, exec_lo
                                        ; implicit-def: $vgpr90
	s_or_saveexec_b32 s73, s73
	v_mov_b32_e32 v9, 0x7f800001
	s_xor_b32 exec_lo, exec_lo, s73
	s_cbranch_execnz .LBB2_5583
.LBB2_5307:                             ;   in Loop: Header=BB2_4922 Depth=3
	s_or_b32 exec_lo, exec_lo, s73
	s_and_saveexec_b32 s73, s17
.LBB2_5308:                             ;   in Loop: Header=BB2_4922 Depth=3
	v_mov_b32_e32 v9, v8
.LBB2_5309:                             ;   in Loop: Header=BB2_4922 Depth=3
	s_or_b32 exec_lo, exec_lo, s73
	v_max_f32_e32 v8, v9, v9
	v_max_f32_e32 v9, v89, v89
	v_min_f32_e32 v90, v9, v8
.LBB2_5310:                             ;   in Loop: Header=BB2_4922 Depth=3
	v_and_b32_e32 v8, 0x7f800000, v90
	v_mov_b32_e32 v89, 0x80
	s_mov_b32 s73, exec_lo
	v_cmpx_ne_u32_e32 0x7f800000, v8
	s_cbranch_execz .LBB2_5318
; %bb.5311:                             ;   in Loop: Header=BB2_4922 Depth=3
	v_mov_b32_e32 v89, 0
	s_mov_b32 s74, exec_lo
	v_cmpx_ne_u32_e32 0, v90
	s_cbranch_execz .LBB2_5317
; %bb.5312:                             ;   in Loop: Header=BB2_4922 Depth=3
	v_bfe_u32 v8, v90, 23, 8
	v_and_b32_e32 v9, 0x7fffff, v90
	v_sub_nc_u32_e32 v89, 0x78, v8
	v_cmp_gt_u32_e32 vcc_lo, 0x79, v8
	v_or_b32_e32 v91, 0x800000, v9
	v_cndmask_b32_e32 v89, 0, v89, vcc_lo
	v_cmp_eq_u32_e32 vcc_lo, 0, v8
	v_add_nc_u32_e32 v8, 0xffffff89, v8
	v_cndmask_b32_e64 v89, v89, 0x77, vcc_lo
	v_cndmask_b32_e32 v9, v91, v9, vcc_lo
	v_cndmask_b32_e64 v8, v8, 0xffffff8a, vcc_lo
	v_lshl_add_u32 v91, 0x100000, v89, -1
	v_lshrrev_b32_e32 v92, v89, v9
	v_lshlrev_b32_e64 v94, v89, 0x80000
	v_add_nc_u32_e32 v89, v89, v8
	v_and_b32_e32 v9, v91, v9
	v_bfe_u32 v93, v92, 20, 1
	v_cmp_eq_u32_e64 s17, v9, v94
	v_add_nc_u32_e32 v91, -1, v93
	v_cndmask_b32_e64 v9, 0, v91, s17
	v_lshrrev_b32_e32 v91, 23, v92
	s_mov_b32 s17, exec_lo
	v_add_nc_u32_e32 v9, v9, v92
	v_xor_b32_e32 v91, 1, v91
	v_and_b32_e32 v8, 0xfffff, v9
	v_add_nc_u32_e32 v9, v8, v92
                                        ; implicit-def: $vgpr8
	v_cmpx_ne_u32_e64 v89, v91
	s_xor_b32 s17, exec_lo, s17
; %bb.5313:                             ;   in Loop: Header=BB2_4922 Depth=3
	v_cmp_lt_u32_e32 vcc_lo, 0xffffff, v9
	v_sub_nc_u32_e32 v8, v89, v91
	v_cndmask_b32_e64 v89, 0, 1, vcc_lo
	v_add_co_ci_u32_e64 v8, null, 0, v8, vcc_lo
	v_lshrrev_b32_e32 v9, v89, v9
; %bb.5314:                             ;   in Loop: Header=BB2_4922 Depth=3
	s_andn2_saveexec_b32 s17, s17
; %bb.5315:                             ;   in Loop: Header=BB2_4922 Depth=3
	v_bfe_u32 v8, v9, 23, 1
; %bb.5316:                             ;   in Loop: Header=BB2_4922 Depth=3
	s_or_b32 exec_lo, exec_lo, s17
	v_lshrrev_b32_e32 v9, 20, v9
	v_min_i32_e32 v89, 15, v8
	v_cmp_gt_i32_e32 vcc_lo, 16, v8
	v_and_b32_sdwa v90, v90, v103 dst_sel:DWORD dst_unused:UNUSED_PAD src0_sel:BYTE_3 src1_sel:DWORD
	v_lshlrev_b32_e32 v89, 3, v89
	v_cndmask_b32_e32 v9, 7, v9, vcc_lo
	v_and_b32_e32 v89, 0xf8, v89
	v_and_b32_e32 v91, 7, v9
	v_or_b32_e32 v8, v8, v9
	v_or3_b32 v9, v89, v90, v91
	v_cmp_ne_u32_e32 vcc_lo, 0, v8
	v_cndmask_b32_e32 v89, 0, v9, vcc_lo
.LBB2_5317:                             ;   in Loop: Header=BB2_4922 Depth=3
	s_or_b32 exec_lo, exec_lo, s74
.LBB2_5318:                             ;   in Loop: Header=BB2_4922 Depth=3
	s_or_b32 exec_lo, exec_lo, s73
	v_bfe_u32 v8, v10, 24, 3
	v_bfe_u32 v91, v10, 27, 4
	v_cmp_gt_i16_sdwa s73, v14, v102 src0_sel:BYTE_3 src1_sel:DWORD
	s_mov_b32 s17, -1
	v_ffbh_u32_e32 v9, v8
	v_cmp_eq_u32_e32 vcc_lo, 0, v91
	v_min_u32_e32 v9, 32, v9
	v_subrev_nc_u32_e32 v90, 28, v9
	v_sub_nc_u32_e32 v9, 29, v9
	v_lshlrev_b32_sdwa v90, v90, v10 dst_sel:DWORD dst_unused:UNUSED_PAD src0_sel:DWORD src1_sel:BYTE_3
	v_cndmask_b32_e32 v9, v91, v9, vcc_lo
	v_and_b32_e32 v90, 7, v90
	v_lshl_add_u32 v9, v9, 23, 0x3b800000
	v_cndmask_b32_e32 v8, v8, v90, vcc_lo
	v_and_b32_e32 v90, 0x80000000, v10
	s_and_b32 vcc_lo, exec_lo, s23
	v_lshlrev_b32_e32 v8, 20, v8
	v_or3_b32 v8, v90, v9, v8
                                        ; implicit-def: $vgpr9
	s_cbranch_vccz .LBB2_5332
; %bb.5319:                             ;   in Loop: Header=BB2_4922 Depth=3
	s_mov_b32 s17, 0
	s_and_saveexec_b32 s74, s73
	s_xor_b32 s73, exec_lo, s74
	s_cbranch_execz .LBB2_5584
; %bb.5320:                             ;   in Loop: Header=BB2_4922 Depth=3
	v_cmp_eq_u16_sdwa s75, v14, v103 src0_sel:BYTE_3 src1_sel:DWORD
	s_mov_b32 s17, -1
	s_and_saveexec_b32 s74, s75
; %bb.5321:                             ;   in Loop: Header=BB2_4922 Depth=3
	s_xor_b32 s17, exec_lo, -1
; %bb.5322:                             ;   in Loop: Header=BB2_4922 Depth=3
	s_or_b32 exec_lo, exec_lo, s74
	s_and_b32 s17, s17, exec_lo
	s_or_saveexec_b32 s73, s73
	v_mov_b32_e32 v9, 0x7f800001
	s_xor_b32 exec_lo, exec_lo, s73
	s_cbranch_execnz .LBB2_5585
.LBB2_5323:                             ;   in Loop: Header=BB2_4922 Depth=3
	s_or_b32 exec_lo, exec_lo, s73
	s_and_saveexec_b32 s73, s17
	s_cbranch_execz .LBB2_5325
.LBB2_5324:                             ;   in Loop: Header=BB2_4922 Depth=3
	v_bfe_u32 v9, v14, 24, 3
	v_bfe_u32 v92, v14, 27, 4
	v_ffbh_u32_e32 v90, v9
	v_cmp_eq_u32_e32 vcc_lo, 0, v92
	v_min_u32_e32 v90, 32, v90
	v_subrev_nc_u32_e32 v91, 28, v90
	v_sub_nc_u32_e32 v90, 29, v90
	v_lshlrev_b32_sdwa v91, v91, v14 dst_sel:DWORD dst_unused:UNUSED_PAD src0_sel:DWORD src1_sel:BYTE_3
	v_cndmask_b32_e32 v90, v92, v90, vcc_lo
	v_and_b32_e32 v91, 7, v91
	v_lshl_add_u32 v90, v90, 23, 0x3b800000
	v_cndmask_b32_e32 v9, v9, v91, vcc_lo
	v_and_b32_e32 v91, 0x80000000, v14
	v_lshlrev_b32_e32 v9, 20, v9
	v_or3_b32 v9, v91, v90, v9
.LBB2_5325:                             ;   in Loop: Header=BB2_4922 Depth=3
	s_or_b32 exec_lo, exec_lo, s73
	v_cmp_gt_i16_sdwa s73, v10, v102 src0_sel:BYTE_3 src1_sel:DWORD
	s_mov_b32 s17, 0
	s_and_saveexec_b32 s74, s73
	s_xor_b32 s73, exec_lo, s74
	s_cbranch_execz .LBB2_5586
; %bb.5326:                             ;   in Loop: Header=BB2_4922 Depth=3
	v_cmp_eq_u16_sdwa s75, v10, v103 src0_sel:BYTE_3 src1_sel:DWORD
	s_mov_b32 s17, -1
	s_and_saveexec_b32 s74, s75
; %bb.5327:                             ;   in Loop: Header=BB2_4922 Depth=3
	s_xor_b32 s17, exec_lo, -1
; %bb.5328:                             ;   in Loop: Header=BB2_4922 Depth=3
	s_or_b32 exec_lo, exec_lo, s74
	s_and_b32 s17, s17, exec_lo
	s_or_saveexec_b32 s73, s73
	v_mov_b32_e32 v90, 0x7f800001
	s_xor_b32 exec_lo, exec_lo, s73
	s_cbranch_execnz .LBB2_5587
.LBB2_5329:                             ;   in Loop: Header=BB2_4922 Depth=3
	s_or_b32 exec_lo, exec_lo, s73
	s_and_saveexec_b32 s73, s17
.LBB2_5330:                             ;   in Loop: Header=BB2_4922 Depth=3
	v_mov_b32_e32 v90, v8
.LBB2_5331:                             ;   in Loop: Header=BB2_4922 Depth=3
	s_or_b32 exec_lo, exec_lo, s73
	v_max_f32_e32 v90, v90, v90
	v_max_f32_e32 v9, v9, v9
	s_mov_b32 s17, 0
	v_max_f32_e32 v9, v9, v90
.LBB2_5332:                             ;   in Loop: Header=BB2_4922 Depth=3
	s_and_b32 vcc_lo, exec_lo, s17
	s_cbranch_vccz .LBB2_5346
; %bb.5333:                             ;   in Loop: Header=BB2_4922 Depth=3
	v_cmp_gt_i16_sdwa s73, v14, v102 src0_sel:BYTE_3 src1_sel:DWORD
	s_mov_b32 s17, 0
	s_and_saveexec_b32 s74, s73
	s_xor_b32 s73, exec_lo, s74
	s_cbranch_execz .LBB2_5588
; %bb.5334:                             ;   in Loop: Header=BB2_4922 Depth=3
	v_cmp_eq_u16_sdwa s75, v14, v103 src0_sel:BYTE_3 src1_sel:DWORD
	s_mov_b32 s17, -1
	s_and_saveexec_b32 s74, s75
; %bb.5335:                             ;   in Loop: Header=BB2_4922 Depth=3
	s_xor_b32 s17, exec_lo, -1
; %bb.5336:                             ;   in Loop: Header=BB2_4922 Depth=3
	s_or_b32 exec_lo, exec_lo, s74
	s_and_b32 s17, s17, exec_lo
	s_or_saveexec_b32 s73, s73
	v_mov_b32_e32 v9, 0x7f800001
	s_xor_b32 exec_lo, exec_lo, s73
	s_cbranch_execnz .LBB2_5589
.LBB2_5337:                             ;   in Loop: Header=BB2_4922 Depth=3
	s_or_b32 exec_lo, exec_lo, s73
	s_and_saveexec_b32 s73, s17
	s_cbranch_execz .LBB2_5339
.LBB2_5338:                             ;   in Loop: Header=BB2_4922 Depth=3
	v_bfe_u32 v9, v14, 24, 3
	v_bfe_u32 v92, v14, 27, 4
	v_ffbh_u32_e32 v90, v9
	v_cmp_eq_u32_e32 vcc_lo, 0, v92
	v_min_u32_e32 v90, 32, v90
	v_subrev_nc_u32_e32 v91, 28, v90
	v_sub_nc_u32_e32 v90, 29, v90
	v_lshlrev_b32_sdwa v91, v91, v14 dst_sel:DWORD dst_unused:UNUSED_PAD src0_sel:DWORD src1_sel:BYTE_3
	v_cndmask_b32_e32 v90, v92, v90, vcc_lo
	v_and_b32_e32 v14, 0x80000000, v14
	v_and_b32_e32 v91, 7, v91
	v_lshl_add_u32 v90, v90, 23, 0x3b800000
	v_cndmask_b32_e32 v9, v9, v91, vcc_lo
	v_lshlrev_b32_e32 v9, 20, v9
	v_or3_b32 v9, v14, v90, v9
.LBB2_5339:                             ;   in Loop: Header=BB2_4922 Depth=3
	s_or_b32 exec_lo, exec_lo, s73
	v_cmp_gt_i16_sdwa s73, v10, v102 src0_sel:BYTE_3 src1_sel:DWORD
	s_mov_b32 s17, 0
	s_and_saveexec_b32 s74, s73
	s_xor_b32 s73, exec_lo, s74
	s_cbranch_execz .LBB2_5590
; %bb.5340:                             ;   in Loop: Header=BB2_4922 Depth=3
	v_cmp_eq_u16_sdwa s75, v10, v103 src0_sel:BYTE_3 src1_sel:DWORD
	s_mov_b32 s17, -1
	s_and_saveexec_b32 s74, s75
; %bb.5341:                             ;   in Loop: Header=BB2_4922 Depth=3
	s_xor_b32 s17, exec_lo, -1
; %bb.5342:                             ;   in Loop: Header=BB2_4922 Depth=3
	s_or_b32 exec_lo, exec_lo, s74
	s_and_b32 s17, s17, exec_lo
	s_or_saveexec_b32 s73, s73
	v_mov_b32_e32 v14, 0x7f800001
	s_xor_b32 exec_lo, exec_lo, s73
	s_cbranch_execnz .LBB2_5591
.LBB2_5343:                             ;   in Loop: Header=BB2_4922 Depth=3
	s_or_b32 exec_lo, exec_lo, s73
	s_and_saveexec_b32 s73, s17
.LBB2_5344:                             ;   in Loop: Header=BB2_4922 Depth=3
	v_mov_b32_e32 v14, v8
.LBB2_5345:                             ;   in Loop: Header=BB2_4922 Depth=3
	s_or_b32 exec_lo, exec_lo, s73
	v_max_f32_e32 v8, v14, v14
	v_max_f32_e32 v9, v9, v9
	v_min_f32_e32 v9, v9, v8
.LBB2_5346:                             ;   in Loop: Header=BB2_4922 Depth=3
	v_and_b32_e32 v8, 0x7f800000, v9
	v_mov_b32_e32 v14, 0x8000
	s_mov_b32 s73, exec_lo
	v_cmpx_ne_u32_e32 0x7f800000, v8
	s_cbranch_execz .LBB2_5354
; %bb.5347:                             ;   in Loop: Header=BB2_4922 Depth=3
	v_mov_b32_e32 v14, 0
	s_mov_b32 s74, exec_lo
	v_cmpx_ne_u32_e32 0, v9
	s_cbranch_execz .LBB2_5353
; %bb.5348:                             ;   in Loop: Header=BB2_4922 Depth=3
	v_bfe_u32 v8, v9, 23, 8
	v_and_b32_e32 v10, 0x7fffff, v9
	v_sub_nc_u32_e32 v14, 0x78, v8
	v_cmp_gt_u32_e32 vcc_lo, 0x79, v8
	v_or_b32_e32 v90, 0x800000, v10
	v_cndmask_b32_e32 v14, 0, v14, vcc_lo
	v_cmp_eq_u32_e32 vcc_lo, 0, v8
	v_add_nc_u32_e32 v8, 0xffffff89, v8
	v_cndmask_b32_e64 v14, v14, 0x77, vcc_lo
	v_cndmask_b32_e32 v10, v90, v10, vcc_lo
	v_cndmask_b32_e64 v8, v8, 0xffffff8a, vcc_lo
	v_lshl_add_u32 v90, 0x100000, v14, -1
	v_lshrrev_b32_e32 v91, v14, v10
	v_lshlrev_b32_e64 v93, v14, 0x80000
	v_add_nc_u32_e32 v14, v14, v8
	v_and_b32_e32 v10, v90, v10
	v_bfe_u32 v92, v91, 20, 1
	v_cmp_eq_u32_e64 s17, v10, v93
	v_add_nc_u32_e32 v90, -1, v92
	v_cndmask_b32_e64 v10, 0, v90, s17
	v_lshrrev_b32_e32 v90, 23, v91
	s_mov_b32 s17, exec_lo
	v_add_nc_u32_e32 v10, v10, v91
	v_xor_b32_e32 v90, 1, v90
	v_and_b32_e32 v8, 0xfffff, v10
	v_add_nc_u32_e32 v10, v8, v91
                                        ; implicit-def: $vgpr8
	v_cmpx_ne_u32_e64 v14, v90
	s_xor_b32 s17, exec_lo, s17
; %bb.5349:                             ;   in Loop: Header=BB2_4922 Depth=3
	v_cmp_lt_u32_e32 vcc_lo, 0xffffff, v10
	v_sub_nc_u32_e32 v8, v14, v90
	v_cndmask_b32_e64 v14, 0, 1, vcc_lo
	v_add_co_ci_u32_e64 v8, null, 0, v8, vcc_lo
	v_lshrrev_b32_e32 v10, v14, v10
; %bb.5350:                             ;   in Loop: Header=BB2_4922 Depth=3
	s_andn2_saveexec_b32 s17, s17
; %bb.5351:                             ;   in Loop: Header=BB2_4922 Depth=3
	v_bfe_u32 v8, v10, 23, 1
; %bb.5352:                             ;   in Loop: Header=BB2_4922 Depth=3
	s_or_b32 exec_lo, exec_lo, s17
	v_lshrrev_b32_e32 v10, 20, v10
	v_min_i32_e32 v14, 15, v8
	v_cmp_gt_i32_e32 vcc_lo, 16, v8
	v_and_b32_sdwa v9, v9, v103 dst_sel:DWORD dst_unused:UNUSED_PAD src0_sel:BYTE_3 src1_sel:DWORD
	v_lshlrev_b32_e32 v14, 3, v14
	v_cndmask_b32_e32 v10, 7, v10, vcc_lo
	v_and_b32_e32 v14, 0xf8, v14
	v_and_b32_e32 v90, 7, v10
	v_or_b32_e32 v8, v8, v10
	v_or3_b32 v9, v9, v14, v90
	v_cmp_ne_u32_e32 vcc_lo, 0, v8
	v_lshlrev_b32_e32 v9, 8, v9
	v_cndmask_b32_e32 v14, 0, v9, vcc_lo
.LBB2_5353:                             ;   in Loop: Header=BB2_4922 Depth=3
	s_or_b32 exec_lo, exec_lo, s74
.LBB2_5354:                             ;   in Loop: Header=BB2_4922 Depth=3
	s_or_b32 exec_lo, exec_lo, s73
	v_and_b32_e32 v8, 7, v11
	v_bfe_u32 v90, v11, 3, 4
	v_lshlrev_b32_e32 v91, 24, v11
	v_cmp_gt_i16_sdwa s73, v15, v102 src0_sel:BYTE_0 src1_sel:DWORD
	s_mov_b32 s17, -1
	v_ffbh_u32_e32 v9, v8
	v_cmp_eq_u32_e32 vcc_lo, 0, v90
	v_min_u32_e32 v9, 32, v9
	v_subrev_nc_u32_e32 v10, 28, v9
	v_sub_nc_u32_e32 v9, 29, v9
	v_lshlrev_b32_e32 v10, v10, v11
	v_cndmask_b32_e32 v9, v90, v9, vcc_lo
	v_and_b32_e32 v10, 7, v10
	v_lshl_add_u32 v9, v9, 23, 0x3b800000
	v_cndmask_b32_e32 v8, v8, v10, vcc_lo
	v_and_b32_e32 v10, 0x80000000, v91
	s_and_b32 vcc_lo, exec_lo, s23
	v_lshlrev_b32_e32 v8, 20, v8
	v_or3_b32 v8, v10, v9, v8
                                        ; implicit-def: $vgpr9
	s_cbranch_vccz .LBB2_5368
; %bb.5355:                             ;   in Loop: Header=BB2_4922 Depth=3
	s_mov_b32 s17, 0
	s_and_saveexec_b32 s74, s73
	s_xor_b32 s73, exec_lo, s74
	s_cbranch_execz .LBB2_5592
; %bb.5356:                             ;   in Loop: Header=BB2_4922 Depth=3
	v_cmp_eq_u16_sdwa s75, v15, v103 src0_sel:BYTE_0 src1_sel:DWORD
	s_mov_b32 s17, -1
	s_and_saveexec_b32 s74, s75
; %bb.5357:                             ;   in Loop: Header=BB2_4922 Depth=3
	s_xor_b32 s17, exec_lo, -1
; %bb.5358:                             ;   in Loop: Header=BB2_4922 Depth=3
	s_or_b32 exec_lo, exec_lo, s74
	s_and_b32 s17, s17, exec_lo
	s_or_saveexec_b32 s73, s73
	v_mov_b32_e32 v9, 0x7f800001
	s_xor_b32 exec_lo, exec_lo, s73
	s_cbranch_execnz .LBB2_5593
.LBB2_5359:                             ;   in Loop: Header=BB2_4922 Depth=3
	s_or_b32 exec_lo, exec_lo, s73
	s_and_saveexec_b32 s73, s17
	s_cbranch_execz .LBB2_5361
.LBB2_5360:                             ;   in Loop: Header=BB2_4922 Depth=3
	v_and_b32_e32 v9, 7, v15
	v_bfe_u32 v91, v15, 3, 4
	v_lshlrev_b32_e32 v92, 24, v15
	v_ffbh_u32_e32 v10, v9
	v_cmp_eq_u32_e32 vcc_lo, 0, v91
	v_min_u32_e32 v10, 32, v10
	v_subrev_nc_u32_e32 v90, 28, v10
	v_sub_nc_u32_e32 v10, 29, v10
	v_lshlrev_b32_e32 v90, v90, v15
	v_cndmask_b32_e32 v10, v91, v10, vcc_lo
	v_and_b32_e32 v90, 7, v90
	v_lshl_add_u32 v10, v10, 23, 0x3b800000
	v_cndmask_b32_e32 v9, v9, v90, vcc_lo
	v_and_b32_e32 v90, 0x80000000, v92
	v_lshlrev_b32_e32 v9, 20, v9
	v_or3_b32 v9, v90, v10, v9
.LBB2_5361:                             ;   in Loop: Header=BB2_4922 Depth=3
	s_or_b32 exec_lo, exec_lo, s73
	v_cmp_gt_i16_sdwa s73, v11, v102 src0_sel:BYTE_0 src1_sel:DWORD
	s_mov_b32 s17, 0
	s_and_saveexec_b32 s74, s73
	s_xor_b32 s73, exec_lo, s74
	s_cbranch_execz .LBB2_5594
; %bb.5362:                             ;   in Loop: Header=BB2_4922 Depth=3
	v_cmp_eq_u16_sdwa s75, v11, v103 src0_sel:BYTE_0 src1_sel:DWORD
	s_mov_b32 s17, -1
	s_and_saveexec_b32 s74, s75
; %bb.5363:                             ;   in Loop: Header=BB2_4922 Depth=3
	s_xor_b32 s17, exec_lo, -1
; %bb.5364:                             ;   in Loop: Header=BB2_4922 Depth=3
	s_or_b32 exec_lo, exec_lo, s74
	s_and_b32 s17, s17, exec_lo
	s_or_saveexec_b32 s73, s73
	v_mov_b32_e32 v10, 0x7f800001
	s_xor_b32 exec_lo, exec_lo, s73
	s_cbranch_execnz .LBB2_5595
.LBB2_5365:                             ;   in Loop: Header=BB2_4922 Depth=3
	s_or_b32 exec_lo, exec_lo, s73
	s_and_saveexec_b32 s73, s17
.LBB2_5366:                             ;   in Loop: Header=BB2_4922 Depth=3
	v_mov_b32_e32 v10, v8
.LBB2_5367:                             ;   in Loop: Header=BB2_4922 Depth=3
	s_or_b32 exec_lo, exec_lo, s73
	v_max_f32_e32 v10, v10, v10
	v_max_f32_e32 v9, v9, v9
	s_mov_b32 s17, 0
	v_max_f32_e32 v9, v9, v10
.LBB2_5368:                             ;   in Loop: Header=BB2_4922 Depth=3
	s_and_b32 vcc_lo, exec_lo, s17
	s_cbranch_vccz .LBB2_5382
; %bb.5369:                             ;   in Loop: Header=BB2_4922 Depth=3
	v_cmp_gt_i16_sdwa s73, v15, v102 src0_sel:BYTE_0 src1_sel:DWORD
	s_mov_b32 s17, 0
	s_and_saveexec_b32 s74, s73
	s_xor_b32 s73, exec_lo, s74
	s_cbranch_execz .LBB2_5596
; %bb.5370:                             ;   in Loop: Header=BB2_4922 Depth=3
	v_cmp_eq_u16_sdwa s75, v15, v103 src0_sel:BYTE_0 src1_sel:DWORD
	s_mov_b32 s17, -1
	s_and_saveexec_b32 s74, s75
; %bb.5371:                             ;   in Loop: Header=BB2_4922 Depth=3
	s_xor_b32 s17, exec_lo, -1
; %bb.5372:                             ;   in Loop: Header=BB2_4922 Depth=3
	s_or_b32 exec_lo, exec_lo, s74
	s_and_b32 s17, s17, exec_lo
	s_or_saveexec_b32 s73, s73
	v_mov_b32_e32 v9, 0x7f800001
	s_xor_b32 exec_lo, exec_lo, s73
	s_cbranch_execnz .LBB2_5597
.LBB2_5373:                             ;   in Loop: Header=BB2_4922 Depth=3
	s_or_b32 exec_lo, exec_lo, s73
	s_and_saveexec_b32 s73, s17
	s_cbranch_execz .LBB2_5375
.LBB2_5374:                             ;   in Loop: Header=BB2_4922 Depth=3
	v_and_b32_e32 v9, 7, v15
	v_bfe_u32 v91, v15, 3, 4
	v_lshlrev_b32_e32 v92, 24, v15
	v_ffbh_u32_e32 v10, v9
	v_cmp_eq_u32_e32 vcc_lo, 0, v91
	v_min_u32_e32 v10, 32, v10
	v_subrev_nc_u32_e32 v90, 28, v10
	v_sub_nc_u32_e32 v10, 29, v10
	v_lshlrev_b32_e32 v90, v90, v15
	v_cndmask_b32_e32 v10, v91, v10, vcc_lo
	v_and_b32_e32 v90, 7, v90
	v_lshl_add_u32 v10, v10, 23, 0x3b800000
	v_cndmask_b32_e32 v9, v9, v90, vcc_lo
	v_and_b32_e32 v90, 0x80000000, v92
	v_lshlrev_b32_e32 v9, 20, v9
	v_or3_b32 v9, v90, v10, v9
.LBB2_5375:                             ;   in Loop: Header=BB2_4922 Depth=3
	s_or_b32 exec_lo, exec_lo, s73
	v_cmp_gt_i16_sdwa s73, v11, v102 src0_sel:BYTE_0 src1_sel:DWORD
	s_mov_b32 s17, 0
	s_and_saveexec_b32 s74, s73
	s_xor_b32 s73, exec_lo, s74
	s_cbranch_execz .LBB2_5598
; %bb.5376:                             ;   in Loop: Header=BB2_4922 Depth=3
	v_cmp_eq_u16_sdwa s75, v11, v103 src0_sel:BYTE_0 src1_sel:DWORD
	s_mov_b32 s17, -1
	s_and_saveexec_b32 s74, s75
; %bb.5377:                             ;   in Loop: Header=BB2_4922 Depth=3
	s_xor_b32 s17, exec_lo, -1
; %bb.5378:                             ;   in Loop: Header=BB2_4922 Depth=3
	s_or_b32 exec_lo, exec_lo, s74
	s_and_b32 s17, s17, exec_lo
	s_or_saveexec_b32 s73, s73
	v_mov_b32_e32 v10, 0x7f800001
	s_xor_b32 exec_lo, exec_lo, s73
	s_cbranch_execnz .LBB2_5599
.LBB2_5379:                             ;   in Loop: Header=BB2_4922 Depth=3
	s_or_b32 exec_lo, exec_lo, s73
	s_and_saveexec_b32 s73, s17
.LBB2_5380:                             ;   in Loop: Header=BB2_4922 Depth=3
	v_mov_b32_e32 v10, v8
.LBB2_5381:                             ;   in Loop: Header=BB2_4922 Depth=3
	s_or_b32 exec_lo, exec_lo, s73
	v_max_f32_e32 v8, v10, v10
	v_max_f32_e32 v9, v9, v9
	v_min_f32_e32 v9, v9, v8
.LBB2_5382:                             ;   in Loop: Header=BB2_4922 Depth=3
	v_and_b32_e32 v8, 0x7f800000, v9
	v_mov_b32_e32 v90, 0x80
	s_mov_b32 s73, exec_lo
	v_cmpx_ne_u32_e32 0x7f800000, v8
	s_cbranch_execz .LBB2_5390
; %bb.5383:                             ;   in Loop: Header=BB2_4922 Depth=3
	v_mov_b32_e32 v90, 0
	s_mov_b32 s74, exec_lo
	v_cmpx_ne_u32_e32 0, v9
	s_cbranch_execz .LBB2_5389
; %bb.5384:                             ;   in Loop: Header=BB2_4922 Depth=3
	v_bfe_u32 v8, v9, 23, 8
	v_and_b32_e32 v10, 0x7fffff, v9
	v_sub_nc_u32_e32 v90, 0x78, v8
	v_cmp_gt_u32_e32 vcc_lo, 0x79, v8
	v_or_b32_e32 v91, 0x800000, v10
	v_cndmask_b32_e32 v90, 0, v90, vcc_lo
	v_cmp_eq_u32_e32 vcc_lo, 0, v8
	v_add_nc_u32_e32 v8, 0xffffff89, v8
	v_cndmask_b32_e64 v90, v90, 0x77, vcc_lo
	v_cndmask_b32_e32 v10, v91, v10, vcc_lo
	v_cndmask_b32_e64 v8, v8, 0xffffff8a, vcc_lo
	v_lshl_add_u32 v91, 0x100000, v90, -1
	v_lshrrev_b32_e32 v92, v90, v10
	v_lshlrev_b32_e64 v94, v90, 0x80000
	v_add_nc_u32_e32 v90, v90, v8
	v_and_b32_e32 v10, v91, v10
	v_bfe_u32 v93, v92, 20, 1
	v_cmp_eq_u32_e64 s17, v10, v94
	v_add_nc_u32_e32 v91, -1, v93
	v_cndmask_b32_e64 v10, 0, v91, s17
	v_lshrrev_b32_e32 v91, 23, v92
	s_mov_b32 s17, exec_lo
	v_add_nc_u32_e32 v10, v10, v92
	v_xor_b32_e32 v91, 1, v91
	v_and_b32_e32 v8, 0xfffff, v10
	v_add_nc_u32_e32 v10, v8, v92
                                        ; implicit-def: $vgpr8
	v_cmpx_ne_u32_e64 v90, v91
	s_xor_b32 s17, exec_lo, s17
; %bb.5385:                             ;   in Loop: Header=BB2_4922 Depth=3
	v_cmp_lt_u32_e32 vcc_lo, 0xffffff, v10
	v_sub_nc_u32_e32 v8, v90, v91
	v_cndmask_b32_e64 v90, 0, 1, vcc_lo
	v_add_co_ci_u32_e64 v8, null, 0, v8, vcc_lo
	v_lshrrev_b32_e32 v10, v90, v10
; %bb.5386:                             ;   in Loop: Header=BB2_4922 Depth=3
	s_andn2_saveexec_b32 s17, s17
; %bb.5387:                             ;   in Loop: Header=BB2_4922 Depth=3
	v_bfe_u32 v8, v10, 23, 1
; %bb.5388:                             ;   in Loop: Header=BB2_4922 Depth=3
	s_or_b32 exec_lo, exec_lo, s17
	v_lshrrev_b32_e32 v10, 20, v10
	v_min_i32_e32 v90, 15, v8
	v_cmp_gt_i32_e32 vcc_lo, 16, v8
	v_and_b32_sdwa v9, v9, v103 dst_sel:DWORD dst_unused:UNUSED_PAD src0_sel:BYTE_3 src1_sel:DWORD
	v_lshlrev_b32_e32 v90, 3, v90
	v_cndmask_b32_e32 v10, 7, v10, vcc_lo
	v_and_b32_e32 v90, 0xf8, v90
	v_and_b32_e32 v91, 7, v10
	v_or_b32_e32 v8, v8, v10
	v_or3_b32 v9, v90, v9, v91
	v_cmp_ne_u32_e32 vcc_lo, 0, v8
	v_cndmask_b32_e32 v90, 0, v9, vcc_lo
.LBB2_5389:                             ;   in Loop: Header=BB2_4922 Depth=3
	s_or_b32 exec_lo, exec_lo, s74
.LBB2_5390:                             ;   in Loop: Header=BB2_4922 Depth=3
	s_or_b32 exec_lo, exec_lo, s73
	v_and_b32_sdwa v8, v112, v11 dst_sel:DWORD dst_unused:UNUSED_PAD src0_sel:DWORD src1_sel:BYTE_1
	v_cmp_gt_i16_sdwa s73, v15, v102 src0_sel:BYTE_1 src1_sel:DWORD
	s_mov_b32 s17, -1
	v_and_b32_e32 v9, 7, v8
	v_bfe_u32 v92, v8, 3, 4
	v_ffbh_u32_e32 v10, v9
	v_cmp_eq_u32_e32 vcc_lo, 0, v92
	v_min_u32_e32 v10, 32, v10
	v_subrev_nc_u32_e32 v91, 28, v10
	v_sub_nc_u32_e32 v10, 29, v10
	v_lshlrev_b32_e32 v8, v91, v8
	v_lshlrev_b32_sdwa v91, v113, v11 dst_sel:DWORD dst_unused:UNUSED_PAD src0_sel:DWORD src1_sel:BYTE_1
	v_cndmask_b32_e32 v10, v92, v10, vcc_lo
	v_and_b32_e32 v8, 7, v8
	v_lshl_add_u32 v10, v10, 23, 0x3b800000
	v_cndmask_b32_e32 v8, v9, v8, vcc_lo
	v_and_b32_e32 v9, 0x80000000, v91
	s_and_b32 vcc_lo, exec_lo, s23
	v_lshlrev_b32_e32 v8, 20, v8
	v_or3_b32 v8, v9, v10, v8
                                        ; implicit-def: $vgpr9
	s_cbranch_vccz .LBB2_5404
; %bb.5391:                             ;   in Loop: Header=BB2_4922 Depth=3
	s_mov_b32 s17, 0
	s_and_saveexec_b32 s74, s73
	s_xor_b32 s73, exec_lo, s74
	s_cbranch_execz .LBB2_5600
; %bb.5392:                             ;   in Loop: Header=BB2_4922 Depth=3
	v_cmp_eq_u16_sdwa s75, v15, v103 src0_sel:BYTE_1 src1_sel:DWORD
	s_mov_b32 s17, -1
	s_and_saveexec_b32 s74, s75
; %bb.5393:                             ;   in Loop: Header=BB2_4922 Depth=3
	s_xor_b32 s17, exec_lo, -1
; %bb.5394:                             ;   in Loop: Header=BB2_4922 Depth=3
	s_or_b32 exec_lo, exec_lo, s74
	s_and_b32 s17, s17, exec_lo
	s_or_saveexec_b32 s73, s73
	v_mov_b32_e32 v9, 0x7f800001
	s_xor_b32 exec_lo, exec_lo, s73
	s_cbranch_execnz .LBB2_5601
.LBB2_5395:                             ;   in Loop: Header=BB2_4922 Depth=3
	s_or_b32 exec_lo, exec_lo, s73
	s_and_saveexec_b32 s73, s17
	s_cbranch_execz .LBB2_5397
.LBB2_5396:                             ;   in Loop: Header=BB2_4922 Depth=3
	v_and_b32_sdwa v9, v112, v15 dst_sel:DWORD dst_unused:UNUSED_PAD src0_sel:DWORD src1_sel:BYTE_1
	v_and_b32_e32 v10, 7, v9
	v_bfe_u32 v93, v9, 3, 4
	v_ffbh_u32_e32 v91, v10
	v_cmp_eq_u32_e32 vcc_lo, 0, v93
	v_min_u32_e32 v91, 32, v91
	v_subrev_nc_u32_e32 v92, 28, v91
	v_sub_nc_u32_e32 v91, 29, v91
	v_lshlrev_b32_e32 v9, v92, v9
	v_lshlrev_b32_e32 v92, 16, v15
	v_cndmask_b32_e32 v91, v93, v91, vcc_lo
	v_and_b32_e32 v9, 7, v9
	v_lshl_add_u32 v91, v91, 23, 0x3b800000
	v_cndmask_b32_e32 v9, v10, v9, vcc_lo
	v_and_b32_e32 v10, 0x80000000, v92
	v_lshlrev_b32_e32 v9, 20, v9
	v_or3_b32 v9, v10, v91, v9
.LBB2_5397:                             ;   in Loop: Header=BB2_4922 Depth=3
	s_or_b32 exec_lo, exec_lo, s73
	v_cmp_gt_i16_sdwa s73, v11, v102 src0_sel:BYTE_1 src1_sel:DWORD
	s_mov_b32 s17, 0
	s_and_saveexec_b32 s74, s73
	s_xor_b32 s73, exec_lo, s74
	s_cbranch_execz .LBB2_5602
; %bb.5398:                             ;   in Loop: Header=BB2_4922 Depth=3
	v_cmp_eq_u16_sdwa s75, v11, v103 src0_sel:BYTE_1 src1_sel:DWORD
	s_mov_b32 s17, -1
	s_and_saveexec_b32 s74, s75
; %bb.5399:                             ;   in Loop: Header=BB2_4922 Depth=3
	s_xor_b32 s17, exec_lo, -1
; %bb.5400:                             ;   in Loop: Header=BB2_4922 Depth=3
	s_or_b32 exec_lo, exec_lo, s74
	s_and_b32 s17, s17, exec_lo
	s_or_saveexec_b32 s73, s73
	v_mov_b32_e32 v10, 0x7f800001
	s_xor_b32 exec_lo, exec_lo, s73
	s_cbranch_execnz .LBB2_5603
.LBB2_5401:                             ;   in Loop: Header=BB2_4922 Depth=3
	s_or_b32 exec_lo, exec_lo, s73
	s_and_saveexec_b32 s73, s17
.LBB2_5402:                             ;   in Loop: Header=BB2_4922 Depth=3
	v_mov_b32_e32 v10, v8
.LBB2_5403:                             ;   in Loop: Header=BB2_4922 Depth=3
	s_or_b32 exec_lo, exec_lo, s73
	v_max_f32_e32 v10, v10, v10
	v_max_f32_e32 v9, v9, v9
	s_mov_b32 s17, 0
	v_max_f32_e32 v9, v9, v10
.LBB2_5404:                             ;   in Loop: Header=BB2_4922 Depth=3
	s_and_b32 vcc_lo, exec_lo, s17
	s_cbranch_vccz .LBB2_5418
; %bb.5405:                             ;   in Loop: Header=BB2_4922 Depth=3
	v_cmp_gt_i16_sdwa s73, v15, v102 src0_sel:BYTE_1 src1_sel:DWORD
	s_mov_b32 s17, 0
	s_and_saveexec_b32 s74, s73
	s_xor_b32 s73, exec_lo, s74
	s_cbranch_execz .LBB2_5604
; %bb.5406:                             ;   in Loop: Header=BB2_4922 Depth=3
	v_cmp_eq_u16_sdwa s75, v15, v103 src0_sel:BYTE_1 src1_sel:DWORD
	s_mov_b32 s17, -1
	s_and_saveexec_b32 s74, s75
; %bb.5407:                             ;   in Loop: Header=BB2_4922 Depth=3
	s_xor_b32 s17, exec_lo, -1
; %bb.5408:                             ;   in Loop: Header=BB2_4922 Depth=3
	s_or_b32 exec_lo, exec_lo, s74
	s_and_b32 s17, s17, exec_lo
	s_or_saveexec_b32 s73, s73
	v_mov_b32_e32 v9, 0x7f800001
	s_xor_b32 exec_lo, exec_lo, s73
	s_cbranch_execnz .LBB2_5605
.LBB2_5409:                             ;   in Loop: Header=BB2_4922 Depth=3
	s_or_b32 exec_lo, exec_lo, s73
	s_and_saveexec_b32 s73, s17
	s_cbranch_execz .LBB2_5411
.LBB2_5410:                             ;   in Loop: Header=BB2_4922 Depth=3
	v_and_b32_sdwa v9, v112, v15 dst_sel:DWORD dst_unused:UNUSED_PAD src0_sel:DWORD src1_sel:BYTE_1
	v_and_b32_e32 v10, 7, v9
	v_bfe_u32 v93, v9, 3, 4
	v_ffbh_u32_e32 v91, v10
	v_cmp_eq_u32_e32 vcc_lo, 0, v93
	v_min_u32_e32 v91, 32, v91
	v_subrev_nc_u32_e32 v92, 28, v91
	v_sub_nc_u32_e32 v91, 29, v91
	v_lshlrev_b32_e32 v9, v92, v9
	v_lshlrev_b32_e32 v92, 16, v15
	v_cndmask_b32_e32 v91, v93, v91, vcc_lo
	v_and_b32_e32 v9, 7, v9
	v_lshl_add_u32 v91, v91, 23, 0x3b800000
	v_cndmask_b32_e32 v9, v10, v9, vcc_lo
	v_and_b32_e32 v10, 0x80000000, v92
	v_lshlrev_b32_e32 v9, 20, v9
	v_or3_b32 v9, v10, v91, v9
.LBB2_5411:                             ;   in Loop: Header=BB2_4922 Depth=3
	s_or_b32 exec_lo, exec_lo, s73
	v_cmp_gt_i16_sdwa s73, v11, v102 src0_sel:BYTE_1 src1_sel:DWORD
	s_mov_b32 s17, 0
	s_and_saveexec_b32 s74, s73
	s_xor_b32 s73, exec_lo, s74
	s_cbranch_execz .LBB2_5606
; %bb.5412:                             ;   in Loop: Header=BB2_4922 Depth=3
	v_cmp_eq_u16_sdwa s75, v11, v103 src0_sel:BYTE_1 src1_sel:DWORD
	s_mov_b32 s17, -1
	s_and_saveexec_b32 s74, s75
; %bb.5413:                             ;   in Loop: Header=BB2_4922 Depth=3
	s_xor_b32 s17, exec_lo, -1
; %bb.5414:                             ;   in Loop: Header=BB2_4922 Depth=3
	s_or_b32 exec_lo, exec_lo, s74
	s_and_b32 s17, s17, exec_lo
	s_or_saveexec_b32 s73, s73
	v_mov_b32_e32 v10, 0x7f800001
	s_xor_b32 exec_lo, exec_lo, s73
	s_cbranch_execnz .LBB2_5607
.LBB2_5415:                             ;   in Loop: Header=BB2_4922 Depth=3
	s_or_b32 exec_lo, exec_lo, s73
	s_and_saveexec_b32 s73, s17
.LBB2_5416:                             ;   in Loop: Header=BB2_4922 Depth=3
	v_mov_b32_e32 v10, v8
.LBB2_5417:                             ;   in Loop: Header=BB2_4922 Depth=3
	s_or_b32 exec_lo, exec_lo, s73
	v_max_f32_e32 v8, v10, v10
	v_max_f32_e32 v9, v9, v9
	v_min_f32_e32 v9, v9, v8
.LBB2_5418:                             ;   in Loop: Header=BB2_4922 Depth=3
	v_and_b32_e32 v8, 0x7f800000, v9
	v_mov_b32_e32 v91, 0x8000
	s_mov_b32 s73, exec_lo
	v_cmpx_ne_u32_e32 0x7f800000, v8
	s_cbranch_execz .LBB2_5426
; %bb.5419:                             ;   in Loop: Header=BB2_4922 Depth=3
	v_mov_b32_e32 v91, 0
	s_mov_b32 s74, exec_lo
	v_cmpx_ne_u32_e32 0, v9
	s_cbranch_execz .LBB2_5425
; %bb.5420:                             ;   in Loop: Header=BB2_4922 Depth=3
	v_bfe_u32 v8, v9, 23, 8
	v_and_b32_e32 v10, 0x7fffff, v9
	v_sub_nc_u32_e32 v91, 0x78, v8
	v_cmp_gt_u32_e32 vcc_lo, 0x79, v8
	v_or_b32_e32 v92, 0x800000, v10
	v_cndmask_b32_e32 v91, 0, v91, vcc_lo
	v_cmp_eq_u32_e32 vcc_lo, 0, v8
	v_add_nc_u32_e32 v8, 0xffffff89, v8
	v_cndmask_b32_e64 v91, v91, 0x77, vcc_lo
	v_cndmask_b32_e32 v10, v92, v10, vcc_lo
	v_cndmask_b32_e64 v8, v8, 0xffffff8a, vcc_lo
	v_lshl_add_u32 v92, 0x100000, v91, -1
	v_lshrrev_b32_e32 v93, v91, v10
	v_lshlrev_b32_e64 v95, v91, 0x80000
	v_add_nc_u32_e32 v91, v91, v8
	v_and_b32_e32 v10, v92, v10
	v_bfe_u32 v94, v93, 20, 1
	v_cmp_eq_u32_e64 s17, v10, v95
	v_add_nc_u32_e32 v92, -1, v94
	v_cndmask_b32_e64 v10, 0, v92, s17
	v_lshrrev_b32_e32 v92, 23, v93
	s_mov_b32 s17, exec_lo
	v_add_nc_u32_e32 v10, v10, v93
	v_xor_b32_e32 v92, 1, v92
	v_and_b32_e32 v8, 0xfffff, v10
	v_add_nc_u32_e32 v10, v8, v93
                                        ; implicit-def: $vgpr8
	v_cmpx_ne_u32_e64 v91, v92
	s_xor_b32 s17, exec_lo, s17
; %bb.5421:                             ;   in Loop: Header=BB2_4922 Depth=3
	v_cmp_lt_u32_e32 vcc_lo, 0xffffff, v10
	v_sub_nc_u32_e32 v8, v91, v92
	v_cndmask_b32_e64 v91, 0, 1, vcc_lo
	v_add_co_ci_u32_e64 v8, null, 0, v8, vcc_lo
	v_lshrrev_b32_e32 v10, v91, v10
; %bb.5422:                             ;   in Loop: Header=BB2_4922 Depth=3
	s_andn2_saveexec_b32 s17, s17
; %bb.5423:                             ;   in Loop: Header=BB2_4922 Depth=3
	v_bfe_u32 v8, v10, 23, 1
; %bb.5424:                             ;   in Loop: Header=BB2_4922 Depth=3
	s_or_b32 exec_lo, exec_lo, s17
	v_lshrrev_b32_e32 v10, 20, v10
	v_min_i32_e32 v91, 15, v8
	v_cmp_gt_i32_e32 vcc_lo, 16, v8
	v_and_b32_sdwa v9, v9, v103 dst_sel:DWORD dst_unused:UNUSED_PAD src0_sel:BYTE_3 src1_sel:DWORD
	v_lshlrev_b32_e32 v91, 3, v91
	v_cndmask_b32_e32 v10, 7, v10, vcc_lo
	v_and_b32_e32 v91, 0xf8, v91
	v_and_b32_e32 v92, 7, v10
	v_or_b32_e32 v8, v8, v10
	v_or3_b32 v9, v9, v91, v92
	v_cmp_ne_u32_e32 vcc_lo, 0, v8
	v_lshlrev_b32_e32 v9, 8, v9
	v_cndmask_b32_e32 v91, 0, v9, vcc_lo
.LBB2_5425:                             ;   in Loop: Header=BB2_4922 Depth=3
	s_or_b32 exec_lo, exec_lo, s74
.LBB2_5426:                             ;   in Loop: Header=BB2_4922 Depth=3
	s_or_b32 exec_lo, exec_lo, s73
	v_bfe_u32 v8, v11, 16, 3
	v_bfe_u32 v92, v11, 19, 4
	v_lshlrev_b32_e32 v93, 8, v11
	s_mov_b32 s73, -1
	v_ffbh_u32_e32 v9, v8
	v_cmp_eq_u32_e32 vcc_lo, 0, v92
	v_min_u32_e32 v9, 32, v9
	v_subrev_nc_u32_e32 v10, 28, v9
	v_sub_nc_u32_e32 v9, 29, v9
	v_lshlrev_b32_sdwa v10, v10, v11 dst_sel:DWORD dst_unused:UNUSED_PAD src0_sel:DWORD src1_sel:WORD_1
	v_cndmask_b32_e32 v9, v92, v9, vcc_lo
	v_and_b32_e32 v10, 7, v10
	v_lshl_add_u32 v92, v9, 23, 0x3b800000
	v_and_b32_sdwa v9, v15, v114 dst_sel:DWORD dst_unused:UNUSED_PAD src0_sel:WORD_1 src1_sel:DWORD
	v_cndmask_b32_e32 v8, v8, v10, vcc_lo
	v_and_b32_e32 v10, 0x80000000, v93
	v_cmp_lt_i16_e64 s17, 0x7f, v9
	s_and_b32 vcc_lo, exec_lo, s23
	v_lshlrev_b32_e32 v8, 20, v8
	v_or3_b32 v8, v10, v92, v8
                                        ; implicit-def: $vgpr10
	s_cbranch_vccz .LBB2_5440
; %bb.5427:                             ;   in Loop: Header=BB2_4922 Depth=3
	s_mov_b32 s73, 0
	s_and_saveexec_b32 s74, s17
	s_xor_b32 s17, exec_lo, s74
	s_cbranch_execz .LBB2_5608
; %bb.5428:                             ;   in Loop: Header=BB2_4922 Depth=3
	s_mov_b32 s73, -1
	s_mov_b32 s74, exec_lo
	v_cmpx_eq_u16_e32 0x80, v9
; %bb.5429:                             ;   in Loop: Header=BB2_4922 Depth=3
	s_xor_b32 s73, exec_lo, -1
; %bb.5430:                             ;   in Loop: Header=BB2_4922 Depth=3
	s_or_b32 exec_lo, exec_lo, s74
	s_and_b32 s73, s73, exec_lo
	s_or_saveexec_b32 s17, s17
	v_mov_b32_e32 v10, 0x7f800001
	s_xor_b32 exec_lo, exec_lo, s17
	s_cbranch_execnz .LBB2_5609
.LBB2_5431:                             ;   in Loop: Header=BB2_4922 Depth=3
	s_or_b32 exec_lo, exec_lo, s17
	s_and_saveexec_b32 s17, s73
	s_cbranch_execz .LBB2_5433
.LBB2_5432:                             ;   in Loop: Header=BB2_4922 Depth=3
	v_bfe_u32 v10, v15, 16, 3
	v_bfe_u32 v94, v15, 19, 4
	v_lshlrev_b32_sdwa v95, v113, v15 dst_sel:DWORD dst_unused:UNUSED_PAD src0_sel:DWORD src1_sel:WORD_1
	v_ffbh_u32_e32 v92, v10
	v_cmp_eq_u32_e32 vcc_lo, 0, v94
	v_min_u32_e32 v92, 32, v92
	v_subrev_nc_u32_e32 v93, 28, v92
	v_sub_nc_u32_e32 v92, 29, v92
	v_lshlrev_b32_sdwa v93, v93, v15 dst_sel:DWORD dst_unused:UNUSED_PAD src0_sel:DWORD src1_sel:WORD_1
	v_cndmask_b32_e32 v92, v94, v92, vcc_lo
	v_and_b32_e32 v93, 7, v93
	v_lshl_add_u32 v92, v92, 23, 0x3b800000
	v_cndmask_b32_e32 v10, v10, v93, vcc_lo
	v_and_b32_e32 v93, 0x80000000, v95
	v_lshlrev_b32_e32 v10, 20, v10
	v_or3_b32 v10, v93, v92, v10
.LBB2_5433:                             ;   in Loop: Header=BB2_4922 Depth=3
	s_or_b32 exec_lo, exec_lo, s17
	v_and_b32_sdwa v93, v11, v114 dst_sel:DWORD dst_unused:UNUSED_PAD src0_sel:WORD_1 src1_sel:DWORD
	s_mov_b32 s17, 0
	s_mov_b32 s73, exec_lo
	v_cmpx_lt_i16_e32 0x7f, v93
	s_xor_b32 s73, exec_lo, s73
	s_cbranch_execz .LBB2_5610
; %bb.5434:                             ;   in Loop: Header=BB2_4922 Depth=3
	s_mov_b32 s17, -1
	s_mov_b32 s74, exec_lo
	v_cmpx_eq_u16_e32 0x80, v93
; %bb.5435:                             ;   in Loop: Header=BB2_4922 Depth=3
	s_xor_b32 s17, exec_lo, -1
; %bb.5436:                             ;   in Loop: Header=BB2_4922 Depth=3
	s_or_b32 exec_lo, exec_lo, s74
	s_and_b32 s17, s17, exec_lo
                                        ; implicit-def: $vgpr93
	s_or_saveexec_b32 s73, s73
	v_mov_b32_e32 v92, 0x7f800001
	s_xor_b32 exec_lo, exec_lo, s73
	s_cbranch_execnz .LBB2_5611
.LBB2_5437:                             ;   in Loop: Header=BB2_4922 Depth=3
	s_or_b32 exec_lo, exec_lo, s73
	s_and_saveexec_b32 s73, s17
.LBB2_5438:                             ;   in Loop: Header=BB2_4922 Depth=3
	v_mov_b32_e32 v92, v8
.LBB2_5439:                             ;   in Loop: Header=BB2_4922 Depth=3
	s_or_b32 exec_lo, exec_lo, s73
	v_max_f32_e32 v92, v92, v92
	v_max_f32_e32 v10, v10, v10
	s_mov_b32 s73, 0
	v_max_f32_e32 v10, v10, v92
.LBB2_5440:                             ;   in Loop: Header=BB2_4922 Depth=3
	s_and_b32 vcc_lo, exec_lo, s73
	s_cbranch_vccz .LBB2_5454
; %bb.5441:                             ;   in Loop: Header=BB2_4922 Depth=3
	s_mov_b32 s17, 0
	s_mov_b32 s73, exec_lo
	v_cmpx_lt_i16_e32 0x7f, v9
	s_xor_b32 s73, exec_lo, s73
	s_cbranch_execz .LBB2_5612
; %bb.5442:                             ;   in Loop: Header=BB2_4922 Depth=3
	s_mov_b32 s17, -1
	s_mov_b32 s74, exec_lo
	v_cmpx_eq_u16_e32 0x80, v9
; %bb.5443:                             ;   in Loop: Header=BB2_4922 Depth=3
	s_xor_b32 s17, exec_lo, -1
; %bb.5444:                             ;   in Loop: Header=BB2_4922 Depth=3
	s_or_b32 exec_lo, exec_lo, s74
	s_and_b32 s17, s17, exec_lo
                                        ; implicit-def: $vgpr9
	s_or_saveexec_b32 s73, s73
	v_mov_b32_e32 v10, 0x7f800001
	s_xor_b32 exec_lo, exec_lo, s73
	s_cbranch_execnz .LBB2_5613
.LBB2_5445:                             ;   in Loop: Header=BB2_4922 Depth=3
	s_or_b32 exec_lo, exec_lo, s73
	s_and_saveexec_b32 s73, s17
	s_cbranch_execz .LBB2_5447
.LBB2_5446:                             ;   in Loop: Header=BB2_4922 Depth=3
	v_bfe_u32 v9, v15, 16, 3
	v_bfe_u32 v93, v15, 19, 4
	v_lshlrev_b32_sdwa v94, v113, v15 dst_sel:DWORD dst_unused:UNUSED_PAD src0_sel:DWORD src1_sel:WORD_1
	v_ffbh_u32_e32 v10, v9
	v_cmp_eq_u32_e32 vcc_lo, 0, v93
	v_min_u32_e32 v10, 32, v10
	v_subrev_nc_u32_e32 v92, 28, v10
	v_sub_nc_u32_e32 v10, 29, v10
	v_lshlrev_b32_sdwa v92, v92, v15 dst_sel:DWORD dst_unused:UNUSED_PAD src0_sel:DWORD src1_sel:WORD_1
	v_cndmask_b32_e32 v10, v93, v10, vcc_lo
	v_and_b32_e32 v92, 7, v92
	v_lshl_add_u32 v10, v10, 23, 0x3b800000
	v_cndmask_b32_e32 v9, v9, v92, vcc_lo
	v_and_b32_e32 v92, 0x80000000, v94
	v_lshlrev_b32_e32 v9, 20, v9
	v_or3_b32 v10, v92, v10, v9
.LBB2_5447:                             ;   in Loop: Header=BB2_4922 Depth=3
	s_or_b32 exec_lo, exec_lo, s73
	v_and_b32_sdwa v92, v11, v114 dst_sel:DWORD dst_unused:UNUSED_PAD src0_sel:WORD_1 src1_sel:DWORD
	s_mov_b32 s17, 0
	s_mov_b32 s73, exec_lo
	v_cmpx_lt_i16_e32 0x7f, v92
	s_xor_b32 s73, exec_lo, s73
	s_cbranch_execz .LBB2_5614
; %bb.5448:                             ;   in Loop: Header=BB2_4922 Depth=3
	s_mov_b32 s17, -1
	s_mov_b32 s74, exec_lo
	v_cmpx_eq_u16_e32 0x80, v92
; %bb.5449:                             ;   in Loop: Header=BB2_4922 Depth=3
	s_xor_b32 s17, exec_lo, -1
; %bb.5450:                             ;   in Loop: Header=BB2_4922 Depth=3
	s_or_b32 exec_lo, exec_lo, s74
	s_and_b32 s17, s17, exec_lo
                                        ; implicit-def: $vgpr92
	s_or_saveexec_b32 s73, s73
	v_mov_b32_e32 v9, 0x7f800001
	s_xor_b32 exec_lo, exec_lo, s73
	s_cbranch_execnz .LBB2_5615
.LBB2_5451:                             ;   in Loop: Header=BB2_4922 Depth=3
	s_or_b32 exec_lo, exec_lo, s73
	s_and_saveexec_b32 s73, s17
.LBB2_5452:                             ;   in Loop: Header=BB2_4922 Depth=3
	v_mov_b32_e32 v9, v8
.LBB2_5453:                             ;   in Loop: Header=BB2_4922 Depth=3
	s_or_b32 exec_lo, exec_lo, s73
	v_max_f32_e32 v8, v9, v9
	v_max_f32_e32 v9, v10, v10
	v_min_f32_e32 v10, v9, v8
.LBB2_5454:                             ;   in Loop: Header=BB2_4922 Depth=3
	v_and_b32_e32 v8, 0x7f800000, v10
	v_mov_b32_e32 v92, 0x80
	s_mov_b32 s73, exec_lo
	v_cmpx_ne_u32_e32 0x7f800000, v8
	s_cbranch_execz .LBB2_5462
; %bb.5455:                             ;   in Loop: Header=BB2_4922 Depth=3
	v_mov_b32_e32 v92, 0
	s_mov_b32 s74, exec_lo
	v_cmpx_ne_u32_e32 0, v10
	s_cbranch_execz .LBB2_5461
; %bb.5456:                             ;   in Loop: Header=BB2_4922 Depth=3
	v_bfe_u32 v8, v10, 23, 8
	v_and_b32_e32 v9, 0x7fffff, v10
	v_sub_nc_u32_e32 v92, 0x78, v8
	v_cmp_gt_u32_e32 vcc_lo, 0x79, v8
	v_or_b32_e32 v93, 0x800000, v9
	v_cndmask_b32_e32 v92, 0, v92, vcc_lo
	v_cmp_eq_u32_e32 vcc_lo, 0, v8
	v_add_nc_u32_e32 v8, 0xffffff89, v8
	v_cndmask_b32_e64 v92, v92, 0x77, vcc_lo
	v_cndmask_b32_e32 v9, v93, v9, vcc_lo
	v_cndmask_b32_e64 v8, v8, 0xffffff8a, vcc_lo
	v_lshl_add_u32 v93, 0x100000, v92, -1
	v_lshrrev_b32_e32 v94, v92, v9
	v_lshlrev_b32_e64 v104, v92, 0x80000
	v_add_nc_u32_e32 v92, v92, v8
	v_and_b32_e32 v9, v93, v9
	v_bfe_u32 v95, v94, 20, 1
	v_cmp_eq_u32_e64 s17, v9, v104
	v_add_nc_u32_e32 v93, -1, v95
	v_cndmask_b32_e64 v9, 0, v93, s17
	v_lshrrev_b32_e32 v93, 23, v94
	s_mov_b32 s17, exec_lo
	v_add_nc_u32_e32 v9, v9, v94
	v_xor_b32_e32 v93, 1, v93
	v_and_b32_e32 v8, 0xfffff, v9
	v_add_nc_u32_e32 v9, v8, v94
                                        ; implicit-def: $vgpr8
	v_cmpx_ne_u32_e64 v92, v93
	s_xor_b32 s17, exec_lo, s17
; %bb.5457:                             ;   in Loop: Header=BB2_4922 Depth=3
	v_cmp_lt_u32_e32 vcc_lo, 0xffffff, v9
	v_sub_nc_u32_e32 v8, v92, v93
	v_cndmask_b32_e64 v92, 0, 1, vcc_lo
	v_add_co_ci_u32_e64 v8, null, 0, v8, vcc_lo
	v_lshrrev_b32_e32 v9, v92, v9
; %bb.5458:                             ;   in Loop: Header=BB2_4922 Depth=3
	s_andn2_saveexec_b32 s17, s17
; %bb.5459:                             ;   in Loop: Header=BB2_4922 Depth=3
	v_bfe_u32 v8, v9, 23, 1
; %bb.5460:                             ;   in Loop: Header=BB2_4922 Depth=3
	s_or_b32 exec_lo, exec_lo, s17
	v_lshrrev_b32_e32 v9, 20, v9
	v_min_i32_e32 v92, 15, v8
	v_cmp_gt_i32_e32 vcc_lo, 16, v8
	v_and_b32_sdwa v10, v10, v103 dst_sel:DWORD dst_unused:UNUSED_PAD src0_sel:BYTE_3 src1_sel:DWORD
	v_lshlrev_b32_e32 v92, 3, v92
	v_cndmask_b32_e32 v9, 7, v9, vcc_lo
	v_and_b32_e32 v92, 0xf8, v92
	v_and_b32_e32 v93, 7, v9
	v_or_b32_e32 v8, v8, v9
	v_or3_b32 v9, v92, v10, v93
	v_cmp_ne_u32_e32 vcc_lo, 0, v8
	v_cndmask_b32_e32 v92, 0, v9, vcc_lo
.LBB2_5461:                             ;   in Loop: Header=BB2_4922 Depth=3
	s_or_b32 exec_lo, exec_lo, s74
.LBB2_5462:                             ;   in Loop: Header=BB2_4922 Depth=3
	s_or_b32 exec_lo, exec_lo, s73
	v_bfe_u32 v8, v11, 24, 3
	v_bfe_u32 v93, v11, 27, 4
	v_cmp_gt_i16_sdwa s73, v15, v102 src0_sel:BYTE_3 src1_sel:DWORD
	s_mov_b32 s17, -1
	v_ffbh_u32_e32 v9, v8
	v_cmp_eq_u32_e32 vcc_lo, 0, v93
	v_min_u32_e32 v9, 32, v9
	v_subrev_nc_u32_e32 v10, 28, v9
	v_sub_nc_u32_e32 v9, 29, v9
	v_lshlrev_b32_sdwa v10, v10, v11 dst_sel:DWORD dst_unused:UNUSED_PAD src0_sel:DWORD src1_sel:BYTE_3
	v_cndmask_b32_e32 v9, v93, v9, vcc_lo
	v_and_b32_e32 v10, 7, v10
	v_lshl_add_u32 v9, v9, 23, 0x3b800000
	v_cndmask_b32_e32 v8, v8, v10, vcc_lo
	v_and_b32_e32 v10, 0x80000000, v11
	s_and_b32 vcc_lo, exec_lo, s23
	v_lshlrev_b32_e32 v8, 20, v8
	v_or3_b32 v93, v10, v9, v8
                                        ; implicit-def: $vgpr8
	s_cbranch_vccz .LBB2_5476
; %bb.5463:                             ;   in Loop: Header=BB2_4922 Depth=3
	s_mov_b32 s17, 0
	s_and_saveexec_b32 s74, s73
	s_xor_b32 s73, exec_lo, s74
	s_cbranch_execz .LBB2_5616
; %bb.5464:                             ;   in Loop: Header=BB2_4922 Depth=3
	v_cmp_eq_u16_sdwa s75, v15, v103 src0_sel:BYTE_3 src1_sel:DWORD
	s_mov_b32 s17, -1
	s_and_saveexec_b32 s74, s75
; %bb.5465:                             ;   in Loop: Header=BB2_4922 Depth=3
	s_xor_b32 s17, exec_lo, -1
; %bb.5466:                             ;   in Loop: Header=BB2_4922 Depth=3
	s_or_b32 exec_lo, exec_lo, s74
	s_and_b32 s17, s17, exec_lo
	s_or_saveexec_b32 s73, s73
	v_mov_b32_e32 v8, 0x7f800001
	s_xor_b32 exec_lo, exec_lo, s73
	s_cbranch_execnz .LBB2_5617
.LBB2_5467:                             ;   in Loop: Header=BB2_4922 Depth=3
	s_or_b32 exec_lo, exec_lo, s73
	s_and_saveexec_b32 s73, s17
	s_cbranch_execz .LBB2_5469
.LBB2_5468:                             ;   in Loop: Header=BB2_4922 Depth=3
	v_bfe_u32 v8, v15, 24, 3
	v_bfe_u32 v94, v15, 27, 4
	v_ffbh_u32_e32 v9, v8
	v_cmp_eq_u32_e32 vcc_lo, 0, v94
	v_min_u32_e32 v9, 32, v9
	v_subrev_nc_u32_e32 v10, 28, v9
	v_sub_nc_u32_e32 v9, 29, v9
	v_lshlrev_b32_sdwa v10, v10, v15 dst_sel:DWORD dst_unused:UNUSED_PAD src0_sel:DWORD src1_sel:BYTE_3
	v_cndmask_b32_e32 v9, v94, v9, vcc_lo
	v_and_b32_e32 v10, 7, v10
	v_lshl_add_u32 v9, v9, 23, 0x3b800000
	v_cndmask_b32_e32 v8, v8, v10, vcc_lo
	v_and_b32_e32 v10, 0x80000000, v15
	v_lshlrev_b32_e32 v8, 20, v8
	v_or3_b32 v8, v10, v9, v8
.LBB2_5469:                             ;   in Loop: Header=BB2_4922 Depth=3
	s_or_b32 exec_lo, exec_lo, s73
	v_cmp_gt_i16_sdwa s73, v11, v102 src0_sel:BYTE_3 src1_sel:DWORD
	s_mov_b32 s17, 0
	s_and_saveexec_b32 s74, s73
	s_xor_b32 s73, exec_lo, s74
	s_cbranch_execz .LBB2_5618
; %bb.5470:                             ;   in Loop: Header=BB2_4922 Depth=3
	v_cmp_eq_u16_sdwa s75, v11, v103 src0_sel:BYTE_3 src1_sel:DWORD
	s_mov_b32 s17, -1
	s_and_saveexec_b32 s74, s75
; %bb.5471:                             ;   in Loop: Header=BB2_4922 Depth=3
	s_xor_b32 s17, exec_lo, -1
; %bb.5472:                             ;   in Loop: Header=BB2_4922 Depth=3
	s_or_b32 exec_lo, exec_lo, s74
	s_and_b32 s17, s17, exec_lo
	s_or_saveexec_b32 s73, s73
	v_mov_b32_e32 v9, 0x7f800001
	s_xor_b32 exec_lo, exec_lo, s73
	s_cbranch_execnz .LBB2_5619
.LBB2_5473:                             ;   in Loop: Header=BB2_4922 Depth=3
	s_or_b32 exec_lo, exec_lo, s73
	s_and_saveexec_b32 s73, s17
.LBB2_5474:                             ;   in Loop: Header=BB2_4922 Depth=3
	v_mov_b32_e32 v9, v93
.LBB2_5475:                             ;   in Loop: Header=BB2_4922 Depth=3
	s_or_b32 exec_lo, exec_lo, s73
	v_max_f32_e32 v9, v9, v9
	v_max_f32_e32 v8, v8, v8
	s_mov_b32 s17, 0
	v_max_f32_e32 v8, v8, v9
.LBB2_5476:                             ;   in Loop: Header=BB2_4922 Depth=3
	s_and_b32 vcc_lo, exec_lo, s17
	s_cbranch_vccz .LBB2_5490
; %bb.5477:                             ;   in Loop: Header=BB2_4922 Depth=3
	v_cmp_gt_i16_sdwa s73, v15, v102 src0_sel:BYTE_3 src1_sel:DWORD
	s_mov_b32 s17, 0
	s_and_saveexec_b32 s74, s73
	s_xor_b32 s73, exec_lo, s74
	s_cbranch_execz .LBB2_5620
; %bb.5478:                             ;   in Loop: Header=BB2_4922 Depth=3
	v_cmp_eq_u16_sdwa s75, v15, v103 src0_sel:BYTE_3 src1_sel:DWORD
	s_mov_b32 s17, -1
	s_and_saveexec_b32 s74, s75
; %bb.5479:                             ;   in Loop: Header=BB2_4922 Depth=3
	s_xor_b32 s17, exec_lo, -1
; %bb.5480:                             ;   in Loop: Header=BB2_4922 Depth=3
	s_or_b32 exec_lo, exec_lo, s74
	s_and_b32 s17, s17, exec_lo
	s_or_saveexec_b32 s73, s73
	v_mov_b32_e32 v94, 0x7f800001
	s_xor_b32 exec_lo, exec_lo, s73
	s_cbranch_execnz .LBB2_5621
.LBB2_5481:                             ;   in Loop: Header=BB2_4922 Depth=3
	s_or_b32 exec_lo, exec_lo, s73
	s_and_saveexec_b32 s73, s17
	s_cbranch_execz .LBB2_5483
.LBB2_5482:                             ;   in Loop: Header=BB2_4922 Depth=3
	v_bfe_u32 v8, v15, 24, 3
	v_bfe_u32 v94, v15, 27, 4
	v_ffbh_u32_e32 v9, v8
	v_cmp_eq_u32_e32 vcc_lo, 0, v94
	v_min_u32_e32 v9, 32, v9
	v_subrev_nc_u32_e32 v10, 28, v9
	v_sub_nc_u32_e32 v9, 29, v9
	v_lshlrev_b32_sdwa v10, v10, v15 dst_sel:DWORD dst_unused:UNUSED_PAD src0_sel:DWORD src1_sel:BYTE_3
	v_cndmask_b32_e32 v9, v94, v9, vcc_lo
	v_and_b32_e32 v10, 7, v10
	v_lshl_add_u32 v9, v9, 23, 0x3b800000
	v_cndmask_b32_e32 v8, v8, v10, vcc_lo
	v_and_b32_e32 v10, 0x80000000, v15
	v_lshlrev_b32_e32 v8, 20, v8
	v_or3_b32 v94, v10, v9, v8
.LBB2_5483:                             ;   in Loop: Header=BB2_4922 Depth=3
	s_or_b32 exec_lo, exec_lo, s73
	v_cmp_gt_i16_sdwa s73, v11, v102 src0_sel:BYTE_3 src1_sel:DWORD
	s_mov_b32 s17, 0
	s_and_saveexec_b32 s74, s73
	s_xor_b32 s73, exec_lo, s74
	s_cbranch_execz .LBB2_5622
; %bb.5484:                             ;   in Loop: Header=BB2_4922 Depth=3
	v_cmp_eq_u16_sdwa s75, v11, v103 src0_sel:BYTE_3 src1_sel:DWORD
	s_mov_b32 s17, -1
	s_and_saveexec_b32 s74, s75
; %bb.5485:                             ;   in Loop: Header=BB2_4922 Depth=3
	s_xor_b32 s17, exec_lo, -1
; %bb.5486:                             ;   in Loop: Header=BB2_4922 Depth=3
	s_or_b32 exec_lo, exec_lo, s74
	s_and_b32 s17, s17, exec_lo
                                        ; implicit-def: $vgpr8_vgpr9_vgpr10_vgpr11
	s_or_saveexec_b32 s73, s73
	v_mov_b32_e32 v8, 0x7f800001
	s_xor_b32 exec_lo, exec_lo, s73
	s_cbranch_execnz .LBB2_5623
.LBB2_5487:                             ;   in Loop: Header=BB2_4922 Depth=3
	s_or_b32 exec_lo, exec_lo, s73
	s_and_saveexec_b32 s73, s17
.LBB2_5488:                             ;   in Loop: Header=BB2_4922 Depth=3
	v_mov_b32_e32 v8, v93
.LBB2_5489:                             ;   in Loop: Header=BB2_4922 Depth=3
	s_or_b32 exec_lo, exec_lo, s73
	v_max_f32_e32 v8, v8, v8
	v_max_f32_e32 v9, v94, v94
	v_min_f32_e32 v8, v9, v8
.LBB2_5490:                             ;   in Loop: Header=BB2_4922 Depth=3
	v_and_b32_e32 v9, 0x7f800000, v8
	v_cmp_ne_u32_e32 vcc_lo, 0x7f800000, v9
	v_mov_b32_e32 v9, 0x8000
	s_and_saveexec_b32 s73, vcc_lo
	s_cbranch_execz .LBB2_4921
; %bb.5491:                             ;   in Loop: Header=BB2_4922 Depth=3
	v_mov_b32_e32 v9, 0
	s_mov_b32 s74, exec_lo
	v_cmpx_ne_u32_e32 0, v8
	s_cbranch_execz .LBB2_4920
; %bb.5492:                             ;   in Loop: Header=BB2_4922 Depth=3
	v_bfe_u32 v9, v8, 23, 8
	v_and_b32_e32 v10, 0x7fffff, v8
	v_sub_nc_u32_e32 v11, 0x78, v9
	v_cmp_gt_u32_e32 vcc_lo, 0x79, v9
	v_or_b32_e32 v15, 0x800000, v10
	v_cndmask_b32_e32 v11, 0, v11, vcc_lo
	v_cmp_eq_u32_e32 vcc_lo, 0, v9
	v_add_nc_u32_e32 v9, 0xffffff89, v9
	v_cndmask_b32_e64 v11, v11, 0x77, vcc_lo
	v_cndmask_b32_e32 v10, v15, v10, vcc_lo
	v_cndmask_b32_e64 v9, v9, 0xffffff8a, vcc_lo
	v_lshl_add_u32 v15, 0x100000, v11, -1
	v_lshrrev_b32_e32 v93, v11, v10
	v_lshlrev_b32_e64 v95, v11, 0x80000
	v_add_nc_u32_e32 v11, v11, v9
	v_and_b32_e32 v10, v15, v10
	v_bfe_u32 v94, v93, 20, 1
	v_cmp_eq_u32_e64 s17, v10, v95
	v_add_nc_u32_e32 v15, -1, v94
	v_cndmask_b32_e64 v10, 0, v15, s17
	v_lshrrev_b32_e32 v15, 23, v93
	s_mov_b32 s17, exec_lo
	v_add_nc_u32_e32 v10, v10, v93
	v_xor_b32_e32 v15, 1, v15
	v_and_b32_e32 v9, 0xfffff, v10
	v_add_nc_u32_e32 v10, v9, v93
                                        ; implicit-def: $vgpr9
	v_cmpx_ne_u32_e64 v11, v15
	s_xor_b32 s17, exec_lo, s17
; %bb.5493:                             ;   in Loop: Header=BB2_4922 Depth=3
	v_cmp_lt_u32_e32 vcc_lo, 0xffffff, v10
	v_sub_nc_u32_e32 v9, v11, v15
	v_cndmask_b32_e64 v11, 0, 1, vcc_lo
	v_add_co_ci_u32_e64 v9, null, 0, v9, vcc_lo
	v_lshrrev_b32_e32 v10, v11, v10
; %bb.5494:                             ;   in Loop: Header=BB2_4922 Depth=3
	s_andn2_saveexec_b32 s17, s17
	s_cbranch_execz .LBB2_4919
; %bb.5495:                             ;   in Loop: Header=BB2_4922 Depth=3
	v_bfe_u32 v9, v10, 23, 1
	s_branch .LBB2_4919
.LBB2_5496:                             ;   in Loop: Header=BB2_4922 Depth=3
	s_or_saveexec_b32 s73, s73
	v_mov_b32_e32 v74, 0x7f800001
	s_xor_b32 exec_lo, exec_lo, s73
	s_cbranch_execz .LBB2_4927
.LBB2_5497:                             ;   in Loop: Header=BB2_4922 Depth=3
	v_cmp_ne_u16_sdwa s74, v12, v2 src0_sel:BYTE_0 src1_sel:DWORD
	v_mov_b32_e32 v74, 0
	s_andn2_b32 s17, s17, exec_lo
	s_and_b32 s74, s74, exec_lo
	s_or_b32 s17, s17, s74
	s_or_b32 exec_lo, exec_lo, s73
	s_and_saveexec_b32 s73, s17
	s_cbranch_execnz .LBB2_4928
	s_branch .LBB2_4929
.LBB2_5498:                             ;   in Loop: Header=BB2_4922 Depth=3
	s_or_saveexec_b32 s73, s73
	v_mov_b32_e32 v75, 0x7f800001
	s_xor_b32 exec_lo, exec_lo, s73
	s_cbranch_execz .LBB2_4933
.LBB2_5499:                             ;   in Loop: Header=BB2_4922 Depth=3
	v_cmp_ne_u16_sdwa s74, v8, v2 src0_sel:BYTE_0 src1_sel:DWORD
	v_mov_b32_e32 v75, 0
	s_andn2_b32 s17, s17, exec_lo
	s_and_b32 s74, s74, exec_lo
	s_or_b32 s17, s17, s74
	s_or_b32 exec_lo, exec_lo, s73
	s_and_saveexec_b32 s73, s17
	s_cbranch_execnz .LBB2_4934
	s_branch .LBB2_4935
.LBB2_5500:                             ;   in Loop: Header=BB2_4922 Depth=3
	s_or_saveexec_b32 s73, s73
	v_mov_b32_e32 v74, 0x7f800001
	s_xor_b32 exec_lo, exec_lo, s73
	s_cbranch_execz .LBB2_4941
.LBB2_5501:                             ;   in Loop: Header=BB2_4922 Depth=3
	v_cmp_ne_u16_sdwa s74, v12, v2 src0_sel:BYTE_0 src1_sel:DWORD
	v_mov_b32_e32 v74, 0
	s_andn2_b32 s17, s17, exec_lo
	s_and_b32 s74, s74, exec_lo
	s_or_b32 s17, s17, s74
	s_or_b32 exec_lo, exec_lo, s73
	s_and_saveexec_b32 s73, s17
	s_cbranch_execnz .LBB2_4942
	s_branch .LBB2_4943
.LBB2_5502:                             ;   in Loop: Header=BB2_4922 Depth=3
	s_or_saveexec_b32 s73, s73
	v_mov_b32_e32 v75, 0x7f800001
	s_xor_b32 exec_lo, exec_lo, s73
	s_cbranch_execz .LBB2_4947
.LBB2_5503:                             ;   in Loop: Header=BB2_4922 Depth=3
	v_cmp_ne_u16_sdwa s74, v8, v2 src0_sel:BYTE_0 src1_sel:DWORD
	v_mov_b32_e32 v75, 0
	s_andn2_b32 s17, s17, exec_lo
	s_and_b32 s74, s74, exec_lo
	s_or_b32 s17, s17, s74
	s_or_b32 exec_lo, exec_lo, s73
	s_and_saveexec_b32 s73, s17
	s_cbranch_execnz .LBB2_4948
	s_branch .LBB2_4949
.LBB2_5504:                             ;   in Loop: Header=BB2_4922 Depth=3
	s_or_saveexec_b32 s73, s73
	v_mov_b32_e32 v75, 0x7f800001
	s_xor_b32 exec_lo, exec_lo, s73
	s_cbranch_execz .LBB2_4963
.LBB2_5505:                             ;   in Loop: Header=BB2_4922 Depth=3
	v_cmp_ne_u16_sdwa s74, v12, v2 src0_sel:BYTE_1 src1_sel:DWORD
	v_mov_b32_e32 v75, 0
	s_andn2_b32 s17, s17, exec_lo
	s_and_b32 s74, s74, exec_lo
	s_or_b32 s17, s17, s74
	s_or_b32 exec_lo, exec_lo, s73
	s_and_saveexec_b32 s73, s17
	s_cbranch_execnz .LBB2_4964
	s_branch .LBB2_4965
.LBB2_5506:                             ;   in Loop: Header=BB2_4922 Depth=3
	s_or_saveexec_b32 s73, s73
	v_mov_b32_e32 v76, 0x7f800001
	s_xor_b32 exec_lo, exec_lo, s73
	s_cbranch_execz .LBB2_4969
.LBB2_5507:                             ;   in Loop: Header=BB2_4922 Depth=3
	v_cmp_ne_u16_sdwa s74, v8, v2 src0_sel:BYTE_1 src1_sel:DWORD
	v_mov_b32_e32 v76, 0
	s_andn2_b32 s17, s17, exec_lo
	s_and_b32 s74, s74, exec_lo
	s_or_b32 s17, s17, s74
	s_or_b32 exec_lo, exec_lo, s73
	s_and_saveexec_b32 s73, s17
	s_cbranch_execnz .LBB2_4970
	s_branch .LBB2_4971
.LBB2_5508:                             ;   in Loop: Header=BB2_4922 Depth=3
	s_or_saveexec_b32 s73, s73
	v_mov_b32_e32 v75, 0x7f800001
	s_xor_b32 exec_lo, exec_lo, s73
	s_cbranch_execz .LBB2_4977
.LBB2_5509:                             ;   in Loop: Header=BB2_4922 Depth=3
	v_cmp_ne_u16_sdwa s74, v12, v2 src0_sel:BYTE_1 src1_sel:DWORD
	v_mov_b32_e32 v75, 0
	s_andn2_b32 s17, s17, exec_lo
	s_and_b32 s74, s74, exec_lo
	s_or_b32 s17, s17, s74
	s_or_b32 exec_lo, exec_lo, s73
	s_and_saveexec_b32 s73, s17
	s_cbranch_execnz .LBB2_4978
	s_branch .LBB2_4979
.LBB2_5510:                             ;   in Loop: Header=BB2_4922 Depth=3
	s_or_saveexec_b32 s73, s73
	v_mov_b32_e32 v76, 0x7f800001
	s_xor_b32 exec_lo, exec_lo, s73
	s_cbranch_execz .LBB2_4983
.LBB2_5511:                             ;   in Loop: Header=BB2_4922 Depth=3
	v_cmp_ne_u16_sdwa s74, v8, v2 src0_sel:BYTE_1 src1_sel:DWORD
	v_mov_b32_e32 v76, 0
	s_andn2_b32 s17, s17, exec_lo
	s_and_b32 s74, s74, exec_lo
	s_or_b32 s17, s17, s74
	s_or_b32 exec_lo, exec_lo, s73
	s_and_saveexec_b32 s73, s17
	s_cbranch_execnz .LBB2_4984
	s_branch .LBB2_4985
.LBB2_5512:                             ;   in Loop: Header=BB2_4922 Depth=3
	s_or_saveexec_b32 s17, s17
	v_mov_b32_e32 v77, 0x7f800001
	s_xor_b32 exec_lo, exec_lo, s17
	s_cbranch_execz .LBB2_4999
.LBB2_5513:                             ;   in Loop: Header=BB2_4922 Depth=3
	v_cmp_ne_u16_e32 vcc_lo, 0, v76
	v_mov_b32_e32 v77, 0
	s_andn2_b32 s73, s73, exec_lo
	s_and_b32 s74, vcc_lo, exec_lo
	s_or_b32 s73, s73, s74
	s_or_b32 exec_lo, exec_lo, s17
	s_and_saveexec_b32 s17, s73
	s_cbranch_execnz .LBB2_5000
	s_branch .LBB2_5001
.LBB2_5514:                             ;   in Loop: Header=BB2_4922 Depth=3
	s_or_saveexec_b32 s73, s73
	v_mov_b32_e32 v78, 0x7f800001
	s_xor_b32 exec_lo, exec_lo, s73
	s_cbranch_execz .LBB2_5005
.LBB2_5515:                             ;   in Loop: Header=BB2_4922 Depth=3
	v_cmp_ne_u16_e32 vcc_lo, 0, v79
	v_mov_b32_e32 v78, 0
	s_andn2_b32 s17, s17, exec_lo
	s_and_b32 s74, vcc_lo, exec_lo
	s_or_b32 s17, s17, s74
	s_or_b32 exec_lo, exec_lo, s73
	s_and_saveexec_b32 s73, s17
	s_cbranch_execnz .LBB2_5006
	s_branch .LBB2_5007
.LBB2_5516:                             ;   in Loop: Header=BB2_4922 Depth=3
	s_or_saveexec_b32 s73, s73
	v_mov_b32_e32 v77, 0x7f800001
	s_xor_b32 exec_lo, exec_lo, s73
	s_cbranch_execz .LBB2_5013
.LBB2_5517:                             ;   in Loop: Header=BB2_4922 Depth=3
	v_cmp_ne_u16_e32 vcc_lo, 0, v76
	v_mov_b32_e32 v77, 0
	s_andn2_b32 s17, s17, exec_lo
	s_and_b32 s74, vcc_lo, exec_lo
	s_or_b32 s17, s17, s74
	s_or_b32 exec_lo, exec_lo, s73
	s_and_saveexec_b32 s73, s17
	s_cbranch_execnz .LBB2_5014
	s_branch .LBB2_5015
.LBB2_5518:                             ;   in Loop: Header=BB2_4922 Depth=3
	s_or_saveexec_b32 s73, s73
	v_mov_b32_e32 v76, 0x7f800001
	s_xor_b32 exec_lo, exec_lo, s73
	s_cbranch_execz .LBB2_5019
.LBB2_5519:                             ;   in Loop: Header=BB2_4922 Depth=3
	v_cmp_ne_u16_e32 vcc_lo, 0, v78
	v_mov_b32_e32 v76, 0
	s_andn2_b32 s17, s17, exec_lo
	s_and_b32 s74, vcc_lo, exec_lo
	s_or_b32 s17, s17, s74
	s_or_b32 exec_lo, exec_lo, s73
	s_and_saveexec_b32 s73, s17
	s_cbranch_execnz .LBB2_5020
	s_branch .LBB2_5021
.LBB2_5520:                             ;   in Loop: Header=BB2_4922 Depth=3
	s_or_saveexec_b32 s73, s73
	v_mov_b32_e32 v77, 0x7f800001
	s_xor_b32 exec_lo, exec_lo, s73
	s_cbranch_execz .LBB2_5035
.LBB2_5521:                             ;   in Loop: Header=BB2_4922 Depth=3
	v_cmp_ne_u16_sdwa s74, v12, v2 src0_sel:BYTE_3 src1_sel:DWORD
	v_mov_b32_e32 v77, 0
	s_andn2_b32 s17, s17, exec_lo
	s_and_b32 s74, s74, exec_lo
	s_or_b32 s17, s17, s74
	s_or_b32 exec_lo, exec_lo, s73
	s_and_saveexec_b32 s73, s17
	s_cbranch_execnz .LBB2_5036
	s_branch .LBB2_5037
.LBB2_5522:                             ;   in Loop: Header=BB2_4922 Depth=3
	s_or_saveexec_b32 s73, s73
	v_mov_b32_e32 v78, 0x7f800001
	s_xor_b32 exec_lo, exec_lo, s73
	s_cbranch_execz .LBB2_5041
.LBB2_5523:                             ;   in Loop: Header=BB2_4922 Depth=3
	v_cmp_ne_u16_sdwa s74, v8, v2 src0_sel:BYTE_3 src1_sel:DWORD
	v_mov_b32_e32 v78, 0
	s_andn2_b32 s17, s17, exec_lo
	s_and_b32 s74, s74, exec_lo
	s_or_b32 s17, s17, s74
	s_or_b32 exec_lo, exec_lo, s73
	s_and_saveexec_b32 s73, s17
	s_cbranch_execnz .LBB2_5042
	s_branch .LBB2_5043
.LBB2_5524:                             ;   in Loop: Header=BB2_4922 Depth=3
	s_or_saveexec_b32 s73, s73
	v_mov_b32_e32 v77, 0x7f800001
	s_xor_b32 exec_lo, exec_lo, s73
	s_cbranch_execz .LBB2_5049
.LBB2_5525:                             ;   in Loop: Header=BB2_4922 Depth=3
	v_cmp_ne_u16_sdwa s74, v12, v2 src0_sel:BYTE_3 src1_sel:DWORD
	v_mov_b32_e32 v77, 0
	s_andn2_b32 s17, s17, exec_lo
	s_and_b32 s74, s74, exec_lo
	s_or_b32 s17, s17, s74
	s_or_b32 exec_lo, exec_lo, s73
	s_and_saveexec_b32 s73, s17
	s_cbranch_execnz .LBB2_5050
	s_branch .LBB2_5051
.LBB2_5526:                             ;   in Loop: Header=BB2_4922 Depth=3
	s_or_saveexec_b32 s73, s73
	v_mov_b32_e32 v12, 0x7f800001
	s_xor_b32 exec_lo, exec_lo, s73
	s_cbranch_execz .LBB2_5055
.LBB2_5527:                             ;   in Loop: Header=BB2_4922 Depth=3
	v_cmp_ne_u16_sdwa s74, v8, v2 src0_sel:BYTE_3 src1_sel:DWORD
	v_mov_b32_e32 v12, 0
	s_andn2_b32 s17, s17, exec_lo
	s_and_b32 s74, s74, exec_lo
	s_or_b32 s17, s17, s74
	s_or_b32 exec_lo, exec_lo, s73
	s_and_saveexec_b32 s73, s17
	s_cbranch_execnz .LBB2_5056
	s_branch .LBB2_5057
.LBB2_5528:                             ;   in Loop: Header=BB2_4922 Depth=3
	s_or_saveexec_b32 s73, s73
	v_mov_b32_e32 v76, 0x7f800001
	s_xor_b32 exec_lo, exec_lo, s73
	s_cbranch_execz .LBB2_5071
.LBB2_5529:                             ;   in Loop: Header=BB2_4922 Depth=3
	v_cmp_ne_u16_sdwa s74, v13, v2 src0_sel:BYTE_0 src1_sel:DWORD
	v_mov_b32_e32 v76, 0
	s_andn2_b32 s17, s17, exec_lo
	s_and_b32 s74, s74, exec_lo
	s_or_b32 s17, s17, s74
	s_or_b32 exec_lo, exec_lo, s73
	s_and_saveexec_b32 s73, s17
	s_cbranch_execnz .LBB2_5072
	s_branch .LBB2_5073
.LBB2_5530:                             ;   in Loop: Header=BB2_4922 Depth=3
	s_or_saveexec_b32 s73, s73
	v_mov_b32_e32 v77, 0x7f800001
	s_xor_b32 exec_lo, exec_lo, s73
	s_cbranch_execz .LBB2_5077
.LBB2_5531:                             ;   in Loop: Header=BB2_4922 Depth=3
	v_cmp_ne_u16_sdwa s74, v9, v2 src0_sel:BYTE_0 src1_sel:DWORD
	v_mov_b32_e32 v77, 0
	s_andn2_b32 s17, s17, exec_lo
	s_and_b32 s74, s74, exec_lo
	s_or_b32 s17, s17, s74
	s_or_b32 exec_lo, exec_lo, s73
	s_and_saveexec_b32 s73, s17
	s_cbranch_execnz .LBB2_5078
	s_branch .LBB2_5079
.LBB2_5532:                             ;   in Loop: Header=BB2_4922 Depth=3
	s_or_saveexec_b32 s73, s73
	v_mov_b32_e32 v76, 0x7f800001
	s_xor_b32 exec_lo, exec_lo, s73
	s_cbranch_execz .LBB2_5085
.LBB2_5533:                             ;   in Loop: Header=BB2_4922 Depth=3
	v_cmp_ne_u16_sdwa s74, v13, v2 src0_sel:BYTE_0 src1_sel:DWORD
	v_mov_b32_e32 v76, 0
	s_andn2_b32 s17, s17, exec_lo
	s_and_b32 s74, s74, exec_lo
	s_or_b32 s17, s17, s74
	s_or_b32 exec_lo, exec_lo, s73
	s_and_saveexec_b32 s73, s17
	s_cbranch_execnz .LBB2_5086
	s_branch .LBB2_5087
.LBB2_5534:                             ;   in Loop: Header=BB2_4922 Depth=3
	s_or_saveexec_b32 s73, s73
	v_mov_b32_e32 v77, 0x7f800001
	s_xor_b32 exec_lo, exec_lo, s73
	s_cbranch_execz .LBB2_5091
.LBB2_5535:                             ;   in Loop: Header=BB2_4922 Depth=3
	v_cmp_ne_u16_sdwa s74, v9, v2 src0_sel:BYTE_0 src1_sel:DWORD
	v_mov_b32_e32 v77, 0
	s_andn2_b32 s17, s17, exec_lo
	s_and_b32 s74, s74, exec_lo
	s_or_b32 s17, s17, s74
	s_or_b32 exec_lo, exec_lo, s73
	s_and_saveexec_b32 s73, s17
	s_cbranch_execnz .LBB2_5092
	s_branch .LBB2_5093
.LBB2_5536:                             ;   in Loop: Header=BB2_4922 Depth=3
	s_or_saveexec_b32 s73, s73
	v_mov_b32_e32 v77, 0x7f800001
	s_xor_b32 exec_lo, exec_lo, s73
	s_cbranch_execz .LBB2_5107
.LBB2_5537:                             ;   in Loop: Header=BB2_4922 Depth=3
	v_cmp_ne_u16_sdwa s74, v13, v2 src0_sel:BYTE_1 src1_sel:DWORD
	v_mov_b32_e32 v77, 0
	s_andn2_b32 s17, s17, exec_lo
	s_and_b32 s74, s74, exec_lo
	s_or_b32 s17, s17, s74
	s_or_b32 exec_lo, exec_lo, s73
	s_and_saveexec_b32 s73, s17
	s_cbranch_execnz .LBB2_5108
	s_branch .LBB2_5109
.LBB2_5538:                             ;   in Loop: Header=BB2_4922 Depth=3
	s_or_saveexec_b32 s73, s73
	v_mov_b32_e32 v78, 0x7f800001
	s_xor_b32 exec_lo, exec_lo, s73
	s_cbranch_execz .LBB2_5113
.LBB2_5539:                             ;   in Loop: Header=BB2_4922 Depth=3
	v_cmp_ne_u16_sdwa s74, v9, v2 src0_sel:BYTE_1 src1_sel:DWORD
	v_mov_b32_e32 v78, 0
	s_andn2_b32 s17, s17, exec_lo
	s_and_b32 s74, s74, exec_lo
	s_or_b32 s17, s17, s74
	s_or_b32 exec_lo, exec_lo, s73
	s_and_saveexec_b32 s73, s17
	s_cbranch_execnz .LBB2_5114
	s_branch .LBB2_5115
.LBB2_5540:                             ;   in Loop: Header=BB2_4922 Depth=3
	s_or_saveexec_b32 s73, s73
	v_mov_b32_e32 v77, 0x7f800001
	s_xor_b32 exec_lo, exec_lo, s73
	s_cbranch_execz .LBB2_5121
.LBB2_5541:                             ;   in Loop: Header=BB2_4922 Depth=3
	v_cmp_ne_u16_sdwa s74, v13, v2 src0_sel:BYTE_1 src1_sel:DWORD
	v_mov_b32_e32 v77, 0
	s_andn2_b32 s17, s17, exec_lo
	s_and_b32 s74, s74, exec_lo
	s_or_b32 s17, s17, s74
	s_or_b32 exec_lo, exec_lo, s73
	s_and_saveexec_b32 s73, s17
	s_cbranch_execnz .LBB2_5122
	s_branch .LBB2_5123
.LBB2_5542:                             ;   in Loop: Header=BB2_4922 Depth=3
	s_or_saveexec_b32 s73, s73
	v_mov_b32_e32 v78, 0x7f800001
	s_xor_b32 exec_lo, exec_lo, s73
	s_cbranch_execz .LBB2_5127
.LBB2_5543:                             ;   in Loop: Header=BB2_4922 Depth=3
	v_cmp_ne_u16_sdwa s74, v9, v2 src0_sel:BYTE_1 src1_sel:DWORD
	v_mov_b32_e32 v78, 0
	s_andn2_b32 s17, s17, exec_lo
	s_and_b32 s74, s74, exec_lo
	s_or_b32 s17, s17, s74
	s_or_b32 exec_lo, exec_lo, s73
	s_and_saveexec_b32 s73, s17
	s_cbranch_execnz .LBB2_5128
	s_branch .LBB2_5129
.LBB2_5544:                             ;   in Loop: Header=BB2_4922 Depth=3
	s_or_saveexec_b32 s17, s17
	v_mov_b32_e32 v79, 0x7f800001
	s_xor_b32 exec_lo, exec_lo, s17
	s_cbranch_execz .LBB2_5143
.LBB2_5545:                             ;   in Loop: Header=BB2_4922 Depth=3
	v_cmp_ne_u16_e32 vcc_lo, 0, v78
	v_mov_b32_e32 v79, 0
	s_andn2_b32 s73, s73, exec_lo
	s_and_b32 s74, vcc_lo, exec_lo
	s_or_b32 s73, s73, s74
	s_or_b32 exec_lo, exec_lo, s17
	s_and_saveexec_b32 s17, s73
	s_cbranch_execnz .LBB2_5144
	s_branch .LBB2_5145
.LBB2_5546:                             ;   in Loop: Header=BB2_4922 Depth=3
	s_or_saveexec_b32 s73, s73
	v_mov_b32_e32 v88, 0x7f800001
	s_xor_b32 exec_lo, exec_lo, s73
	s_cbranch_execz .LBB2_5149
.LBB2_5547:                             ;   in Loop: Header=BB2_4922 Depth=3
	v_cmp_ne_u16_e32 vcc_lo, 0, v89
	v_mov_b32_e32 v88, 0
	s_andn2_b32 s17, s17, exec_lo
	s_and_b32 s74, vcc_lo, exec_lo
	s_or_b32 s17, s17, s74
	s_or_b32 exec_lo, exec_lo, s73
	s_and_saveexec_b32 s73, s17
	s_cbranch_execnz .LBB2_5150
	s_branch .LBB2_5151
.LBB2_5548:                             ;   in Loop: Header=BB2_4922 Depth=3
	s_or_saveexec_b32 s73, s73
	v_mov_b32_e32 v79, 0x7f800001
	s_xor_b32 exec_lo, exec_lo, s73
	s_cbranch_execz .LBB2_5157
.LBB2_5549:                             ;   in Loop: Header=BB2_4922 Depth=3
	v_cmp_ne_u16_e32 vcc_lo, 0, v78
	v_mov_b32_e32 v79, 0
	s_andn2_b32 s17, s17, exec_lo
	s_and_b32 s74, vcc_lo, exec_lo
	s_or_b32 s17, s17, s74
	s_or_b32 exec_lo, exec_lo, s73
	s_and_saveexec_b32 s73, s17
	s_cbranch_execnz .LBB2_5158
	s_branch .LBB2_5159
.LBB2_5550:                             ;   in Loop: Header=BB2_4922 Depth=3
	s_or_saveexec_b32 s73, s73
	v_mov_b32_e32 v78, 0x7f800001
	s_xor_b32 exec_lo, exec_lo, s73
	s_cbranch_execz .LBB2_5163
.LBB2_5551:                             ;   in Loop: Header=BB2_4922 Depth=3
	v_cmp_ne_u16_e32 vcc_lo, 0, v88
	v_mov_b32_e32 v78, 0
	s_andn2_b32 s17, s17, exec_lo
	s_and_b32 s74, vcc_lo, exec_lo
	s_or_b32 s17, s17, s74
	s_or_b32 exec_lo, exec_lo, s73
	s_and_saveexec_b32 s73, s17
	s_cbranch_execnz .LBB2_5164
	s_branch .LBB2_5165
.LBB2_5552:                             ;   in Loop: Header=BB2_4922 Depth=3
	s_or_saveexec_b32 s73, s73
	v_mov_b32_e32 v79, 0x7f800001
	s_xor_b32 exec_lo, exec_lo, s73
	s_cbranch_execz .LBB2_5179
.LBB2_5553:                             ;   in Loop: Header=BB2_4922 Depth=3
	v_cmp_ne_u16_sdwa s74, v13, v2 src0_sel:BYTE_3 src1_sel:DWORD
	v_mov_b32_e32 v79, 0
	s_andn2_b32 s17, s17, exec_lo
	s_and_b32 s74, s74, exec_lo
	s_or_b32 s17, s17, s74
	s_or_b32 exec_lo, exec_lo, s73
	s_and_saveexec_b32 s73, s17
	s_cbranch_execnz .LBB2_5180
	s_branch .LBB2_5181
.LBB2_5554:                             ;   in Loop: Header=BB2_4922 Depth=3
	s_or_saveexec_b32 s73, s73
	v_mov_b32_e32 v88, 0x7f800001
	s_xor_b32 exec_lo, exec_lo, s73
	s_cbranch_execz .LBB2_5185
.LBB2_5555:                             ;   in Loop: Header=BB2_4922 Depth=3
	v_cmp_ne_u16_sdwa s74, v9, v2 src0_sel:BYTE_3 src1_sel:DWORD
	v_mov_b32_e32 v88, 0
	s_andn2_b32 s17, s17, exec_lo
	s_and_b32 s74, s74, exec_lo
	s_or_b32 s17, s17, s74
	s_or_b32 exec_lo, exec_lo, s73
	s_and_saveexec_b32 s73, s17
	s_cbranch_execnz .LBB2_5186
	s_branch .LBB2_5187
.LBB2_5556:                             ;   in Loop: Header=BB2_4922 Depth=3
	s_or_saveexec_b32 s73, s73
	v_mov_b32_e32 v79, 0x7f800001
	s_xor_b32 exec_lo, exec_lo, s73
	s_cbranch_execz .LBB2_5193
.LBB2_5557:                             ;   in Loop: Header=BB2_4922 Depth=3
	v_cmp_ne_u16_sdwa s74, v13, v2 src0_sel:BYTE_3 src1_sel:DWORD
	v_mov_b32_e32 v79, 0
	s_andn2_b32 s17, s17, exec_lo
	s_and_b32 s74, s74, exec_lo
	s_or_b32 s17, s17, s74
	s_or_b32 exec_lo, exec_lo, s73
	s_and_saveexec_b32 s73, s17
	s_cbranch_execnz .LBB2_5194
	s_branch .LBB2_5195
.LBB2_5558:                             ;   in Loop: Header=BB2_4922 Depth=3
	s_or_saveexec_b32 s73, s73
	v_mov_b32_e32 v13, 0x7f800001
	s_xor_b32 exec_lo, exec_lo, s73
	s_cbranch_execz .LBB2_5199
.LBB2_5559:                             ;   in Loop: Header=BB2_4922 Depth=3
	v_cmp_ne_u16_sdwa s74, v9, v2 src0_sel:BYTE_3 src1_sel:DWORD
	v_mov_b32_e32 v13, 0
	s_andn2_b32 s17, s17, exec_lo
	s_and_b32 s74, s74, exec_lo
	s_or_b32 s17, s17, s74
	s_or_b32 exec_lo, exec_lo, s73
	s_and_saveexec_b32 s73, s17
	s_cbranch_execnz .LBB2_5200
	s_branch .LBB2_5201
.LBB2_5560:                             ;   in Loop: Header=BB2_4922 Depth=3
	s_or_saveexec_b32 s73, s73
	v_mov_b32_e32 v9, 0x7f800001
	s_xor_b32 exec_lo, exec_lo, s73
	s_cbranch_execz .LBB2_5215
.LBB2_5561:                             ;   in Loop: Header=BB2_4922 Depth=3
	v_cmp_ne_u16_sdwa s74, v14, v2 src0_sel:BYTE_0 src1_sel:DWORD
	v_mov_b32_e32 v9, 0
	s_andn2_b32 s17, s17, exec_lo
	s_and_b32 s74, s74, exec_lo
	s_or_b32 s17, s17, s74
	s_or_b32 exec_lo, exec_lo, s73
	s_and_saveexec_b32 s73, s17
	s_cbranch_execnz .LBB2_5216
	s_branch .LBB2_5217
.LBB2_5562:                             ;   in Loop: Header=BB2_4922 Depth=3
	s_or_saveexec_b32 s73, s73
	v_mov_b32_e32 v79, 0x7f800001
	s_xor_b32 exec_lo, exec_lo, s73
	s_cbranch_execz .LBB2_5221
.LBB2_5563:                             ;   in Loop: Header=BB2_4922 Depth=3
	v_cmp_ne_u16_sdwa s74, v10, v2 src0_sel:BYTE_0 src1_sel:DWORD
	v_mov_b32_e32 v79, 0
	s_andn2_b32 s17, s17, exec_lo
	s_and_b32 s74, s74, exec_lo
	s_or_b32 s17, s17, s74
	s_or_b32 exec_lo, exec_lo, s73
	s_and_saveexec_b32 s73, s17
	s_cbranch_execnz .LBB2_5222
	s_branch .LBB2_5223
.LBB2_5564:                             ;   in Loop: Header=BB2_4922 Depth=3
	s_or_saveexec_b32 s73, s73
	v_mov_b32_e32 v9, 0x7f800001
	s_xor_b32 exec_lo, exec_lo, s73
	s_cbranch_execz .LBB2_5229
.LBB2_5565:                             ;   in Loop: Header=BB2_4922 Depth=3
	v_cmp_ne_u16_sdwa s74, v14, v2 src0_sel:BYTE_0 src1_sel:DWORD
	v_mov_b32_e32 v9, 0
	s_andn2_b32 s17, s17, exec_lo
	s_and_b32 s74, s74, exec_lo
	s_or_b32 s17, s17, s74
	s_or_b32 exec_lo, exec_lo, s73
	s_and_saveexec_b32 s73, s17
	s_cbranch_execnz .LBB2_5230
	s_branch .LBB2_5231
.LBB2_5566:                             ;   in Loop: Header=BB2_4922 Depth=3
	s_or_saveexec_b32 s73, s73
	v_mov_b32_e32 v79, 0x7f800001
	s_xor_b32 exec_lo, exec_lo, s73
	s_cbranch_execz .LBB2_5235
.LBB2_5567:                             ;   in Loop: Header=BB2_4922 Depth=3
	v_cmp_ne_u16_sdwa s74, v10, v2 src0_sel:BYTE_0 src1_sel:DWORD
	v_mov_b32_e32 v79, 0
	s_andn2_b32 s17, s17, exec_lo
	s_and_b32 s74, s74, exec_lo
	s_or_b32 s17, s17, s74
	s_or_b32 exec_lo, exec_lo, s73
	s_and_saveexec_b32 s73, s17
	s_cbranch_execnz .LBB2_5236
	s_branch .LBB2_5237
.LBB2_5568:                             ;   in Loop: Header=BB2_4922 Depth=3
	s_or_saveexec_b32 s73, s73
	v_mov_b32_e32 v9, 0x7f800001
	s_xor_b32 exec_lo, exec_lo, s73
	s_cbranch_execz .LBB2_5251
.LBB2_5569:                             ;   in Loop: Header=BB2_4922 Depth=3
	v_cmp_ne_u16_sdwa s74, v14, v2 src0_sel:BYTE_1 src1_sel:DWORD
	v_mov_b32_e32 v9, 0
	s_andn2_b32 s17, s17, exec_lo
	s_and_b32 s74, s74, exec_lo
	s_or_b32 s17, s17, s74
	s_or_b32 exec_lo, exec_lo, s73
	s_and_saveexec_b32 s73, s17
	s_cbranch_execnz .LBB2_5252
	s_branch .LBB2_5253
.LBB2_5570:                             ;   in Loop: Header=BB2_4922 Depth=3
	s_or_saveexec_b32 s73, s73
	v_mov_b32_e32 v88, 0x7f800001
	s_xor_b32 exec_lo, exec_lo, s73
	s_cbranch_execz .LBB2_5257
.LBB2_5571:                             ;   in Loop: Header=BB2_4922 Depth=3
	v_cmp_ne_u16_sdwa s74, v10, v2 src0_sel:BYTE_1 src1_sel:DWORD
	v_mov_b32_e32 v88, 0
	s_andn2_b32 s17, s17, exec_lo
	s_and_b32 s74, s74, exec_lo
	s_or_b32 s17, s17, s74
	s_or_b32 exec_lo, exec_lo, s73
	s_and_saveexec_b32 s73, s17
	s_cbranch_execnz .LBB2_5258
	s_branch .LBB2_5259
.LBB2_5572:                             ;   in Loop: Header=BB2_4922 Depth=3
	s_or_saveexec_b32 s73, s73
	v_mov_b32_e32 v9, 0x7f800001
	s_xor_b32 exec_lo, exec_lo, s73
	s_cbranch_execz .LBB2_5265
.LBB2_5573:                             ;   in Loop: Header=BB2_4922 Depth=3
	v_cmp_ne_u16_sdwa s74, v14, v2 src0_sel:BYTE_1 src1_sel:DWORD
	v_mov_b32_e32 v9, 0
	s_andn2_b32 s17, s17, exec_lo
	s_and_b32 s74, s74, exec_lo
	s_or_b32 s17, s17, s74
	s_or_b32 exec_lo, exec_lo, s73
	s_and_saveexec_b32 s73, s17
	s_cbranch_execnz .LBB2_5266
	s_branch .LBB2_5267
.LBB2_5574:                             ;   in Loop: Header=BB2_4922 Depth=3
	s_or_saveexec_b32 s73, s73
	v_mov_b32_e32 v88, 0x7f800001
	s_xor_b32 exec_lo, exec_lo, s73
	s_cbranch_execz .LBB2_5271
.LBB2_5575:                             ;   in Loop: Header=BB2_4922 Depth=3
	v_cmp_ne_u16_sdwa s74, v10, v2 src0_sel:BYTE_1 src1_sel:DWORD
	v_mov_b32_e32 v88, 0
	s_andn2_b32 s17, s17, exec_lo
	s_and_b32 s74, s74, exec_lo
	s_or_b32 s17, s17, s74
	s_or_b32 exec_lo, exec_lo, s73
	s_and_saveexec_b32 s73, s17
	s_cbranch_execnz .LBB2_5272
	s_branch .LBB2_5273
.LBB2_5576:                             ;   in Loop: Header=BB2_4922 Depth=3
	s_or_saveexec_b32 s17, s17
	v_mov_b32_e32 v89, 0x7f800001
	s_xor_b32 exec_lo, exec_lo, s17
	s_cbranch_execz .LBB2_5287
.LBB2_5577:                             ;   in Loop: Header=BB2_4922 Depth=3
	v_cmp_ne_u16_e32 vcc_lo, 0, v9
	v_mov_b32_e32 v89, 0
	s_andn2_b32 s73, s73, exec_lo
	s_and_b32 s74, vcc_lo, exec_lo
	s_or_b32 s73, s73, s74
	s_or_b32 exec_lo, exec_lo, s17
	s_and_saveexec_b32 s17, s73
	s_cbranch_execnz .LBB2_5288
	s_branch .LBB2_5289
.LBB2_5578:                             ;   in Loop: Header=BB2_4922 Depth=3
	s_or_saveexec_b32 s73, s73
	v_mov_b32_e32 v90, 0x7f800001
	s_xor_b32 exec_lo, exec_lo, s73
	s_cbranch_execz .LBB2_5293
.LBB2_5579:                             ;   in Loop: Header=BB2_4922 Depth=3
	v_cmp_ne_u16_e32 vcc_lo, 0, v91
	v_mov_b32_e32 v90, 0
	s_andn2_b32 s17, s17, exec_lo
	s_and_b32 s74, vcc_lo, exec_lo
	s_or_b32 s17, s17, s74
	s_or_b32 exec_lo, exec_lo, s73
	s_and_saveexec_b32 s73, s17
	s_cbranch_execnz .LBB2_5294
	s_branch .LBB2_5295
.LBB2_5580:                             ;   in Loop: Header=BB2_4922 Depth=3
	s_or_saveexec_b32 s73, s73
	v_mov_b32_e32 v89, 0x7f800001
	s_xor_b32 exec_lo, exec_lo, s73
	s_cbranch_execz .LBB2_5301
.LBB2_5581:                             ;   in Loop: Header=BB2_4922 Depth=3
	v_cmp_ne_u16_e32 vcc_lo, 0, v9
	v_mov_b32_e32 v89, 0
	s_andn2_b32 s17, s17, exec_lo
	s_and_b32 s74, vcc_lo, exec_lo
	s_or_b32 s17, s17, s74
	s_or_b32 exec_lo, exec_lo, s73
	s_and_saveexec_b32 s73, s17
	s_cbranch_execnz .LBB2_5302
	s_branch .LBB2_5303
.LBB2_5582:                             ;   in Loop: Header=BB2_4922 Depth=3
	s_or_saveexec_b32 s73, s73
	v_mov_b32_e32 v9, 0x7f800001
	s_xor_b32 exec_lo, exec_lo, s73
	s_cbranch_execz .LBB2_5307
.LBB2_5583:                             ;   in Loop: Header=BB2_4922 Depth=3
	v_cmp_ne_u16_e32 vcc_lo, 0, v90
	v_mov_b32_e32 v9, 0
	s_andn2_b32 s17, s17, exec_lo
	s_and_b32 s74, vcc_lo, exec_lo
	s_or_b32 s17, s17, s74
	s_or_b32 exec_lo, exec_lo, s73
	s_and_saveexec_b32 s73, s17
	s_cbranch_execnz .LBB2_5308
	s_branch .LBB2_5309
.LBB2_5584:                             ;   in Loop: Header=BB2_4922 Depth=3
	s_or_saveexec_b32 s73, s73
	v_mov_b32_e32 v9, 0x7f800001
	s_xor_b32 exec_lo, exec_lo, s73
	s_cbranch_execz .LBB2_5323
.LBB2_5585:                             ;   in Loop: Header=BB2_4922 Depth=3
	v_cmp_ne_u16_sdwa s74, v14, v2 src0_sel:BYTE_3 src1_sel:DWORD
	v_mov_b32_e32 v9, 0
	s_andn2_b32 s17, s17, exec_lo
	s_and_b32 s74, s74, exec_lo
	s_or_b32 s17, s17, s74
	s_or_b32 exec_lo, exec_lo, s73
	s_and_saveexec_b32 s73, s17
	s_cbranch_execnz .LBB2_5324
	s_branch .LBB2_5325
.LBB2_5586:                             ;   in Loop: Header=BB2_4922 Depth=3
	s_or_saveexec_b32 s73, s73
	v_mov_b32_e32 v90, 0x7f800001
	s_xor_b32 exec_lo, exec_lo, s73
	s_cbranch_execz .LBB2_5329
.LBB2_5587:                             ;   in Loop: Header=BB2_4922 Depth=3
	v_cmp_ne_u16_sdwa s74, v10, v2 src0_sel:BYTE_3 src1_sel:DWORD
	v_mov_b32_e32 v90, 0
	s_andn2_b32 s17, s17, exec_lo
	s_and_b32 s74, s74, exec_lo
	s_or_b32 s17, s17, s74
	s_or_b32 exec_lo, exec_lo, s73
	s_and_saveexec_b32 s73, s17
	s_cbranch_execnz .LBB2_5330
	s_branch .LBB2_5331
.LBB2_5588:                             ;   in Loop: Header=BB2_4922 Depth=3
	s_or_saveexec_b32 s73, s73
	v_mov_b32_e32 v9, 0x7f800001
	s_xor_b32 exec_lo, exec_lo, s73
	s_cbranch_execz .LBB2_5337
.LBB2_5589:                             ;   in Loop: Header=BB2_4922 Depth=3
	v_cmp_ne_u16_sdwa s74, v14, v2 src0_sel:BYTE_3 src1_sel:DWORD
	v_mov_b32_e32 v9, 0
	s_andn2_b32 s17, s17, exec_lo
	s_and_b32 s74, s74, exec_lo
	s_or_b32 s17, s17, s74
	s_or_b32 exec_lo, exec_lo, s73
	s_and_saveexec_b32 s73, s17
	s_cbranch_execnz .LBB2_5338
	s_branch .LBB2_5339
.LBB2_5590:                             ;   in Loop: Header=BB2_4922 Depth=3
	s_or_saveexec_b32 s73, s73
	v_mov_b32_e32 v14, 0x7f800001
	s_xor_b32 exec_lo, exec_lo, s73
	s_cbranch_execz .LBB2_5343
.LBB2_5591:                             ;   in Loop: Header=BB2_4922 Depth=3
	v_cmp_ne_u16_sdwa s74, v10, v2 src0_sel:BYTE_3 src1_sel:DWORD
	v_mov_b32_e32 v14, 0
	s_andn2_b32 s17, s17, exec_lo
	s_and_b32 s74, s74, exec_lo
	s_or_b32 s17, s17, s74
	s_or_b32 exec_lo, exec_lo, s73
	s_and_saveexec_b32 s73, s17
	s_cbranch_execnz .LBB2_5344
	s_branch .LBB2_5345
.LBB2_5592:                             ;   in Loop: Header=BB2_4922 Depth=3
	s_or_saveexec_b32 s73, s73
	v_mov_b32_e32 v9, 0x7f800001
	s_xor_b32 exec_lo, exec_lo, s73
	s_cbranch_execz .LBB2_5359
.LBB2_5593:                             ;   in Loop: Header=BB2_4922 Depth=3
	v_cmp_ne_u16_sdwa s74, v15, v2 src0_sel:BYTE_0 src1_sel:DWORD
	v_mov_b32_e32 v9, 0
	s_andn2_b32 s17, s17, exec_lo
	s_and_b32 s74, s74, exec_lo
	s_or_b32 s17, s17, s74
	s_or_b32 exec_lo, exec_lo, s73
	s_and_saveexec_b32 s73, s17
	s_cbranch_execnz .LBB2_5360
	s_branch .LBB2_5361
.LBB2_5594:                             ;   in Loop: Header=BB2_4922 Depth=3
	s_or_saveexec_b32 s73, s73
	v_mov_b32_e32 v10, 0x7f800001
	s_xor_b32 exec_lo, exec_lo, s73
	s_cbranch_execz .LBB2_5365
.LBB2_5595:                             ;   in Loop: Header=BB2_4922 Depth=3
	v_cmp_ne_u16_sdwa s74, v11, v2 src0_sel:BYTE_0 src1_sel:DWORD
	v_mov_b32_e32 v10, 0
	s_andn2_b32 s17, s17, exec_lo
	s_and_b32 s74, s74, exec_lo
	s_or_b32 s17, s17, s74
	s_or_b32 exec_lo, exec_lo, s73
	s_and_saveexec_b32 s73, s17
	s_cbranch_execnz .LBB2_5366
	s_branch .LBB2_5367
.LBB2_5596:                             ;   in Loop: Header=BB2_4922 Depth=3
	s_or_saveexec_b32 s73, s73
	v_mov_b32_e32 v9, 0x7f800001
	s_xor_b32 exec_lo, exec_lo, s73
	s_cbranch_execz .LBB2_5373
.LBB2_5597:                             ;   in Loop: Header=BB2_4922 Depth=3
	v_cmp_ne_u16_sdwa s74, v15, v2 src0_sel:BYTE_0 src1_sel:DWORD
	v_mov_b32_e32 v9, 0
	s_andn2_b32 s17, s17, exec_lo
	s_and_b32 s74, s74, exec_lo
	s_or_b32 s17, s17, s74
	s_or_b32 exec_lo, exec_lo, s73
	s_and_saveexec_b32 s73, s17
	s_cbranch_execnz .LBB2_5374
	s_branch .LBB2_5375
.LBB2_5598:                             ;   in Loop: Header=BB2_4922 Depth=3
	s_or_saveexec_b32 s73, s73
	v_mov_b32_e32 v10, 0x7f800001
	s_xor_b32 exec_lo, exec_lo, s73
	s_cbranch_execz .LBB2_5379
.LBB2_5599:                             ;   in Loop: Header=BB2_4922 Depth=3
	v_cmp_ne_u16_sdwa s74, v11, v2 src0_sel:BYTE_0 src1_sel:DWORD
	v_mov_b32_e32 v10, 0
	s_andn2_b32 s17, s17, exec_lo
	s_and_b32 s74, s74, exec_lo
	s_or_b32 s17, s17, s74
	s_or_b32 exec_lo, exec_lo, s73
	s_and_saveexec_b32 s73, s17
	s_cbranch_execnz .LBB2_5380
	s_branch .LBB2_5381
.LBB2_5600:                             ;   in Loop: Header=BB2_4922 Depth=3
	s_or_saveexec_b32 s73, s73
	v_mov_b32_e32 v9, 0x7f800001
	s_xor_b32 exec_lo, exec_lo, s73
	s_cbranch_execz .LBB2_5395
.LBB2_5601:                             ;   in Loop: Header=BB2_4922 Depth=3
	v_cmp_ne_u16_sdwa s74, v15, v2 src0_sel:BYTE_1 src1_sel:DWORD
	v_mov_b32_e32 v9, 0
	s_andn2_b32 s17, s17, exec_lo
	s_and_b32 s74, s74, exec_lo
	s_or_b32 s17, s17, s74
	s_or_b32 exec_lo, exec_lo, s73
	s_and_saveexec_b32 s73, s17
	s_cbranch_execnz .LBB2_5396
	s_branch .LBB2_5397
.LBB2_5602:                             ;   in Loop: Header=BB2_4922 Depth=3
	s_or_saveexec_b32 s73, s73
	v_mov_b32_e32 v10, 0x7f800001
	s_xor_b32 exec_lo, exec_lo, s73
	s_cbranch_execz .LBB2_5401
.LBB2_5603:                             ;   in Loop: Header=BB2_4922 Depth=3
	v_cmp_ne_u16_sdwa s74, v11, v2 src0_sel:BYTE_1 src1_sel:DWORD
	v_mov_b32_e32 v10, 0
	s_andn2_b32 s17, s17, exec_lo
	s_and_b32 s74, s74, exec_lo
	s_or_b32 s17, s17, s74
	s_or_b32 exec_lo, exec_lo, s73
	s_and_saveexec_b32 s73, s17
	s_cbranch_execnz .LBB2_5402
	s_branch .LBB2_5403
.LBB2_5604:                             ;   in Loop: Header=BB2_4922 Depth=3
	s_or_saveexec_b32 s73, s73
	v_mov_b32_e32 v9, 0x7f800001
	s_xor_b32 exec_lo, exec_lo, s73
	s_cbranch_execz .LBB2_5409
.LBB2_5605:                             ;   in Loop: Header=BB2_4922 Depth=3
	v_cmp_ne_u16_sdwa s74, v15, v2 src0_sel:BYTE_1 src1_sel:DWORD
	v_mov_b32_e32 v9, 0
	s_andn2_b32 s17, s17, exec_lo
	s_and_b32 s74, s74, exec_lo
	s_or_b32 s17, s17, s74
	s_or_b32 exec_lo, exec_lo, s73
	s_and_saveexec_b32 s73, s17
	s_cbranch_execnz .LBB2_5410
	s_branch .LBB2_5411
.LBB2_5606:                             ;   in Loop: Header=BB2_4922 Depth=3
	s_or_saveexec_b32 s73, s73
	v_mov_b32_e32 v10, 0x7f800001
	s_xor_b32 exec_lo, exec_lo, s73
	s_cbranch_execz .LBB2_5415
.LBB2_5607:                             ;   in Loop: Header=BB2_4922 Depth=3
	v_cmp_ne_u16_sdwa s74, v11, v2 src0_sel:BYTE_1 src1_sel:DWORD
	v_mov_b32_e32 v10, 0
	s_andn2_b32 s17, s17, exec_lo
	s_and_b32 s74, s74, exec_lo
	s_or_b32 s17, s17, s74
	s_or_b32 exec_lo, exec_lo, s73
	s_and_saveexec_b32 s73, s17
	s_cbranch_execnz .LBB2_5416
	s_branch .LBB2_5417
.LBB2_5608:                             ;   in Loop: Header=BB2_4922 Depth=3
	s_or_saveexec_b32 s17, s17
	v_mov_b32_e32 v10, 0x7f800001
	s_xor_b32 exec_lo, exec_lo, s17
	s_cbranch_execz .LBB2_5431
.LBB2_5609:                             ;   in Loop: Header=BB2_4922 Depth=3
	v_cmp_ne_u16_e32 vcc_lo, 0, v9
	v_mov_b32_e32 v10, 0
	s_andn2_b32 s73, s73, exec_lo
	s_and_b32 s74, vcc_lo, exec_lo
	s_or_b32 s73, s73, s74
	s_or_b32 exec_lo, exec_lo, s17
	s_and_saveexec_b32 s17, s73
	s_cbranch_execnz .LBB2_5432
	s_branch .LBB2_5433
.LBB2_5610:                             ;   in Loop: Header=BB2_4922 Depth=3
	s_or_saveexec_b32 s73, s73
	v_mov_b32_e32 v92, 0x7f800001
	s_xor_b32 exec_lo, exec_lo, s73
	s_cbranch_execz .LBB2_5437
.LBB2_5611:                             ;   in Loop: Header=BB2_4922 Depth=3
	v_cmp_ne_u16_e32 vcc_lo, 0, v93
	v_mov_b32_e32 v92, 0
	s_andn2_b32 s17, s17, exec_lo
	s_and_b32 s74, vcc_lo, exec_lo
	s_or_b32 s17, s17, s74
	s_or_b32 exec_lo, exec_lo, s73
	s_and_saveexec_b32 s73, s17
	s_cbranch_execnz .LBB2_5438
	s_branch .LBB2_5439
.LBB2_5612:                             ;   in Loop: Header=BB2_4922 Depth=3
	s_or_saveexec_b32 s73, s73
	v_mov_b32_e32 v10, 0x7f800001
	s_xor_b32 exec_lo, exec_lo, s73
	s_cbranch_execz .LBB2_5445
.LBB2_5613:                             ;   in Loop: Header=BB2_4922 Depth=3
	v_cmp_ne_u16_e32 vcc_lo, 0, v9
	v_mov_b32_e32 v10, 0
	s_andn2_b32 s17, s17, exec_lo
	s_and_b32 s74, vcc_lo, exec_lo
	s_or_b32 s17, s17, s74
	s_or_b32 exec_lo, exec_lo, s73
	s_and_saveexec_b32 s73, s17
	s_cbranch_execnz .LBB2_5446
	s_branch .LBB2_5447
.LBB2_5614:                             ;   in Loop: Header=BB2_4922 Depth=3
	s_or_saveexec_b32 s73, s73
	v_mov_b32_e32 v9, 0x7f800001
	s_xor_b32 exec_lo, exec_lo, s73
	s_cbranch_execz .LBB2_5451
.LBB2_5615:                             ;   in Loop: Header=BB2_4922 Depth=3
	v_cmp_ne_u16_e32 vcc_lo, 0, v92
	v_mov_b32_e32 v9, 0
	s_andn2_b32 s17, s17, exec_lo
	s_and_b32 s74, vcc_lo, exec_lo
	s_or_b32 s17, s17, s74
	s_or_b32 exec_lo, exec_lo, s73
	s_and_saveexec_b32 s73, s17
	s_cbranch_execnz .LBB2_5452
	s_branch .LBB2_5453
.LBB2_5616:                             ;   in Loop: Header=BB2_4922 Depth=3
	s_or_saveexec_b32 s73, s73
	v_mov_b32_e32 v8, 0x7f800001
	s_xor_b32 exec_lo, exec_lo, s73
	s_cbranch_execz .LBB2_5467
.LBB2_5617:                             ;   in Loop: Header=BB2_4922 Depth=3
	v_cmp_ne_u16_sdwa s74, v15, v2 src0_sel:BYTE_3 src1_sel:DWORD
	v_mov_b32_e32 v8, 0
	s_andn2_b32 s17, s17, exec_lo
	s_and_b32 s74, s74, exec_lo
	s_or_b32 s17, s17, s74
	s_or_b32 exec_lo, exec_lo, s73
	s_and_saveexec_b32 s73, s17
	s_cbranch_execnz .LBB2_5468
	s_branch .LBB2_5469
.LBB2_5618:                             ;   in Loop: Header=BB2_4922 Depth=3
	s_or_saveexec_b32 s73, s73
	v_mov_b32_e32 v9, 0x7f800001
	s_xor_b32 exec_lo, exec_lo, s73
	s_cbranch_execz .LBB2_5473
.LBB2_5619:                             ;   in Loop: Header=BB2_4922 Depth=3
	v_cmp_ne_u16_sdwa s74, v11, v2 src0_sel:BYTE_3 src1_sel:DWORD
	v_mov_b32_e32 v9, 0
	s_andn2_b32 s17, s17, exec_lo
	s_and_b32 s74, s74, exec_lo
	s_or_b32 s17, s17, s74
	s_or_b32 exec_lo, exec_lo, s73
	s_and_saveexec_b32 s73, s17
	s_cbranch_execnz .LBB2_5474
	s_branch .LBB2_5475
.LBB2_5620:                             ;   in Loop: Header=BB2_4922 Depth=3
	s_or_saveexec_b32 s73, s73
	v_mov_b32_e32 v94, 0x7f800001
	s_xor_b32 exec_lo, exec_lo, s73
	s_cbranch_execz .LBB2_5481
.LBB2_5621:                             ;   in Loop: Header=BB2_4922 Depth=3
	v_cmp_ne_u16_sdwa s74, v15, v2 src0_sel:BYTE_3 src1_sel:DWORD
	v_mov_b32_e32 v94, 0
	s_andn2_b32 s17, s17, exec_lo
	s_and_b32 s74, s74, exec_lo
	s_or_b32 s17, s17, s74
	s_or_b32 exec_lo, exec_lo, s73
	s_and_saveexec_b32 s73, s17
	s_cbranch_execnz .LBB2_5482
	s_branch .LBB2_5483
.LBB2_5622:                             ;   in Loop: Header=BB2_4922 Depth=3
	s_or_saveexec_b32 s73, s73
	v_mov_b32_e32 v8, 0x7f800001
	s_xor_b32 exec_lo, exec_lo, s73
	s_cbranch_execz .LBB2_5487
.LBB2_5623:                             ;   in Loop: Header=BB2_4922 Depth=3
	v_cmp_ne_u16_sdwa s74, v11, v2 src0_sel:BYTE_3 src1_sel:DWORD
	v_mov_b32_e32 v8, 0
	s_andn2_b32 s17, s17, exec_lo
	s_and_b32 s74, s74, exec_lo
	s_or_b32 s17, s17, s74
	s_or_b32 exec_lo, exec_lo, s73
	s_and_saveexec_b32 s73, s17
	s_cbranch_execnz .LBB2_5488
	s_branch .LBB2_5489
.LBB2_5624:                             ;   in Loop: Header=BB2_2295 Depth=2
	s_or_b32 exec_lo, exec_lo, s22
.LBB2_5625:                             ;   in Loop: Header=BB2_2295 Depth=2
	s_or_b32 exec_lo, exec_lo, s19
	v_and_b32_e32 v8, 15, v58
	v_cmp_lt_i32_e32 vcc_lo, 0, v63
	v_sub_nc_u32_e32 v9, v60, v8
	v_cndmask_b32_e32 v10, 0, v87, vcc_lo
	v_cndmask_b32_e64 v15, v60, v8, s16
	v_cndmask_b32_e64 v8, 0, v9, s16
	v_sub_nc_u32_e32 v9, v10, v63
	v_cmp_ne_u32_e32 vcc_lo, 0, v15
	v_add3_u32 v14, v62, v59, v8
	v_lshl_add_u32 v68, v9, 5, v61
	s_and_b32 s19, vcc_lo, exec_lo
.LBB2_5626:                             ;   in Loop: Header=BB2_2295 Depth=2
	s_or_b32 exec_lo, exec_lo, s18
	s_and_saveexec_b32 s17, s19
	s_cbranch_execz .LBB2_6031
.LBB2_5627:                             ;   in Loop: Header=BB2_2295 Depth=2
	v_ashrrev_i32_e32 v8, 31, v68
	v_ashrrev_i32_e32 v9, 31, v15
	s_mov_b32 s18, exec_lo
	v_lshrrev_b32_e32 v8, 27, v8
	v_add_nc_u32_sdwa v9, v15, v9 dst_sel:DWORD dst_unused:UNUSED_PAD src0_sel:DWORD src1_sel:BYTE_3
	v_add_nc_u32_e32 v8, v68, v8
	v_ashrrev_i32_e32 v71, 8, v9
	v_ashrrev_i32_e32 v69, 5, v8
	v_sub_nc_u32_e32 v70, v71, v69
	v_cmpx_lt_i32_e32 0, v70
	s_cbranch_execz .LBB2_5983
; %bb.5628:                             ;   in Loop: Header=BB2_2295 Depth=2
	v_and_b32_e32 v8, 0xffffffe0, v8
	s_trap 2
	ds_read_b64 v[10:11], v0
	v_lshlrev_b32_e32 v9, 8, v69
	v_add_co_u32 v66, vcc_lo, 0xe0, v66
	v_sub_nc_u32_e32 v8, v68, v8
	v_add_co_ci_u32_e64 v67, null, 0, v67, vcc_lo
	s_bitcmp1_b32 s72, 0
	s_mov_b32 s22, 0
	v_add3_u32 v12, v14, v8, v9
	s_cselect_b32 s19, -1, 0
	v_ashrrev_i32_e32 v13, 31, v12
	v_add_co_u32 v8, vcc_lo, v12, v64
	v_add_co_ci_u32_e64 v9, null, v13, v65, vcc_lo
	s_waitcnt lgkmcnt(0)
	v_add_co_u32 v10, vcc_lo, v10, v12
	v_add_co_ci_u32_e64 v11, null, v11, v13, vcc_lo
	v_add_co_u32 v12, vcc_lo, v66, v12
	v_add_co_ci_u32_e64 v13, null, v67, v13, vcc_lo
	s_branch .LBB2_5632
.LBB2_5629:                             ;   in Loop: Header=BB2_5632 Depth=3
	s_or_b32 exec_lo, exec_lo, s16
	v_lshrrev_b32_e32 v65, 20, v65
	v_cmp_gt_i32_e32 vcc_lo, 16, v64
	v_min_i32_e32 v59, 15, v64
	v_and_b32_sdwa v80, v80, v103 dst_sel:DWORD dst_unused:UNUSED_PAD src0_sel:BYTE_3 src1_sel:DWORD
	v_cndmask_b32_e32 v65, 7, v65, vcc_lo
	v_lshlrev_b32_e32 v59, 3, v59
	v_and_b32_e32 v62, 7, v65
	v_or_b32_e32 v64, v64, v65
	v_or3_b32 v65, v59, v80, v62
	v_cmp_ne_u32_e32 vcc_lo, 0, v64
	v_cndmask_b32_e32 v64, 0, v65, vcc_lo
.LBB2_5630:                             ;   in Loop: Header=BB2_5632 Depth=3
	s_or_b32 exec_lo, exec_lo, s73
.LBB2_5631:                             ;   in Loop: Header=BB2_5632 Depth=3
	s_or_b32 exec_lo, exec_lo, s23
	v_add_co_u32 v72, vcc_lo, 0xffffff20, v12
	v_add_co_ci_u32_e64 v73, null, -1, v13, vcc_lo
	v_add_co_u32 v74, vcc_lo, 0xffffff40, v12
	v_add_co_ci_u32_e64 v75, null, -1, v13, vcc_lo
	v_add_co_u32 v65, vcc_lo, 0xffffff60, v12
	flat_store_byte v[72:73], v66 glc slc
	flat_store_byte v[74:75], v81 glc slc
	v_add_co_ci_u32_e64 v66, null, -1, v13, vcc_lo
	v_add_co_u32 v80, vcc_lo, 0xffffff80, v12
	v_add_co_ci_u32_e64 v81, null, -1, v13, vcc_lo
	v_add_co_u32 v72, vcc_lo, 0xffffffa0, v12
	;; [unrolled: 2-line block ×4, first 2 shown]
	v_sub_nc_u32_e32 v70, v70, v87
	v_add_co_ci_u32_e64 v77, null, -1, v13, vcc_lo
	v_add_co_u32 v8, vcc_lo, v8, v118
	v_add_co_ci_u32_e64 v9, null, 0, v9, vcc_lo
	v_add_co_u32 v10, vcc_lo, v10, v118
	flat_store_byte v[65:66], v60 glc slc
	flat_store_byte v[80:81], v63 glc slc
	;; [unrolled: 1-line block ×6, first 2 shown]
	v_add_co_ci_u32_e64 v11, null, 0, v11, vcc_lo
	v_cmp_gt_i32_e32 vcc_lo, 1, v70
	v_add_co_u32 v12, s16, v12, v118
	v_add_co_ci_u32_e64 v13, null, 0, v13, s16
	s_or_b32 s22, vcc_lo, s22
	s_andn2_b32 exec_lo, exec_lo, s22
	s_cbranch_execz .LBB2_5982
.LBB2_5632:                             ;   Parent Loop BB2_47 Depth=1
                                        ;     Parent Loop BB2_2295 Depth=2
                                        ; =>    This Inner Loop Header: Depth=3
	s_clause 0x7
	flat_load_ubyte v75, v[8:9] slc
	flat_load_ubyte v74, v[8:9] offset:32 slc
	flat_load_ubyte v73, v[8:9] offset:64 slc
	flat_load_ubyte v72, v[8:9] offset:96 slc
	flat_load_ubyte v62, v[8:9] offset:128 slc
	flat_load_ubyte v59, v[8:9] offset:160 slc
	flat_load_ubyte v80, v[8:9] offset:192 slc
	flat_load_ubyte v65, v[8:9] offset:224 slc
	s_clause 0x7
	flat_load_ubyte v66, v[10:11] slc
	flat_load_ubyte v81, v[10:11] offset:32 slc
	flat_load_ubyte v60, v[10:11] offset:64 slc
	;; [unrolled: 1-line block ×7, first 2 shown]
	s_and_b32 vcc_lo, exec_lo, s19
	s_mov_b32 s16, -1
                                        ; implicit-def: $vgpr76
	s_waitcnt vmcnt(15) lgkmcnt(15)
	v_cmp_gt_i16_sdwa s23, v75, v102 src0_sel:BYTE_0 src1_sel:DWORD
	s_cbranch_vccz .LBB2_5646
; %bb.5633:                             ;   in Loop: Header=BB2_5632 Depth=3
	s_mov_b32 s16, 0
	s_and_saveexec_b32 s73, s23
	s_xor_b32 s23, exec_lo, s73
	s_cbranch_execz .LBB2_5918
; %bb.5634:                             ;   in Loop: Header=BB2_5632 Depth=3
	v_cmp_eq_u16_sdwa s74, v75, v103 src0_sel:BYTE_0 src1_sel:DWORD
	s_mov_b32 s16, -1
	s_and_saveexec_b32 s73, s74
; %bb.5635:                             ;   in Loop: Header=BB2_5632 Depth=3
	s_xor_b32 s16, exec_lo, -1
; %bb.5636:                             ;   in Loop: Header=BB2_5632 Depth=3
	s_or_b32 exec_lo, exec_lo, s73
	s_and_b32 s16, s16, exec_lo
	s_or_saveexec_b32 s23, s23
	v_mov_b32_e32 v76, 0x7f800001
	s_xor_b32 exec_lo, exec_lo, s23
	s_cbranch_execnz .LBB2_5919
.LBB2_5637:                             ;   in Loop: Header=BB2_5632 Depth=3
	s_or_b32 exec_lo, exec_lo, s23
	s_and_saveexec_b32 s23, s16
	s_cbranch_execz .LBB2_5639
.LBB2_5638:                             ;   in Loop: Header=BB2_5632 Depth=3
	v_and_b32_e32 v76, 7, v75
	v_lshrrev_b16 v78, 3, v75
	v_lshlrev_b32_e32 v88, 24, v75
	v_ffbh_u32_e32 v77, v76
	v_and_b32_e32 v78, 15, v78
	v_min_u32_e32 v77, 32, v77
	v_cmp_eq_u32_e32 vcc_lo, 0, v78
	v_subrev_nc_u32_e32 v79, 28, v77
	v_sub_nc_u32_e32 v77, 29, v77
	v_lshlrev_b32_e32 v79, v79, v75
	v_cndmask_b32_e32 v77, v78, v77, vcc_lo
	v_and_b32_e32 v78, 0x80000000, v88
	v_and_b32_e32 v79, 7, v79
	v_lshl_add_u32 v77, v77, 23, 0x3b800000
	v_cndmask_b32_e32 v76, v76, v79, vcc_lo
	v_lshlrev_b32_e32 v76, 20, v76
	v_or3_b32 v76, v78, v77, v76
.LBB2_5639:                             ;   in Loop: Header=BB2_5632 Depth=3
	s_or_b32 exec_lo, exec_lo, s23
	s_waitcnt vmcnt(7) lgkmcnt(7)
	v_cmp_gt_i16_sdwa s23, v66, v102 src0_sel:BYTE_0 src1_sel:DWORD
	s_mov_b32 s16, 0
	s_and_saveexec_b32 s73, s23
	s_xor_b32 s23, exec_lo, s73
	s_cbranch_execz .LBB2_5920
; %bb.5640:                             ;   in Loop: Header=BB2_5632 Depth=3
	v_cmp_eq_u16_sdwa s74, v66, v103 src0_sel:BYTE_0 src1_sel:DWORD
	s_mov_b32 s16, -1
	s_and_saveexec_b32 s73, s74
; %bb.5641:                             ;   in Loop: Header=BB2_5632 Depth=3
	s_xor_b32 s16, exec_lo, -1
; %bb.5642:                             ;   in Loop: Header=BB2_5632 Depth=3
	s_or_b32 exec_lo, exec_lo, s73
	s_and_b32 s16, s16, exec_lo
	s_or_saveexec_b32 s23, s23
	v_mov_b32_e32 v77, 0x7f800001
	s_xor_b32 exec_lo, exec_lo, s23
	s_cbranch_execnz .LBB2_5921
.LBB2_5643:                             ;   in Loop: Header=BB2_5632 Depth=3
	s_or_b32 exec_lo, exec_lo, s23
	s_and_saveexec_b32 s23, s16
	s_cbranch_execz .LBB2_5645
.LBB2_5644:                             ;   in Loop: Header=BB2_5632 Depth=3
	v_and_b32_e32 v77, 7, v66
	v_lshrrev_b16 v79, 3, v66
	v_lshlrev_b32_e32 v89, 24, v66
	v_ffbh_u32_e32 v78, v77
	v_and_b32_e32 v79, 15, v79
	v_min_u32_e32 v78, 32, v78
	v_cmp_eq_u32_e32 vcc_lo, 0, v79
	v_subrev_nc_u32_e32 v88, 28, v78
	v_sub_nc_u32_e32 v78, 29, v78
	v_lshlrev_b32_e32 v88, v88, v66
	v_cndmask_b32_e32 v78, v79, v78, vcc_lo
	v_and_b32_e32 v79, 0x80000000, v89
	v_and_b32_e32 v88, 7, v88
	v_lshl_add_u32 v78, v78, 23, 0x3b800000
	v_cndmask_b32_e32 v77, v77, v88, vcc_lo
	v_lshlrev_b32_e32 v77, 20, v77
	v_or3_b32 v77, v79, v78, v77
.LBB2_5645:                             ;   in Loop: Header=BB2_5632 Depth=3
	s_or_b32 exec_lo, exec_lo, s23
	v_max_f32_e32 v77, v77, v77
	v_max_f32_e32 v76, v76, v76
	s_mov_b32 s16, 0
	v_max_f32_e32 v76, v76, v77
.LBB2_5646:                             ;   in Loop: Header=BB2_5632 Depth=3
	s_and_b32 vcc_lo, exec_lo, s16
	s_cbranch_vccz .LBB2_5660
; %bb.5647:                             ;   in Loop: Header=BB2_5632 Depth=3
	v_cmp_gt_i16_sdwa s23, v75, v102 src0_sel:BYTE_0 src1_sel:DWORD
	s_mov_b32 s16, 0
	s_and_saveexec_b32 s73, s23
	s_xor_b32 s23, exec_lo, s73
	s_cbranch_execz .LBB2_5922
; %bb.5648:                             ;   in Loop: Header=BB2_5632 Depth=3
	v_cmp_eq_u16_sdwa s74, v75, v103 src0_sel:BYTE_0 src1_sel:DWORD
	s_mov_b32 s16, -1
	s_and_saveexec_b32 s73, s74
; %bb.5649:                             ;   in Loop: Header=BB2_5632 Depth=3
	s_xor_b32 s16, exec_lo, -1
; %bb.5650:                             ;   in Loop: Header=BB2_5632 Depth=3
	s_or_b32 exec_lo, exec_lo, s73
	s_and_b32 s16, s16, exec_lo
	s_or_saveexec_b32 s23, s23
	v_mov_b32_e32 v76, 0x7f800001
	s_xor_b32 exec_lo, exec_lo, s23
	s_cbranch_execnz .LBB2_5923
.LBB2_5651:                             ;   in Loop: Header=BB2_5632 Depth=3
	s_or_b32 exec_lo, exec_lo, s23
	s_and_saveexec_b32 s23, s16
	s_cbranch_execz .LBB2_5653
.LBB2_5652:                             ;   in Loop: Header=BB2_5632 Depth=3
	v_and_b32_e32 v76, 7, v75
	v_lshrrev_b16 v78, 3, v75
	v_ffbh_u32_e32 v77, v76
	v_and_b32_e32 v78, 15, v78
	v_min_u32_e32 v77, 32, v77
	v_cmp_eq_u32_e32 vcc_lo, 0, v78
	v_subrev_nc_u32_e32 v79, 28, v77
	v_sub_nc_u32_e32 v77, 29, v77
	v_lshlrev_b32_e32 v79, v79, v75
	v_lshlrev_b32_e32 v75, 24, v75
	v_cndmask_b32_e32 v77, v78, v77, vcc_lo
	v_and_b32_e32 v79, 7, v79
	v_and_b32_e32 v75, 0x80000000, v75
	v_lshl_add_u32 v77, v77, 23, 0x3b800000
	v_cndmask_b32_e32 v76, v76, v79, vcc_lo
	v_lshlrev_b32_e32 v76, 20, v76
	v_or3_b32 v76, v75, v77, v76
.LBB2_5653:                             ;   in Loop: Header=BB2_5632 Depth=3
	s_or_b32 exec_lo, exec_lo, s23
	s_waitcnt vmcnt(7) lgkmcnt(7)
	v_cmp_gt_i16_sdwa s23, v66, v102 src0_sel:BYTE_0 src1_sel:DWORD
	s_mov_b32 s16, 0
	s_and_saveexec_b32 s73, s23
	s_xor_b32 s23, exec_lo, s73
	s_cbranch_execz .LBB2_5924
; %bb.5654:                             ;   in Loop: Header=BB2_5632 Depth=3
	v_cmp_eq_u16_sdwa s74, v66, v103 src0_sel:BYTE_0 src1_sel:DWORD
	s_mov_b32 s16, -1
	s_and_saveexec_b32 s73, s74
; %bb.5655:                             ;   in Loop: Header=BB2_5632 Depth=3
	s_xor_b32 s16, exec_lo, -1
; %bb.5656:                             ;   in Loop: Header=BB2_5632 Depth=3
	s_or_b32 exec_lo, exec_lo, s73
	s_and_b32 s16, s16, exec_lo
	s_or_saveexec_b32 s23, s23
	v_mov_b32_e32 v75, 0x7f800001
	s_xor_b32 exec_lo, exec_lo, s23
	s_cbranch_execnz .LBB2_5925
.LBB2_5657:                             ;   in Loop: Header=BB2_5632 Depth=3
	s_or_b32 exec_lo, exec_lo, s23
	s_and_saveexec_b32 s23, s16
	s_cbranch_execz .LBB2_5659
.LBB2_5658:                             ;   in Loop: Header=BB2_5632 Depth=3
	v_and_b32_e32 v75, 7, v66
	v_lshrrev_b16 v78, 3, v66
	v_ffbh_u32_e32 v77, v75
	v_and_b32_e32 v78, 15, v78
	v_min_u32_e32 v77, 32, v77
	v_cmp_eq_u32_e32 vcc_lo, 0, v78
	v_subrev_nc_u32_e32 v79, 28, v77
	v_sub_nc_u32_e32 v77, 29, v77
	v_lshlrev_b32_e32 v79, v79, v66
	v_lshlrev_b32_e32 v66, 24, v66
	v_cndmask_b32_e32 v77, v78, v77, vcc_lo
	v_and_b32_e32 v79, 7, v79
	v_and_b32_e32 v66, 0x80000000, v66
	v_lshl_add_u32 v77, v77, 23, 0x3b800000
	v_cndmask_b32_e32 v75, v75, v79, vcc_lo
	v_lshlrev_b32_e32 v75, 20, v75
	v_or3_b32 v75, v66, v77, v75
.LBB2_5659:                             ;   in Loop: Header=BB2_5632 Depth=3
	s_or_b32 exec_lo, exec_lo, s23
	v_max_f32_e32 v66, v75, v75
	v_max_f32_e32 v75, v76, v76
	v_min_f32_e32 v76, v75, v66
.LBB2_5660:                             ;   in Loop: Header=BB2_5632 Depth=3
	s_waitcnt vmcnt(7) lgkmcnt(7)
	v_and_b32_e32 v66, 0x7f800000, v76
	v_cmp_ne_u32_e32 vcc_lo, 0x7f800000, v66
	v_mov_b32_e32 v66, 0x80
	s_and_saveexec_b32 s23, vcc_lo
	s_cbranch_execz .LBB2_5668
; %bb.5661:                             ;   in Loop: Header=BB2_5632 Depth=3
	v_mov_b32_e32 v66, 0
	s_mov_b32 s73, exec_lo
	v_cmpx_ne_u32_e32 0, v76
	s_cbranch_execz .LBB2_5667
; %bb.5662:                             ;   in Loop: Header=BB2_5632 Depth=3
	v_bfe_u32 v66, v76, 23, 8
	v_and_b32_e32 v75, 0x7fffff, v76
	v_sub_nc_u32_e32 v77, 0x78, v66
	v_cmp_gt_u32_e32 vcc_lo, 0x79, v66
	v_or_b32_e32 v78, 0x800000, v75
	v_cndmask_b32_e32 v77, 0, v77, vcc_lo
	v_cmp_eq_u32_e32 vcc_lo, 0, v66
	v_add_nc_u32_e32 v66, 0xffffff89, v66
	v_cndmask_b32_e64 v77, v77, 0x77, vcc_lo
	v_cndmask_b32_e32 v75, v78, v75, vcc_lo
	v_cndmask_b32_e64 v66, v66, 0xffffff8a, vcc_lo
	v_lshl_add_u32 v78, 0x100000, v77, -1
	v_lshrrev_b32_e32 v79, v77, v75
	v_lshlrev_b32_e64 v89, v77, 0x80000
	v_add_nc_u32_e32 v77, v77, v66
	v_and_b32_e32 v75, v78, v75
	v_bfe_u32 v88, v79, 20, 1
	v_cmp_eq_u32_e64 s16, v75, v89
	v_add_nc_u32_e32 v78, -1, v88
	v_cndmask_b32_e64 v75, 0, v78, s16
	v_lshrrev_b32_e32 v78, 23, v79
	s_mov_b32 s16, exec_lo
	v_add_nc_u32_e32 v75, v75, v79
	v_xor_b32_e32 v78, 1, v78
	v_and_b32_e32 v66, 0xfffff, v75
	v_add_nc_u32_e32 v75, v66, v79
                                        ; implicit-def: $vgpr66
	v_cmpx_ne_u32_e64 v77, v78
	s_xor_b32 s16, exec_lo, s16
; %bb.5663:                             ;   in Loop: Header=BB2_5632 Depth=3
	v_cmp_lt_u32_e32 vcc_lo, 0xffffff, v75
	v_sub_nc_u32_e32 v66, v77, v78
	v_cndmask_b32_e64 v77, 0, 1, vcc_lo
	v_add_co_ci_u32_e64 v66, null, 0, v66, vcc_lo
	v_lshrrev_b32_e32 v75, v77, v75
; %bb.5664:                             ;   in Loop: Header=BB2_5632 Depth=3
	s_andn2_saveexec_b32 s16, s16
; %bb.5665:                             ;   in Loop: Header=BB2_5632 Depth=3
	v_bfe_u32 v66, v75, 23, 1
; %bb.5666:                             ;   in Loop: Header=BB2_5632 Depth=3
	s_or_b32 exec_lo, exec_lo, s16
	v_lshrrev_b32_e32 v75, 20, v75
	v_cmp_gt_i32_e32 vcc_lo, 16, v66
	v_min_i32_e32 v77, 15, v66
	v_and_b32_sdwa v76, v76, v103 dst_sel:DWORD dst_unused:UNUSED_PAD src0_sel:BYTE_3 src1_sel:DWORD
	v_cndmask_b32_e32 v75, 7, v75, vcc_lo
	v_lshlrev_b32_e32 v77, 3, v77
	v_and_b32_e32 v78, 7, v75
	v_or_b32_e32 v66, v66, v75
	v_or3_b32 v75, v77, v76, v78
	v_cmp_ne_u32_e32 vcc_lo, 0, v66
	v_cndmask_b32_e32 v66, 0, v75, vcc_lo
.LBB2_5667:                             ;   in Loop: Header=BB2_5632 Depth=3
	s_or_b32 exec_lo, exec_lo, s73
.LBB2_5668:                             ;   in Loop: Header=BB2_5632 Depth=3
	s_or_b32 exec_lo, exec_lo, s23
	v_cmp_gt_i16_sdwa s23, v74, v102 src0_sel:BYTE_0 src1_sel:DWORD
	s_andn2_b32 vcc_lo, exec_lo, s19
	s_mov_b32 s16, -1
                                        ; implicit-def: $vgpr75
	s_cbranch_vccnz .LBB2_5682
; %bb.5669:                             ;   in Loop: Header=BB2_5632 Depth=3
	s_mov_b32 s16, 0
	s_and_saveexec_b32 s73, s23
	s_xor_b32 s23, exec_lo, s73
	s_cbranch_execz .LBB2_5926
; %bb.5670:                             ;   in Loop: Header=BB2_5632 Depth=3
	v_cmp_eq_u16_sdwa s74, v74, v103 src0_sel:BYTE_0 src1_sel:DWORD
	s_mov_b32 s16, -1
	s_and_saveexec_b32 s73, s74
; %bb.5671:                             ;   in Loop: Header=BB2_5632 Depth=3
	s_xor_b32 s16, exec_lo, -1
; %bb.5672:                             ;   in Loop: Header=BB2_5632 Depth=3
	s_or_b32 exec_lo, exec_lo, s73
	s_and_b32 s16, s16, exec_lo
	s_or_saveexec_b32 s23, s23
	v_mov_b32_e32 v75, 0x7f800001
	s_xor_b32 exec_lo, exec_lo, s23
	s_cbranch_execnz .LBB2_5927
.LBB2_5673:                             ;   in Loop: Header=BB2_5632 Depth=3
	s_or_b32 exec_lo, exec_lo, s23
	s_and_saveexec_b32 s23, s16
	s_cbranch_execz .LBB2_5675
.LBB2_5674:                             ;   in Loop: Header=BB2_5632 Depth=3
	v_and_b32_e32 v75, 7, v74
	v_lshrrev_b16 v77, 3, v74
	v_lshlrev_b32_e32 v79, 24, v74
	v_ffbh_u32_e32 v76, v75
	v_and_b32_e32 v77, 15, v77
	v_min_u32_e32 v76, 32, v76
	v_cmp_eq_u32_e32 vcc_lo, 0, v77
	v_subrev_nc_u32_e32 v78, 28, v76
	v_sub_nc_u32_e32 v76, 29, v76
	v_lshlrev_b32_e32 v78, v78, v74
	v_cndmask_b32_e32 v76, v77, v76, vcc_lo
	v_and_b32_e32 v77, 0x80000000, v79
	v_and_b32_e32 v78, 7, v78
	v_lshl_add_u32 v76, v76, 23, 0x3b800000
	v_cndmask_b32_e32 v75, v75, v78, vcc_lo
	v_lshlrev_b32_e32 v75, 20, v75
	v_or3_b32 v75, v77, v76, v75
.LBB2_5675:                             ;   in Loop: Header=BB2_5632 Depth=3
	s_or_b32 exec_lo, exec_lo, s23
	s_waitcnt vmcnt(6) lgkmcnt(6)
	v_cmp_gt_i16_sdwa s23, v81, v102 src0_sel:BYTE_0 src1_sel:DWORD
	s_mov_b32 s16, 0
	s_and_saveexec_b32 s73, s23
	s_xor_b32 s23, exec_lo, s73
	s_cbranch_execz .LBB2_5928
; %bb.5676:                             ;   in Loop: Header=BB2_5632 Depth=3
	v_cmp_eq_u16_sdwa s74, v81, v103 src0_sel:BYTE_0 src1_sel:DWORD
	s_mov_b32 s16, -1
	s_and_saveexec_b32 s73, s74
; %bb.5677:                             ;   in Loop: Header=BB2_5632 Depth=3
	s_xor_b32 s16, exec_lo, -1
; %bb.5678:                             ;   in Loop: Header=BB2_5632 Depth=3
	s_or_b32 exec_lo, exec_lo, s73
	s_and_b32 s16, s16, exec_lo
	s_or_saveexec_b32 s23, s23
	v_mov_b32_e32 v76, 0x7f800001
	s_xor_b32 exec_lo, exec_lo, s23
	s_cbranch_execnz .LBB2_5929
.LBB2_5679:                             ;   in Loop: Header=BB2_5632 Depth=3
	s_or_b32 exec_lo, exec_lo, s23
	s_and_saveexec_b32 s23, s16
	s_cbranch_execz .LBB2_5681
.LBB2_5680:                             ;   in Loop: Header=BB2_5632 Depth=3
	v_and_b32_e32 v76, 7, v81
	v_lshrrev_b16 v78, 3, v81
	v_lshlrev_b32_e32 v88, 24, v81
	v_ffbh_u32_e32 v77, v76
	v_and_b32_e32 v78, 15, v78
	v_min_u32_e32 v77, 32, v77
	v_cmp_eq_u32_e32 vcc_lo, 0, v78
	v_subrev_nc_u32_e32 v79, 28, v77
	v_sub_nc_u32_e32 v77, 29, v77
	v_lshlrev_b32_e32 v79, v79, v81
	v_cndmask_b32_e32 v77, v78, v77, vcc_lo
	v_and_b32_e32 v78, 0x80000000, v88
	v_and_b32_e32 v79, 7, v79
	v_lshl_add_u32 v77, v77, 23, 0x3b800000
	v_cndmask_b32_e32 v76, v76, v79, vcc_lo
	v_lshlrev_b32_e32 v76, 20, v76
	v_or3_b32 v76, v78, v77, v76
.LBB2_5681:                             ;   in Loop: Header=BB2_5632 Depth=3
	s_or_b32 exec_lo, exec_lo, s23
	v_max_f32_e32 v76, v76, v76
	v_max_f32_e32 v75, v75, v75
	s_mov_b32 s16, 0
	v_max_f32_e32 v75, v75, v76
.LBB2_5682:                             ;   in Loop: Header=BB2_5632 Depth=3
	s_and_b32 vcc_lo, exec_lo, s16
	s_cbranch_vccz .LBB2_5696
; %bb.5683:                             ;   in Loop: Header=BB2_5632 Depth=3
	v_cmp_gt_i16_sdwa s23, v74, v102 src0_sel:BYTE_0 src1_sel:DWORD
	s_mov_b32 s16, 0
	s_and_saveexec_b32 s73, s23
	s_xor_b32 s23, exec_lo, s73
	s_cbranch_execz .LBB2_5930
; %bb.5684:                             ;   in Loop: Header=BB2_5632 Depth=3
	v_cmp_eq_u16_sdwa s74, v74, v103 src0_sel:BYTE_0 src1_sel:DWORD
	s_mov_b32 s16, -1
	s_and_saveexec_b32 s73, s74
; %bb.5685:                             ;   in Loop: Header=BB2_5632 Depth=3
	s_xor_b32 s16, exec_lo, -1
; %bb.5686:                             ;   in Loop: Header=BB2_5632 Depth=3
	s_or_b32 exec_lo, exec_lo, s73
	s_and_b32 s16, s16, exec_lo
	s_or_saveexec_b32 s23, s23
	v_mov_b32_e32 v75, 0x7f800001
	s_xor_b32 exec_lo, exec_lo, s23
	s_cbranch_execnz .LBB2_5931
.LBB2_5687:                             ;   in Loop: Header=BB2_5632 Depth=3
	s_or_b32 exec_lo, exec_lo, s23
	s_and_saveexec_b32 s23, s16
	s_cbranch_execz .LBB2_5689
.LBB2_5688:                             ;   in Loop: Header=BB2_5632 Depth=3
	v_and_b32_e32 v75, 7, v74
	v_lshrrev_b16 v77, 3, v74
	v_ffbh_u32_e32 v76, v75
	v_and_b32_e32 v77, 15, v77
	v_min_u32_e32 v76, 32, v76
	v_cmp_eq_u32_e32 vcc_lo, 0, v77
	v_subrev_nc_u32_e32 v78, 28, v76
	v_sub_nc_u32_e32 v76, 29, v76
	v_lshlrev_b32_e32 v78, v78, v74
	v_lshlrev_b32_e32 v74, 24, v74
	v_cndmask_b32_e32 v76, v77, v76, vcc_lo
	v_and_b32_e32 v78, 7, v78
	v_and_b32_e32 v74, 0x80000000, v74
	v_lshl_add_u32 v76, v76, 23, 0x3b800000
	v_cndmask_b32_e32 v75, v75, v78, vcc_lo
	v_lshlrev_b32_e32 v75, 20, v75
	v_or3_b32 v75, v74, v76, v75
.LBB2_5689:                             ;   in Loop: Header=BB2_5632 Depth=3
	s_or_b32 exec_lo, exec_lo, s23
	s_waitcnt vmcnt(6) lgkmcnt(6)
	v_cmp_gt_i16_sdwa s23, v81, v102 src0_sel:BYTE_0 src1_sel:DWORD
	s_mov_b32 s16, 0
	s_and_saveexec_b32 s73, s23
	s_xor_b32 s23, exec_lo, s73
	s_cbranch_execz .LBB2_5932
; %bb.5690:                             ;   in Loop: Header=BB2_5632 Depth=3
	v_cmp_eq_u16_sdwa s74, v81, v103 src0_sel:BYTE_0 src1_sel:DWORD
	s_mov_b32 s16, -1
	s_and_saveexec_b32 s73, s74
; %bb.5691:                             ;   in Loop: Header=BB2_5632 Depth=3
	s_xor_b32 s16, exec_lo, -1
; %bb.5692:                             ;   in Loop: Header=BB2_5632 Depth=3
	s_or_b32 exec_lo, exec_lo, s73
	s_and_b32 s16, s16, exec_lo
	s_or_saveexec_b32 s23, s23
	v_mov_b32_e32 v74, 0x7f800001
	s_xor_b32 exec_lo, exec_lo, s23
	s_cbranch_execnz .LBB2_5933
.LBB2_5693:                             ;   in Loop: Header=BB2_5632 Depth=3
	s_or_b32 exec_lo, exec_lo, s23
	s_and_saveexec_b32 s23, s16
	s_cbranch_execz .LBB2_5695
.LBB2_5694:                             ;   in Loop: Header=BB2_5632 Depth=3
	v_and_b32_e32 v74, 7, v81
	v_lshrrev_b16 v77, 3, v81
	v_ffbh_u32_e32 v76, v74
	v_and_b32_e32 v77, 15, v77
	v_min_u32_e32 v76, 32, v76
	v_cmp_eq_u32_e32 vcc_lo, 0, v77
	v_subrev_nc_u32_e32 v78, 28, v76
	v_sub_nc_u32_e32 v76, 29, v76
	v_lshlrev_b32_e32 v78, v78, v81
	v_lshlrev_b32_e32 v81, 24, v81
	v_cndmask_b32_e32 v76, v77, v76, vcc_lo
	v_and_b32_e32 v78, 7, v78
	v_and_b32_e32 v81, 0x80000000, v81
	v_lshl_add_u32 v76, v76, 23, 0x3b800000
	v_cndmask_b32_e32 v74, v74, v78, vcc_lo
	v_lshlrev_b32_e32 v74, 20, v74
	v_or3_b32 v74, v81, v76, v74
.LBB2_5695:                             ;   in Loop: Header=BB2_5632 Depth=3
	s_or_b32 exec_lo, exec_lo, s23
	v_max_f32_e32 v81, v74, v74
	v_max_f32_e32 v74, v75, v75
	v_min_f32_e32 v75, v74, v81
.LBB2_5696:                             ;   in Loop: Header=BB2_5632 Depth=3
	s_waitcnt vmcnt(6) lgkmcnt(6)
	v_and_b32_e32 v81, 0x7f800000, v75
	v_cmp_ne_u32_e32 vcc_lo, 0x7f800000, v81
	v_mov_b32_e32 v81, 0x80
	s_and_saveexec_b32 s23, vcc_lo
	s_cbranch_execz .LBB2_5704
; %bb.5697:                             ;   in Loop: Header=BB2_5632 Depth=3
	v_mov_b32_e32 v81, 0
	s_mov_b32 s73, exec_lo
	v_cmpx_ne_u32_e32 0, v75
	s_cbranch_execz .LBB2_5703
; %bb.5698:                             ;   in Loop: Header=BB2_5632 Depth=3
	v_bfe_u32 v81, v75, 23, 8
	v_and_b32_e32 v74, 0x7fffff, v75
	v_sub_nc_u32_e32 v76, 0x78, v81
	v_cmp_gt_u32_e32 vcc_lo, 0x79, v81
	v_or_b32_e32 v77, 0x800000, v74
	v_cndmask_b32_e32 v76, 0, v76, vcc_lo
	v_cmp_eq_u32_e32 vcc_lo, 0, v81
	v_add_nc_u32_e32 v81, 0xffffff89, v81
	v_cndmask_b32_e64 v76, v76, 0x77, vcc_lo
	v_cndmask_b32_e32 v74, v77, v74, vcc_lo
	v_cndmask_b32_e64 v81, v81, 0xffffff8a, vcc_lo
	v_lshl_add_u32 v77, 0x100000, v76, -1
	v_lshrrev_b32_e32 v78, v76, v74
	v_lshlrev_b32_e64 v88, v76, 0x80000
	v_add_nc_u32_e32 v76, v76, v81
	v_and_b32_e32 v74, v77, v74
	v_bfe_u32 v79, v78, 20, 1
	v_cmp_eq_u32_e64 s16, v74, v88
	v_add_nc_u32_e32 v77, -1, v79
	v_cndmask_b32_e64 v74, 0, v77, s16
	v_lshrrev_b32_e32 v77, 23, v78
	s_mov_b32 s16, exec_lo
	v_add_nc_u32_e32 v74, v74, v78
	v_xor_b32_e32 v77, 1, v77
	v_and_b32_e32 v81, 0xfffff, v74
	v_add_nc_u32_e32 v74, v81, v78
                                        ; implicit-def: $vgpr81
	v_cmpx_ne_u32_e64 v76, v77
	s_xor_b32 s16, exec_lo, s16
; %bb.5699:                             ;   in Loop: Header=BB2_5632 Depth=3
	v_cmp_lt_u32_e32 vcc_lo, 0xffffff, v74
	v_sub_nc_u32_e32 v81, v76, v77
	v_cndmask_b32_e64 v76, 0, 1, vcc_lo
	v_add_co_ci_u32_e64 v81, null, 0, v81, vcc_lo
	v_lshrrev_b32_e32 v74, v76, v74
; %bb.5700:                             ;   in Loop: Header=BB2_5632 Depth=3
	s_andn2_saveexec_b32 s16, s16
; %bb.5701:                             ;   in Loop: Header=BB2_5632 Depth=3
	v_bfe_u32 v81, v74, 23, 1
; %bb.5702:                             ;   in Loop: Header=BB2_5632 Depth=3
	s_or_b32 exec_lo, exec_lo, s16
	v_lshrrev_b32_e32 v74, 20, v74
	v_cmp_gt_i32_e32 vcc_lo, 16, v81
	v_min_i32_e32 v76, 15, v81
	v_and_b32_sdwa v75, v75, v103 dst_sel:DWORD dst_unused:UNUSED_PAD src0_sel:BYTE_3 src1_sel:DWORD
	v_cndmask_b32_e32 v74, 7, v74, vcc_lo
	v_lshlrev_b32_e32 v76, 3, v76
	v_and_b32_e32 v77, 7, v74
	v_or_b32_e32 v81, v81, v74
	v_or3_b32 v74, v76, v75, v77
	v_cmp_ne_u32_e32 vcc_lo, 0, v81
	v_cndmask_b32_e32 v81, 0, v74, vcc_lo
.LBB2_5703:                             ;   in Loop: Header=BB2_5632 Depth=3
	s_or_b32 exec_lo, exec_lo, s73
.LBB2_5704:                             ;   in Loop: Header=BB2_5632 Depth=3
	s_or_b32 exec_lo, exec_lo, s23
	v_cmp_gt_i16_sdwa s23, v73, v102 src0_sel:BYTE_0 src1_sel:DWORD
	s_andn2_b32 vcc_lo, exec_lo, s19
	s_mov_b32 s16, -1
                                        ; implicit-def: $vgpr74
	s_cbranch_vccnz .LBB2_5718
; %bb.5705:                             ;   in Loop: Header=BB2_5632 Depth=3
	s_mov_b32 s16, 0
	s_and_saveexec_b32 s73, s23
	s_xor_b32 s23, exec_lo, s73
	s_cbranch_execz .LBB2_5934
; %bb.5706:                             ;   in Loop: Header=BB2_5632 Depth=3
	v_cmp_eq_u16_sdwa s74, v73, v103 src0_sel:BYTE_0 src1_sel:DWORD
	s_mov_b32 s16, -1
	s_and_saveexec_b32 s73, s74
; %bb.5707:                             ;   in Loop: Header=BB2_5632 Depth=3
	s_xor_b32 s16, exec_lo, -1
; %bb.5708:                             ;   in Loop: Header=BB2_5632 Depth=3
	s_or_b32 exec_lo, exec_lo, s73
	s_and_b32 s16, s16, exec_lo
	s_or_saveexec_b32 s23, s23
	v_mov_b32_e32 v74, 0x7f800001
	s_xor_b32 exec_lo, exec_lo, s23
	s_cbranch_execnz .LBB2_5935
.LBB2_5709:                             ;   in Loop: Header=BB2_5632 Depth=3
	s_or_b32 exec_lo, exec_lo, s23
	s_and_saveexec_b32 s23, s16
	s_cbranch_execz .LBB2_5711
.LBB2_5710:                             ;   in Loop: Header=BB2_5632 Depth=3
	v_and_b32_e32 v74, 7, v73
	v_lshrrev_b16 v76, 3, v73
	v_lshlrev_b32_e32 v78, 24, v73
	v_ffbh_u32_e32 v75, v74
	v_and_b32_e32 v76, 15, v76
	v_min_u32_e32 v75, 32, v75
	v_cmp_eq_u32_e32 vcc_lo, 0, v76
	v_subrev_nc_u32_e32 v77, 28, v75
	v_sub_nc_u32_e32 v75, 29, v75
	v_lshlrev_b32_e32 v77, v77, v73
	v_cndmask_b32_e32 v75, v76, v75, vcc_lo
	v_and_b32_e32 v76, 0x80000000, v78
	v_and_b32_e32 v77, 7, v77
	v_lshl_add_u32 v75, v75, 23, 0x3b800000
	v_cndmask_b32_e32 v74, v74, v77, vcc_lo
	v_lshlrev_b32_e32 v74, 20, v74
	v_or3_b32 v74, v76, v75, v74
.LBB2_5711:                             ;   in Loop: Header=BB2_5632 Depth=3
	s_or_b32 exec_lo, exec_lo, s23
	s_waitcnt vmcnt(5) lgkmcnt(5)
	v_cmp_gt_i16_sdwa s23, v60, v102 src0_sel:BYTE_0 src1_sel:DWORD
	s_mov_b32 s16, 0
	s_and_saveexec_b32 s73, s23
	s_xor_b32 s23, exec_lo, s73
	s_cbranch_execz .LBB2_5936
; %bb.5712:                             ;   in Loop: Header=BB2_5632 Depth=3
	v_cmp_eq_u16_sdwa s74, v60, v103 src0_sel:BYTE_0 src1_sel:DWORD
	s_mov_b32 s16, -1
	s_and_saveexec_b32 s73, s74
; %bb.5713:                             ;   in Loop: Header=BB2_5632 Depth=3
	s_xor_b32 s16, exec_lo, -1
; %bb.5714:                             ;   in Loop: Header=BB2_5632 Depth=3
	s_or_b32 exec_lo, exec_lo, s73
	s_and_b32 s16, s16, exec_lo
	s_or_saveexec_b32 s23, s23
	v_mov_b32_e32 v75, 0x7f800001
	s_xor_b32 exec_lo, exec_lo, s23
	s_cbranch_execnz .LBB2_5937
.LBB2_5715:                             ;   in Loop: Header=BB2_5632 Depth=3
	s_or_b32 exec_lo, exec_lo, s23
	s_and_saveexec_b32 s23, s16
	s_cbranch_execz .LBB2_5717
.LBB2_5716:                             ;   in Loop: Header=BB2_5632 Depth=3
	v_and_b32_e32 v75, 7, v60
	v_lshrrev_b16 v77, 3, v60
	v_lshlrev_b32_e32 v79, 24, v60
	v_ffbh_u32_e32 v76, v75
	v_and_b32_e32 v77, 15, v77
	v_min_u32_e32 v76, 32, v76
	v_cmp_eq_u32_e32 vcc_lo, 0, v77
	v_subrev_nc_u32_e32 v78, 28, v76
	v_sub_nc_u32_e32 v76, 29, v76
	v_lshlrev_b32_e32 v78, v78, v60
	v_cndmask_b32_e32 v76, v77, v76, vcc_lo
	v_and_b32_e32 v77, 0x80000000, v79
	v_and_b32_e32 v78, 7, v78
	v_lshl_add_u32 v76, v76, 23, 0x3b800000
	v_cndmask_b32_e32 v75, v75, v78, vcc_lo
	v_lshlrev_b32_e32 v75, 20, v75
	v_or3_b32 v75, v77, v76, v75
.LBB2_5717:                             ;   in Loop: Header=BB2_5632 Depth=3
	s_or_b32 exec_lo, exec_lo, s23
	v_max_f32_e32 v75, v75, v75
	v_max_f32_e32 v74, v74, v74
	s_mov_b32 s16, 0
	v_max_f32_e32 v74, v74, v75
.LBB2_5718:                             ;   in Loop: Header=BB2_5632 Depth=3
	s_and_b32 vcc_lo, exec_lo, s16
	s_cbranch_vccz .LBB2_5732
; %bb.5719:                             ;   in Loop: Header=BB2_5632 Depth=3
	v_cmp_gt_i16_sdwa s23, v73, v102 src0_sel:BYTE_0 src1_sel:DWORD
	s_mov_b32 s16, 0
	s_and_saveexec_b32 s73, s23
	s_xor_b32 s23, exec_lo, s73
	s_cbranch_execz .LBB2_5938
; %bb.5720:                             ;   in Loop: Header=BB2_5632 Depth=3
	v_cmp_eq_u16_sdwa s74, v73, v103 src0_sel:BYTE_0 src1_sel:DWORD
	s_mov_b32 s16, -1
	s_and_saveexec_b32 s73, s74
; %bb.5721:                             ;   in Loop: Header=BB2_5632 Depth=3
	s_xor_b32 s16, exec_lo, -1
; %bb.5722:                             ;   in Loop: Header=BB2_5632 Depth=3
	s_or_b32 exec_lo, exec_lo, s73
	s_and_b32 s16, s16, exec_lo
	s_or_saveexec_b32 s23, s23
	v_mov_b32_e32 v74, 0x7f800001
	s_xor_b32 exec_lo, exec_lo, s23
	s_cbranch_execnz .LBB2_5939
.LBB2_5723:                             ;   in Loop: Header=BB2_5632 Depth=3
	s_or_b32 exec_lo, exec_lo, s23
	s_and_saveexec_b32 s23, s16
	s_cbranch_execz .LBB2_5725
.LBB2_5724:                             ;   in Loop: Header=BB2_5632 Depth=3
	v_and_b32_e32 v74, 7, v73
	v_lshrrev_b16 v76, 3, v73
	v_ffbh_u32_e32 v75, v74
	v_and_b32_e32 v76, 15, v76
	v_min_u32_e32 v75, 32, v75
	v_cmp_eq_u32_e32 vcc_lo, 0, v76
	v_subrev_nc_u32_e32 v77, 28, v75
	v_sub_nc_u32_e32 v75, 29, v75
	v_lshlrev_b32_e32 v77, v77, v73
	v_lshlrev_b32_e32 v73, 24, v73
	v_cndmask_b32_e32 v75, v76, v75, vcc_lo
	v_and_b32_e32 v77, 7, v77
	v_and_b32_e32 v73, 0x80000000, v73
	v_lshl_add_u32 v75, v75, 23, 0x3b800000
	v_cndmask_b32_e32 v74, v74, v77, vcc_lo
	v_lshlrev_b32_e32 v74, 20, v74
	v_or3_b32 v74, v73, v75, v74
.LBB2_5725:                             ;   in Loop: Header=BB2_5632 Depth=3
	s_or_b32 exec_lo, exec_lo, s23
	s_waitcnt vmcnt(5) lgkmcnt(5)
	v_cmp_gt_i16_sdwa s23, v60, v102 src0_sel:BYTE_0 src1_sel:DWORD
	s_mov_b32 s16, 0
	s_and_saveexec_b32 s73, s23
	s_xor_b32 s23, exec_lo, s73
	s_cbranch_execz .LBB2_5940
; %bb.5726:                             ;   in Loop: Header=BB2_5632 Depth=3
	v_cmp_eq_u16_sdwa s74, v60, v103 src0_sel:BYTE_0 src1_sel:DWORD
	s_mov_b32 s16, -1
	s_and_saveexec_b32 s73, s74
; %bb.5727:                             ;   in Loop: Header=BB2_5632 Depth=3
	s_xor_b32 s16, exec_lo, -1
; %bb.5728:                             ;   in Loop: Header=BB2_5632 Depth=3
	s_or_b32 exec_lo, exec_lo, s73
	s_and_b32 s16, s16, exec_lo
	s_or_saveexec_b32 s23, s23
	v_mov_b32_e32 v73, 0x7f800001
	s_xor_b32 exec_lo, exec_lo, s23
	s_cbranch_execnz .LBB2_5941
.LBB2_5729:                             ;   in Loop: Header=BB2_5632 Depth=3
	s_or_b32 exec_lo, exec_lo, s23
	s_and_saveexec_b32 s23, s16
	s_cbranch_execz .LBB2_5731
.LBB2_5730:                             ;   in Loop: Header=BB2_5632 Depth=3
	v_and_b32_e32 v73, 7, v60
	v_lshrrev_b16 v76, 3, v60
	v_ffbh_u32_e32 v75, v73
	v_and_b32_e32 v76, 15, v76
	v_min_u32_e32 v75, 32, v75
	v_cmp_eq_u32_e32 vcc_lo, 0, v76
	v_subrev_nc_u32_e32 v77, 28, v75
	v_sub_nc_u32_e32 v75, 29, v75
	v_lshlrev_b32_e32 v77, v77, v60
	v_lshlrev_b32_e32 v60, 24, v60
	v_cndmask_b32_e32 v75, v76, v75, vcc_lo
	v_and_b32_e32 v77, 7, v77
	v_and_b32_e32 v60, 0x80000000, v60
	v_lshl_add_u32 v75, v75, 23, 0x3b800000
	v_cndmask_b32_e32 v73, v73, v77, vcc_lo
	v_lshlrev_b32_e32 v73, 20, v73
	v_or3_b32 v73, v60, v75, v73
.LBB2_5731:                             ;   in Loop: Header=BB2_5632 Depth=3
	s_or_b32 exec_lo, exec_lo, s23
	v_max_f32_e32 v60, v73, v73
	v_max_f32_e32 v73, v74, v74
	v_min_f32_e32 v74, v73, v60
.LBB2_5732:                             ;   in Loop: Header=BB2_5632 Depth=3
	s_waitcnt vmcnt(5) lgkmcnt(5)
	v_and_b32_e32 v60, 0x7f800000, v74
	v_cmp_ne_u32_e32 vcc_lo, 0x7f800000, v60
	v_mov_b32_e32 v60, 0x80
	s_and_saveexec_b32 s23, vcc_lo
	s_cbranch_execz .LBB2_5740
; %bb.5733:                             ;   in Loop: Header=BB2_5632 Depth=3
	v_mov_b32_e32 v60, 0
	s_mov_b32 s73, exec_lo
	v_cmpx_ne_u32_e32 0, v74
	s_cbranch_execz .LBB2_5739
; %bb.5734:                             ;   in Loop: Header=BB2_5632 Depth=3
	v_bfe_u32 v60, v74, 23, 8
	v_and_b32_e32 v73, 0x7fffff, v74
	v_sub_nc_u32_e32 v75, 0x78, v60
	v_cmp_gt_u32_e32 vcc_lo, 0x79, v60
	v_or_b32_e32 v76, 0x800000, v73
	v_cndmask_b32_e32 v75, 0, v75, vcc_lo
	v_cmp_eq_u32_e32 vcc_lo, 0, v60
	v_add_nc_u32_e32 v60, 0xffffff89, v60
	v_cndmask_b32_e64 v75, v75, 0x77, vcc_lo
	v_cndmask_b32_e32 v73, v76, v73, vcc_lo
	v_cndmask_b32_e64 v60, v60, 0xffffff8a, vcc_lo
	v_lshl_add_u32 v76, 0x100000, v75, -1
	v_lshrrev_b32_e32 v77, v75, v73
	v_lshlrev_b32_e64 v79, v75, 0x80000
	v_add_nc_u32_e32 v75, v75, v60
	v_and_b32_e32 v73, v76, v73
	v_bfe_u32 v78, v77, 20, 1
	v_cmp_eq_u32_e64 s16, v73, v79
	v_add_nc_u32_e32 v76, -1, v78
	v_cndmask_b32_e64 v73, 0, v76, s16
	v_lshrrev_b32_e32 v76, 23, v77
	s_mov_b32 s16, exec_lo
	v_add_nc_u32_e32 v73, v73, v77
	v_xor_b32_e32 v76, 1, v76
	v_and_b32_e32 v60, 0xfffff, v73
	v_add_nc_u32_e32 v73, v60, v77
                                        ; implicit-def: $vgpr60
	v_cmpx_ne_u32_e64 v75, v76
	s_xor_b32 s16, exec_lo, s16
; %bb.5735:                             ;   in Loop: Header=BB2_5632 Depth=3
	v_cmp_lt_u32_e32 vcc_lo, 0xffffff, v73
	v_sub_nc_u32_e32 v60, v75, v76
	v_cndmask_b32_e64 v75, 0, 1, vcc_lo
	v_add_co_ci_u32_e64 v60, null, 0, v60, vcc_lo
	v_lshrrev_b32_e32 v73, v75, v73
; %bb.5736:                             ;   in Loop: Header=BB2_5632 Depth=3
	s_andn2_saveexec_b32 s16, s16
; %bb.5737:                             ;   in Loop: Header=BB2_5632 Depth=3
	v_bfe_u32 v60, v73, 23, 1
; %bb.5738:                             ;   in Loop: Header=BB2_5632 Depth=3
	s_or_b32 exec_lo, exec_lo, s16
	v_lshrrev_b32_e32 v73, 20, v73
	v_cmp_gt_i32_e32 vcc_lo, 16, v60
	v_min_i32_e32 v75, 15, v60
	v_and_b32_sdwa v74, v74, v103 dst_sel:DWORD dst_unused:UNUSED_PAD src0_sel:BYTE_3 src1_sel:DWORD
	v_cndmask_b32_e32 v73, 7, v73, vcc_lo
	v_lshlrev_b32_e32 v75, 3, v75
	v_and_b32_e32 v76, 7, v73
	v_or_b32_e32 v60, v60, v73
	v_or3_b32 v73, v75, v74, v76
	v_cmp_ne_u32_e32 vcc_lo, 0, v60
	v_cndmask_b32_e32 v60, 0, v73, vcc_lo
.LBB2_5739:                             ;   in Loop: Header=BB2_5632 Depth=3
	s_or_b32 exec_lo, exec_lo, s73
.LBB2_5740:                             ;   in Loop: Header=BB2_5632 Depth=3
	s_or_b32 exec_lo, exec_lo, s23
	v_cmp_gt_i16_sdwa s23, v72, v102 src0_sel:BYTE_0 src1_sel:DWORD
	s_andn2_b32 vcc_lo, exec_lo, s19
	s_mov_b32 s16, -1
                                        ; implicit-def: $vgpr73
	s_cbranch_vccnz .LBB2_5754
; %bb.5741:                             ;   in Loop: Header=BB2_5632 Depth=3
	s_mov_b32 s16, 0
	s_and_saveexec_b32 s73, s23
	s_xor_b32 s23, exec_lo, s73
	s_cbranch_execz .LBB2_5942
; %bb.5742:                             ;   in Loop: Header=BB2_5632 Depth=3
	v_cmp_eq_u16_sdwa s74, v72, v103 src0_sel:BYTE_0 src1_sel:DWORD
	s_mov_b32 s16, -1
	s_and_saveexec_b32 s73, s74
; %bb.5743:                             ;   in Loop: Header=BB2_5632 Depth=3
	s_xor_b32 s16, exec_lo, -1
; %bb.5744:                             ;   in Loop: Header=BB2_5632 Depth=3
	s_or_b32 exec_lo, exec_lo, s73
	s_and_b32 s16, s16, exec_lo
	s_or_saveexec_b32 s23, s23
	v_mov_b32_e32 v73, 0x7f800001
	s_xor_b32 exec_lo, exec_lo, s23
	s_cbranch_execnz .LBB2_5943
.LBB2_5745:                             ;   in Loop: Header=BB2_5632 Depth=3
	s_or_b32 exec_lo, exec_lo, s23
	s_and_saveexec_b32 s23, s16
	s_cbranch_execz .LBB2_5747
.LBB2_5746:                             ;   in Loop: Header=BB2_5632 Depth=3
	v_and_b32_e32 v73, 7, v72
	v_lshrrev_b16 v75, 3, v72
	v_lshlrev_b32_e32 v77, 24, v72
	v_ffbh_u32_e32 v74, v73
	v_and_b32_e32 v75, 15, v75
	v_min_u32_e32 v74, 32, v74
	v_cmp_eq_u32_e32 vcc_lo, 0, v75
	v_subrev_nc_u32_e32 v76, 28, v74
	v_sub_nc_u32_e32 v74, 29, v74
	v_lshlrev_b32_e32 v76, v76, v72
	v_cndmask_b32_e32 v74, v75, v74, vcc_lo
	v_and_b32_e32 v75, 0x80000000, v77
	v_and_b32_e32 v76, 7, v76
	v_lshl_add_u32 v74, v74, 23, 0x3b800000
	v_cndmask_b32_e32 v73, v73, v76, vcc_lo
	v_lshlrev_b32_e32 v73, 20, v73
	v_or3_b32 v73, v75, v74, v73
.LBB2_5747:                             ;   in Loop: Header=BB2_5632 Depth=3
	s_or_b32 exec_lo, exec_lo, s23
	s_waitcnt vmcnt(4) lgkmcnt(4)
	v_cmp_gt_i16_sdwa s23, v63, v102 src0_sel:BYTE_0 src1_sel:DWORD
	s_mov_b32 s16, 0
	s_and_saveexec_b32 s73, s23
	s_xor_b32 s23, exec_lo, s73
	s_cbranch_execz .LBB2_5944
; %bb.5748:                             ;   in Loop: Header=BB2_5632 Depth=3
	v_cmp_eq_u16_sdwa s74, v63, v103 src0_sel:BYTE_0 src1_sel:DWORD
	s_mov_b32 s16, -1
	s_and_saveexec_b32 s73, s74
; %bb.5749:                             ;   in Loop: Header=BB2_5632 Depth=3
	s_xor_b32 s16, exec_lo, -1
; %bb.5750:                             ;   in Loop: Header=BB2_5632 Depth=3
	s_or_b32 exec_lo, exec_lo, s73
	s_and_b32 s16, s16, exec_lo
	s_or_saveexec_b32 s23, s23
	v_mov_b32_e32 v74, 0x7f800001
	s_xor_b32 exec_lo, exec_lo, s23
	s_cbranch_execnz .LBB2_5945
.LBB2_5751:                             ;   in Loop: Header=BB2_5632 Depth=3
	s_or_b32 exec_lo, exec_lo, s23
	s_and_saveexec_b32 s23, s16
	s_cbranch_execz .LBB2_5753
.LBB2_5752:                             ;   in Loop: Header=BB2_5632 Depth=3
	v_and_b32_e32 v74, 7, v63
	v_lshrrev_b16 v76, 3, v63
	v_lshlrev_b32_e32 v78, 24, v63
	v_ffbh_u32_e32 v75, v74
	v_and_b32_e32 v76, 15, v76
	v_min_u32_e32 v75, 32, v75
	v_cmp_eq_u32_e32 vcc_lo, 0, v76
	v_subrev_nc_u32_e32 v77, 28, v75
	v_sub_nc_u32_e32 v75, 29, v75
	v_lshlrev_b32_e32 v77, v77, v63
	v_cndmask_b32_e32 v75, v76, v75, vcc_lo
	v_and_b32_e32 v76, 0x80000000, v78
	v_and_b32_e32 v77, 7, v77
	v_lshl_add_u32 v75, v75, 23, 0x3b800000
	v_cndmask_b32_e32 v74, v74, v77, vcc_lo
	v_lshlrev_b32_e32 v74, 20, v74
	v_or3_b32 v74, v76, v75, v74
.LBB2_5753:                             ;   in Loop: Header=BB2_5632 Depth=3
	s_or_b32 exec_lo, exec_lo, s23
	v_max_f32_e32 v74, v74, v74
	v_max_f32_e32 v73, v73, v73
	s_mov_b32 s16, 0
	v_max_f32_e32 v73, v73, v74
.LBB2_5754:                             ;   in Loop: Header=BB2_5632 Depth=3
	s_and_b32 vcc_lo, exec_lo, s16
	s_cbranch_vccz .LBB2_5768
; %bb.5755:                             ;   in Loop: Header=BB2_5632 Depth=3
	v_cmp_gt_i16_sdwa s23, v72, v102 src0_sel:BYTE_0 src1_sel:DWORD
	s_mov_b32 s16, 0
	s_and_saveexec_b32 s73, s23
	s_xor_b32 s23, exec_lo, s73
	s_cbranch_execz .LBB2_5946
; %bb.5756:                             ;   in Loop: Header=BB2_5632 Depth=3
	v_cmp_eq_u16_sdwa s74, v72, v103 src0_sel:BYTE_0 src1_sel:DWORD
	s_mov_b32 s16, -1
	s_and_saveexec_b32 s73, s74
; %bb.5757:                             ;   in Loop: Header=BB2_5632 Depth=3
	s_xor_b32 s16, exec_lo, -1
; %bb.5758:                             ;   in Loop: Header=BB2_5632 Depth=3
	s_or_b32 exec_lo, exec_lo, s73
	s_and_b32 s16, s16, exec_lo
	s_or_saveexec_b32 s23, s23
	v_mov_b32_e32 v73, 0x7f800001
	s_xor_b32 exec_lo, exec_lo, s23
	s_cbranch_execnz .LBB2_5947
.LBB2_5759:                             ;   in Loop: Header=BB2_5632 Depth=3
	s_or_b32 exec_lo, exec_lo, s23
	s_and_saveexec_b32 s23, s16
	s_cbranch_execz .LBB2_5761
.LBB2_5760:                             ;   in Loop: Header=BB2_5632 Depth=3
	v_and_b32_e32 v73, 7, v72
	v_lshrrev_b16 v75, 3, v72
	v_ffbh_u32_e32 v74, v73
	v_and_b32_e32 v75, 15, v75
	v_min_u32_e32 v74, 32, v74
	v_cmp_eq_u32_e32 vcc_lo, 0, v75
	v_subrev_nc_u32_e32 v76, 28, v74
	v_sub_nc_u32_e32 v74, 29, v74
	v_lshlrev_b32_e32 v76, v76, v72
	v_lshlrev_b32_e32 v72, 24, v72
	v_cndmask_b32_e32 v74, v75, v74, vcc_lo
	v_and_b32_e32 v76, 7, v76
	v_and_b32_e32 v72, 0x80000000, v72
	v_lshl_add_u32 v74, v74, 23, 0x3b800000
	v_cndmask_b32_e32 v73, v73, v76, vcc_lo
	v_lshlrev_b32_e32 v73, 20, v73
	v_or3_b32 v73, v72, v74, v73
.LBB2_5761:                             ;   in Loop: Header=BB2_5632 Depth=3
	s_or_b32 exec_lo, exec_lo, s23
	s_waitcnt vmcnt(4) lgkmcnt(4)
	v_cmp_gt_i16_sdwa s23, v63, v102 src0_sel:BYTE_0 src1_sel:DWORD
	s_mov_b32 s16, 0
	s_and_saveexec_b32 s73, s23
	s_xor_b32 s23, exec_lo, s73
	s_cbranch_execz .LBB2_5948
; %bb.5762:                             ;   in Loop: Header=BB2_5632 Depth=3
	v_cmp_eq_u16_sdwa s74, v63, v103 src0_sel:BYTE_0 src1_sel:DWORD
	s_mov_b32 s16, -1
	s_and_saveexec_b32 s73, s74
; %bb.5763:                             ;   in Loop: Header=BB2_5632 Depth=3
	s_xor_b32 s16, exec_lo, -1
; %bb.5764:                             ;   in Loop: Header=BB2_5632 Depth=3
	s_or_b32 exec_lo, exec_lo, s73
	s_and_b32 s16, s16, exec_lo
	s_or_saveexec_b32 s23, s23
	v_mov_b32_e32 v72, 0x7f800001
	s_xor_b32 exec_lo, exec_lo, s23
	s_cbranch_execnz .LBB2_5949
.LBB2_5765:                             ;   in Loop: Header=BB2_5632 Depth=3
	s_or_b32 exec_lo, exec_lo, s23
	s_and_saveexec_b32 s23, s16
	s_cbranch_execz .LBB2_5767
.LBB2_5766:                             ;   in Loop: Header=BB2_5632 Depth=3
	v_and_b32_e32 v72, 7, v63
	v_lshrrev_b16 v75, 3, v63
	v_ffbh_u32_e32 v74, v72
	v_and_b32_e32 v75, 15, v75
	v_min_u32_e32 v74, 32, v74
	v_cmp_eq_u32_e32 vcc_lo, 0, v75
	v_subrev_nc_u32_e32 v76, 28, v74
	v_sub_nc_u32_e32 v74, 29, v74
	v_lshlrev_b32_e32 v76, v76, v63
	v_lshlrev_b32_e32 v63, 24, v63
	v_cndmask_b32_e32 v74, v75, v74, vcc_lo
	v_and_b32_e32 v76, 7, v76
	v_and_b32_e32 v63, 0x80000000, v63
	v_lshl_add_u32 v74, v74, 23, 0x3b800000
	v_cndmask_b32_e32 v72, v72, v76, vcc_lo
	v_lshlrev_b32_e32 v72, 20, v72
	v_or3_b32 v72, v63, v74, v72
.LBB2_5767:                             ;   in Loop: Header=BB2_5632 Depth=3
	s_or_b32 exec_lo, exec_lo, s23
	v_max_f32_e32 v63, v72, v72
	v_max_f32_e32 v72, v73, v73
	v_min_f32_e32 v73, v72, v63
.LBB2_5768:                             ;   in Loop: Header=BB2_5632 Depth=3
	s_waitcnt vmcnt(4) lgkmcnt(4)
	v_and_b32_e32 v63, 0x7f800000, v73
	v_cmp_ne_u32_e32 vcc_lo, 0x7f800000, v63
	v_mov_b32_e32 v63, 0x80
	s_and_saveexec_b32 s23, vcc_lo
	s_cbranch_execz .LBB2_5776
; %bb.5769:                             ;   in Loop: Header=BB2_5632 Depth=3
	v_mov_b32_e32 v63, 0
	s_mov_b32 s73, exec_lo
	v_cmpx_ne_u32_e32 0, v73
	s_cbranch_execz .LBB2_5775
; %bb.5770:                             ;   in Loop: Header=BB2_5632 Depth=3
	v_bfe_u32 v63, v73, 23, 8
	v_and_b32_e32 v72, 0x7fffff, v73
	v_sub_nc_u32_e32 v74, 0x78, v63
	v_cmp_gt_u32_e32 vcc_lo, 0x79, v63
	v_or_b32_e32 v75, 0x800000, v72
	v_cndmask_b32_e32 v74, 0, v74, vcc_lo
	v_cmp_eq_u32_e32 vcc_lo, 0, v63
	v_add_nc_u32_e32 v63, 0xffffff89, v63
	v_cndmask_b32_e64 v74, v74, 0x77, vcc_lo
	v_cndmask_b32_e32 v72, v75, v72, vcc_lo
	v_cndmask_b32_e64 v63, v63, 0xffffff8a, vcc_lo
	v_lshl_add_u32 v75, 0x100000, v74, -1
	v_lshrrev_b32_e32 v76, v74, v72
	v_lshlrev_b32_e64 v78, v74, 0x80000
	v_add_nc_u32_e32 v74, v74, v63
	v_and_b32_e32 v72, v75, v72
	v_bfe_u32 v77, v76, 20, 1
	v_cmp_eq_u32_e64 s16, v72, v78
	v_add_nc_u32_e32 v75, -1, v77
	v_cndmask_b32_e64 v72, 0, v75, s16
	v_lshrrev_b32_e32 v75, 23, v76
	s_mov_b32 s16, exec_lo
	v_add_nc_u32_e32 v72, v72, v76
	v_xor_b32_e32 v75, 1, v75
	v_and_b32_e32 v63, 0xfffff, v72
	v_add_nc_u32_e32 v72, v63, v76
                                        ; implicit-def: $vgpr63
	v_cmpx_ne_u32_e64 v74, v75
	s_xor_b32 s16, exec_lo, s16
; %bb.5771:                             ;   in Loop: Header=BB2_5632 Depth=3
	v_cmp_lt_u32_e32 vcc_lo, 0xffffff, v72
	v_sub_nc_u32_e32 v63, v74, v75
	v_cndmask_b32_e64 v74, 0, 1, vcc_lo
	v_add_co_ci_u32_e64 v63, null, 0, v63, vcc_lo
	v_lshrrev_b32_e32 v72, v74, v72
; %bb.5772:                             ;   in Loop: Header=BB2_5632 Depth=3
	s_andn2_saveexec_b32 s16, s16
; %bb.5773:                             ;   in Loop: Header=BB2_5632 Depth=3
	v_bfe_u32 v63, v72, 23, 1
; %bb.5774:                             ;   in Loop: Header=BB2_5632 Depth=3
	s_or_b32 exec_lo, exec_lo, s16
	v_lshrrev_b32_e32 v72, 20, v72
	v_cmp_gt_i32_e32 vcc_lo, 16, v63
	v_min_i32_e32 v74, 15, v63
	v_and_b32_sdwa v73, v73, v103 dst_sel:DWORD dst_unused:UNUSED_PAD src0_sel:BYTE_3 src1_sel:DWORD
	v_cndmask_b32_e32 v72, 7, v72, vcc_lo
	v_lshlrev_b32_e32 v74, 3, v74
	v_and_b32_e32 v75, 7, v72
	v_or_b32_e32 v63, v63, v72
	v_or3_b32 v72, v74, v73, v75
	v_cmp_ne_u32_e32 vcc_lo, 0, v63
	v_cndmask_b32_e32 v63, 0, v72, vcc_lo
.LBB2_5775:                             ;   in Loop: Header=BB2_5632 Depth=3
	s_or_b32 exec_lo, exec_lo, s73
.LBB2_5776:                             ;   in Loop: Header=BB2_5632 Depth=3
	s_or_b32 exec_lo, exec_lo, s23
	v_cmp_gt_i16_sdwa s23, v62, v102 src0_sel:BYTE_0 src1_sel:DWORD
	s_andn2_b32 vcc_lo, exec_lo, s19
	s_mov_b32 s16, -1
                                        ; implicit-def: $vgpr72
	s_cbranch_vccnz .LBB2_5790
; %bb.5777:                             ;   in Loop: Header=BB2_5632 Depth=3
	s_mov_b32 s16, 0
	s_and_saveexec_b32 s73, s23
	s_xor_b32 s23, exec_lo, s73
	s_cbranch_execz .LBB2_5950
; %bb.5778:                             ;   in Loop: Header=BB2_5632 Depth=3
	v_cmp_eq_u16_sdwa s74, v62, v103 src0_sel:BYTE_0 src1_sel:DWORD
	s_mov_b32 s16, -1
	s_and_saveexec_b32 s73, s74
; %bb.5779:                             ;   in Loop: Header=BB2_5632 Depth=3
	s_xor_b32 s16, exec_lo, -1
; %bb.5780:                             ;   in Loop: Header=BB2_5632 Depth=3
	s_or_b32 exec_lo, exec_lo, s73
	s_and_b32 s16, s16, exec_lo
	s_or_saveexec_b32 s23, s23
	v_mov_b32_e32 v72, 0x7f800001
	s_xor_b32 exec_lo, exec_lo, s23
	s_cbranch_execnz .LBB2_5951
.LBB2_5781:                             ;   in Loop: Header=BB2_5632 Depth=3
	s_or_b32 exec_lo, exec_lo, s23
	s_and_saveexec_b32 s23, s16
	s_cbranch_execz .LBB2_5783
.LBB2_5782:                             ;   in Loop: Header=BB2_5632 Depth=3
	v_and_b32_e32 v72, 7, v62
	v_lshrrev_b16 v74, 3, v62
	v_lshlrev_b32_e32 v76, 24, v62
	v_ffbh_u32_e32 v73, v72
	v_and_b32_e32 v74, 15, v74
	v_min_u32_e32 v73, 32, v73
	v_cmp_eq_u32_e32 vcc_lo, 0, v74
	v_subrev_nc_u32_e32 v75, 28, v73
	v_sub_nc_u32_e32 v73, 29, v73
	v_lshlrev_b32_e32 v75, v75, v62
	v_cndmask_b32_e32 v73, v74, v73, vcc_lo
	v_and_b32_e32 v74, 0x80000000, v76
	v_and_b32_e32 v75, 7, v75
	v_lshl_add_u32 v73, v73, 23, 0x3b800000
	v_cndmask_b32_e32 v72, v72, v75, vcc_lo
	v_lshlrev_b32_e32 v72, 20, v72
	v_or3_b32 v72, v74, v73, v72
.LBB2_5783:                             ;   in Loop: Header=BB2_5632 Depth=3
	s_or_b32 exec_lo, exec_lo, s23
	s_waitcnt vmcnt(3) lgkmcnt(3)
	v_cmp_gt_i16_sdwa s23, v61, v102 src0_sel:BYTE_0 src1_sel:DWORD
	s_mov_b32 s16, 0
	s_and_saveexec_b32 s73, s23
	s_xor_b32 s23, exec_lo, s73
	s_cbranch_execz .LBB2_5952
; %bb.5784:                             ;   in Loop: Header=BB2_5632 Depth=3
	v_cmp_eq_u16_sdwa s74, v61, v103 src0_sel:BYTE_0 src1_sel:DWORD
	s_mov_b32 s16, -1
	s_and_saveexec_b32 s73, s74
; %bb.5785:                             ;   in Loop: Header=BB2_5632 Depth=3
	s_xor_b32 s16, exec_lo, -1
; %bb.5786:                             ;   in Loop: Header=BB2_5632 Depth=3
	s_or_b32 exec_lo, exec_lo, s73
	s_and_b32 s16, s16, exec_lo
	s_or_saveexec_b32 s23, s23
	v_mov_b32_e32 v73, 0x7f800001
	s_xor_b32 exec_lo, exec_lo, s23
	s_cbranch_execnz .LBB2_5953
.LBB2_5787:                             ;   in Loop: Header=BB2_5632 Depth=3
	s_or_b32 exec_lo, exec_lo, s23
	s_and_saveexec_b32 s23, s16
	s_cbranch_execz .LBB2_5789
.LBB2_5788:                             ;   in Loop: Header=BB2_5632 Depth=3
	v_and_b32_e32 v73, 7, v61
	v_lshrrev_b16 v75, 3, v61
	v_lshlrev_b32_e32 v77, 24, v61
	v_ffbh_u32_e32 v74, v73
	v_and_b32_e32 v75, 15, v75
	v_min_u32_e32 v74, 32, v74
	v_cmp_eq_u32_e32 vcc_lo, 0, v75
	v_subrev_nc_u32_e32 v76, 28, v74
	v_sub_nc_u32_e32 v74, 29, v74
	v_lshlrev_b32_e32 v76, v76, v61
	v_cndmask_b32_e32 v74, v75, v74, vcc_lo
	v_and_b32_e32 v75, 0x80000000, v77
	v_and_b32_e32 v76, 7, v76
	v_lshl_add_u32 v74, v74, 23, 0x3b800000
	v_cndmask_b32_e32 v73, v73, v76, vcc_lo
	v_lshlrev_b32_e32 v73, 20, v73
	v_or3_b32 v73, v75, v74, v73
.LBB2_5789:                             ;   in Loop: Header=BB2_5632 Depth=3
	s_or_b32 exec_lo, exec_lo, s23
	v_max_f32_e32 v73, v73, v73
	v_max_f32_e32 v72, v72, v72
	s_mov_b32 s16, 0
	v_max_f32_e32 v72, v72, v73
.LBB2_5790:                             ;   in Loop: Header=BB2_5632 Depth=3
	s_and_b32 vcc_lo, exec_lo, s16
	s_cbranch_vccz .LBB2_5804
; %bb.5791:                             ;   in Loop: Header=BB2_5632 Depth=3
	v_cmp_gt_i16_sdwa s23, v62, v102 src0_sel:BYTE_0 src1_sel:DWORD
	s_mov_b32 s16, 0
	s_and_saveexec_b32 s73, s23
	s_xor_b32 s23, exec_lo, s73
	s_cbranch_execz .LBB2_5954
; %bb.5792:                             ;   in Loop: Header=BB2_5632 Depth=3
	v_cmp_eq_u16_sdwa s74, v62, v103 src0_sel:BYTE_0 src1_sel:DWORD
	s_mov_b32 s16, -1
	s_and_saveexec_b32 s73, s74
; %bb.5793:                             ;   in Loop: Header=BB2_5632 Depth=3
	s_xor_b32 s16, exec_lo, -1
; %bb.5794:                             ;   in Loop: Header=BB2_5632 Depth=3
	s_or_b32 exec_lo, exec_lo, s73
	s_and_b32 s16, s16, exec_lo
	s_or_saveexec_b32 s23, s23
	v_mov_b32_e32 v72, 0x7f800001
	s_xor_b32 exec_lo, exec_lo, s23
	s_cbranch_execnz .LBB2_5955
.LBB2_5795:                             ;   in Loop: Header=BB2_5632 Depth=3
	s_or_b32 exec_lo, exec_lo, s23
	s_and_saveexec_b32 s23, s16
	s_cbranch_execz .LBB2_5797
.LBB2_5796:                             ;   in Loop: Header=BB2_5632 Depth=3
	v_and_b32_e32 v72, 7, v62
	v_lshrrev_b16 v74, 3, v62
	v_ffbh_u32_e32 v73, v72
	v_and_b32_e32 v74, 15, v74
	v_min_u32_e32 v73, 32, v73
	v_cmp_eq_u32_e32 vcc_lo, 0, v74
	v_subrev_nc_u32_e32 v75, 28, v73
	v_sub_nc_u32_e32 v73, 29, v73
	v_lshlrev_b32_e32 v75, v75, v62
	v_lshlrev_b32_e32 v62, 24, v62
	v_cndmask_b32_e32 v73, v74, v73, vcc_lo
	v_and_b32_e32 v75, 7, v75
	v_and_b32_e32 v62, 0x80000000, v62
	v_lshl_add_u32 v73, v73, 23, 0x3b800000
	v_cndmask_b32_e32 v72, v72, v75, vcc_lo
	v_lshlrev_b32_e32 v72, 20, v72
	v_or3_b32 v72, v62, v73, v72
.LBB2_5797:                             ;   in Loop: Header=BB2_5632 Depth=3
	s_or_b32 exec_lo, exec_lo, s23
	s_waitcnt vmcnt(3) lgkmcnt(3)
	v_cmp_gt_i16_sdwa s23, v61, v102 src0_sel:BYTE_0 src1_sel:DWORD
	s_mov_b32 s16, 0
	s_and_saveexec_b32 s73, s23
	s_xor_b32 s23, exec_lo, s73
	s_cbranch_execz .LBB2_5956
; %bb.5798:                             ;   in Loop: Header=BB2_5632 Depth=3
	v_cmp_eq_u16_sdwa s74, v61, v103 src0_sel:BYTE_0 src1_sel:DWORD
	s_mov_b32 s16, -1
	s_and_saveexec_b32 s73, s74
; %bb.5799:                             ;   in Loop: Header=BB2_5632 Depth=3
	s_xor_b32 s16, exec_lo, -1
; %bb.5800:                             ;   in Loop: Header=BB2_5632 Depth=3
	s_or_b32 exec_lo, exec_lo, s73
	s_and_b32 s16, s16, exec_lo
	s_or_saveexec_b32 s23, s23
	v_mov_b32_e32 v62, 0x7f800001
	s_xor_b32 exec_lo, exec_lo, s23
	s_cbranch_execnz .LBB2_5957
.LBB2_5801:                             ;   in Loop: Header=BB2_5632 Depth=3
	s_or_b32 exec_lo, exec_lo, s23
	s_and_saveexec_b32 s23, s16
	s_cbranch_execz .LBB2_5803
.LBB2_5802:                             ;   in Loop: Header=BB2_5632 Depth=3
	v_and_b32_e32 v62, 7, v61
	v_lshrrev_b16 v74, 3, v61
	v_ffbh_u32_e32 v73, v62
	v_and_b32_e32 v74, 15, v74
	v_min_u32_e32 v73, 32, v73
	v_cmp_eq_u32_e32 vcc_lo, 0, v74
	v_subrev_nc_u32_e32 v75, 28, v73
	v_sub_nc_u32_e32 v73, 29, v73
	v_lshlrev_b32_e32 v75, v75, v61
	v_lshlrev_b32_e32 v61, 24, v61
	v_cndmask_b32_e32 v73, v74, v73, vcc_lo
	v_and_b32_e32 v75, 7, v75
	v_and_b32_e32 v61, 0x80000000, v61
	v_lshl_add_u32 v73, v73, 23, 0x3b800000
	v_cndmask_b32_e32 v62, v62, v75, vcc_lo
	v_lshlrev_b32_e32 v62, 20, v62
	v_or3_b32 v62, v61, v73, v62
.LBB2_5803:                             ;   in Loop: Header=BB2_5632 Depth=3
	s_or_b32 exec_lo, exec_lo, s23
	v_max_f32_e32 v61, v62, v62
	v_max_f32_e32 v62, v72, v72
	v_min_f32_e32 v72, v62, v61
.LBB2_5804:                             ;   in Loop: Header=BB2_5632 Depth=3
	s_waitcnt vmcnt(3) lgkmcnt(3)
	v_and_b32_e32 v61, 0x7f800000, v72
	v_cmp_ne_u32_e32 vcc_lo, 0x7f800000, v61
	v_mov_b32_e32 v61, 0x80
	s_and_saveexec_b32 s23, vcc_lo
	s_cbranch_execz .LBB2_5812
; %bb.5805:                             ;   in Loop: Header=BB2_5632 Depth=3
	v_mov_b32_e32 v61, 0
	s_mov_b32 s73, exec_lo
	v_cmpx_ne_u32_e32 0, v72
	s_cbranch_execz .LBB2_5811
; %bb.5806:                             ;   in Loop: Header=BB2_5632 Depth=3
	v_bfe_u32 v61, v72, 23, 8
	v_and_b32_e32 v62, 0x7fffff, v72
	v_sub_nc_u32_e32 v73, 0x78, v61
	v_cmp_gt_u32_e32 vcc_lo, 0x79, v61
	v_or_b32_e32 v74, 0x800000, v62
	v_cndmask_b32_e32 v73, 0, v73, vcc_lo
	v_cmp_eq_u32_e32 vcc_lo, 0, v61
	v_add_nc_u32_e32 v61, 0xffffff89, v61
	v_cndmask_b32_e64 v73, v73, 0x77, vcc_lo
	v_cndmask_b32_e32 v62, v74, v62, vcc_lo
	v_cndmask_b32_e64 v61, v61, 0xffffff8a, vcc_lo
	v_lshl_add_u32 v74, 0x100000, v73, -1
	v_lshrrev_b32_e32 v75, v73, v62
	v_lshlrev_b32_e64 v77, v73, 0x80000
	v_add_nc_u32_e32 v73, v73, v61
	v_and_b32_e32 v62, v74, v62
	v_bfe_u32 v76, v75, 20, 1
	v_cmp_eq_u32_e64 s16, v62, v77
	v_add_nc_u32_e32 v74, -1, v76
	v_cndmask_b32_e64 v62, 0, v74, s16
	v_lshrrev_b32_e32 v74, 23, v75
	s_mov_b32 s16, exec_lo
	v_add_nc_u32_e32 v62, v62, v75
	v_xor_b32_e32 v74, 1, v74
	v_and_b32_e32 v61, 0xfffff, v62
	v_add_nc_u32_e32 v62, v61, v75
                                        ; implicit-def: $vgpr61
	v_cmpx_ne_u32_e64 v73, v74
	s_xor_b32 s16, exec_lo, s16
; %bb.5807:                             ;   in Loop: Header=BB2_5632 Depth=3
	v_cmp_lt_u32_e32 vcc_lo, 0xffffff, v62
	v_sub_nc_u32_e32 v61, v73, v74
	v_cndmask_b32_e64 v73, 0, 1, vcc_lo
	v_add_co_ci_u32_e64 v61, null, 0, v61, vcc_lo
	v_lshrrev_b32_e32 v62, v73, v62
; %bb.5808:                             ;   in Loop: Header=BB2_5632 Depth=3
	s_andn2_saveexec_b32 s16, s16
; %bb.5809:                             ;   in Loop: Header=BB2_5632 Depth=3
	v_bfe_u32 v61, v62, 23, 1
; %bb.5810:                             ;   in Loop: Header=BB2_5632 Depth=3
	s_or_b32 exec_lo, exec_lo, s16
	v_lshrrev_b32_e32 v62, 20, v62
	v_cmp_gt_i32_e32 vcc_lo, 16, v61
	v_min_i32_e32 v73, 15, v61
	v_and_b32_sdwa v72, v72, v103 dst_sel:DWORD dst_unused:UNUSED_PAD src0_sel:BYTE_3 src1_sel:DWORD
	v_cndmask_b32_e32 v62, 7, v62, vcc_lo
	v_lshlrev_b32_e32 v73, 3, v73
	v_and_b32_e32 v74, 7, v62
	v_or_b32_e32 v61, v61, v62
	v_or3_b32 v62, v73, v72, v74
	v_cmp_ne_u32_e32 vcc_lo, 0, v61
	v_cndmask_b32_e32 v61, 0, v62, vcc_lo
.LBB2_5811:                             ;   in Loop: Header=BB2_5632 Depth=3
	s_or_b32 exec_lo, exec_lo, s73
.LBB2_5812:                             ;   in Loop: Header=BB2_5632 Depth=3
	s_or_b32 exec_lo, exec_lo, s23
	v_cmp_gt_i16_sdwa s23, v59, v102 src0_sel:BYTE_0 src1_sel:DWORD
	s_andn2_b32 vcc_lo, exec_lo, s19
	s_mov_b32 s16, -1
                                        ; implicit-def: $vgpr62
	s_cbranch_vccnz .LBB2_5826
; %bb.5813:                             ;   in Loop: Header=BB2_5632 Depth=3
	s_mov_b32 s16, 0
	s_and_saveexec_b32 s73, s23
	s_xor_b32 s23, exec_lo, s73
	s_cbranch_execz .LBB2_5958
; %bb.5814:                             ;   in Loop: Header=BB2_5632 Depth=3
	v_cmp_eq_u16_sdwa s74, v59, v103 src0_sel:BYTE_0 src1_sel:DWORD
	s_mov_b32 s16, -1
	s_and_saveexec_b32 s73, s74
; %bb.5815:                             ;   in Loop: Header=BB2_5632 Depth=3
	s_xor_b32 s16, exec_lo, -1
; %bb.5816:                             ;   in Loop: Header=BB2_5632 Depth=3
	s_or_b32 exec_lo, exec_lo, s73
	s_and_b32 s16, s16, exec_lo
	s_or_saveexec_b32 s23, s23
	v_mov_b32_e32 v62, 0x7f800001
	s_xor_b32 exec_lo, exec_lo, s23
	s_cbranch_execnz .LBB2_5959
.LBB2_5817:                             ;   in Loop: Header=BB2_5632 Depth=3
	s_or_b32 exec_lo, exec_lo, s23
	s_and_saveexec_b32 s23, s16
	s_cbranch_execz .LBB2_5819
.LBB2_5818:                             ;   in Loop: Header=BB2_5632 Depth=3
	v_and_b32_e32 v62, 7, v59
	v_lshrrev_b16 v73, 3, v59
	v_lshlrev_b32_e32 v75, 24, v59
	v_ffbh_u32_e32 v72, v62
	v_and_b32_e32 v73, 15, v73
	v_min_u32_e32 v72, 32, v72
	v_cmp_eq_u32_e32 vcc_lo, 0, v73
	v_subrev_nc_u32_e32 v74, 28, v72
	v_sub_nc_u32_e32 v72, 29, v72
	v_lshlrev_b32_e32 v74, v74, v59
	v_cndmask_b32_e32 v72, v73, v72, vcc_lo
	v_and_b32_e32 v73, 0x80000000, v75
	v_and_b32_e32 v74, 7, v74
	v_lshl_add_u32 v72, v72, 23, 0x3b800000
	v_cndmask_b32_e32 v62, v62, v74, vcc_lo
	v_lshlrev_b32_e32 v62, 20, v62
	v_or3_b32 v62, v73, v72, v62
.LBB2_5819:                             ;   in Loop: Header=BB2_5632 Depth=3
	s_or_b32 exec_lo, exec_lo, s23
	s_waitcnt vmcnt(2) lgkmcnt(2)
	v_cmp_gt_i16_sdwa s23, v58, v102 src0_sel:BYTE_0 src1_sel:DWORD
	s_mov_b32 s16, 0
	s_and_saveexec_b32 s73, s23
	s_xor_b32 s23, exec_lo, s73
	s_cbranch_execz .LBB2_5960
; %bb.5820:                             ;   in Loop: Header=BB2_5632 Depth=3
	v_cmp_eq_u16_sdwa s74, v58, v103 src0_sel:BYTE_0 src1_sel:DWORD
	s_mov_b32 s16, -1
	s_and_saveexec_b32 s73, s74
; %bb.5821:                             ;   in Loop: Header=BB2_5632 Depth=3
	s_xor_b32 s16, exec_lo, -1
; %bb.5822:                             ;   in Loop: Header=BB2_5632 Depth=3
	s_or_b32 exec_lo, exec_lo, s73
	s_and_b32 s16, s16, exec_lo
	s_or_saveexec_b32 s23, s23
	v_mov_b32_e32 v72, 0x7f800001
	s_xor_b32 exec_lo, exec_lo, s23
	s_cbranch_execnz .LBB2_5961
.LBB2_5823:                             ;   in Loop: Header=BB2_5632 Depth=3
	s_or_b32 exec_lo, exec_lo, s23
	s_and_saveexec_b32 s23, s16
	s_cbranch_execz .LBB2_5825
.LBB2_5824:                             ;   in Loop: Header=BB2_5632 Depth=3
	v_and_b32_e32 v72, 7, v58
	v_lshrrev_b16 v74, 3, v58
	v_lshlrev_b32_e32 v76, 24, v58
	v_ffbh_u32_e32 v73, v72
	v_and_b32_e32 v74, 15, v74
	v_min_u32_e32 v73, 32, v73
	v_cmp_eq_u32_e32 vcc_lo, 0, v74
	v_subrev_nc_u32_e32 v75, 28, v73
	v_sub_nc_u32_e32 v73, 29, v73
	v_lshlrev_b32_e32 v75, v75, v58
	v_cndmask_b32_e32 v73, v74, v73, vcc_lo
	v_and_b32_e32 v74, 0x80000000, v76
	v_and_b32_e32 v75, 7, v75
	v_lshl_add_u32 v73, v73, 23, 0x3b800000
	v_cndmask_b32_e32 v72, v72, v75, vcc_lo
	v_lshlrev_b32_e32 v72, 20, v72
	v_or3_b32 v72, v74, v73, v72
.LBB2_5825:                             ;   in Loop: Header=BB2_5632 Depth=3
	s_or_b32 exec_lo, exec_lo, s23
	v_max_f32_e32 v72, v72, v72
	v_max_f32_e32 v62, v62, v62
	s_mov_b32 s16, 0
	v_max_f32_e32 v62, v62, v72
.LBB2_5826:                             ;   in Loop: Header=BB2_5632 Depth=3
	s_and_b32 vcc_lo, exec_lo, s16
	s_cbranch_vccz .LBB2_5840
; %bb.5827:                             ;   in Loop: Header=BB2_5632 Depth=3
	v_cmp_gt_i16_sdwa s23, v59, v102 src0_sel:BYTE_0 src1_sel:DWORD
	s_mov_b32 s16, 0
	s_and_saveexec_b32 s73, s23
	s_xor_b32 s23, exec_lo, s73
	s_cbranch_execz .LBB2_5962
; %bb.5828:                             ;   in Loop: Header=BB2_5632 Depth=3
	v_cmp_eq_u16_sdwa s74, v59, v103 src0_sel:BYTE_0 src1_sel:DWORD
	s_mov_b32 s16, -1
	s_and_saveexec_b32 s73, s74
; %bb.5829:                             ;   in Loop: Header=BB2_5632 Depth=3
	s_xor_b32 s16, exec_lo, -1
; %bb.5830:                             ;   in Loop: Header=BB2_5632 Depth=3
	s_or_b32 exec_lo, exec_lo, s73
	s_and_b32 s16, s16, exec_lo
	s_or_saveexec_b32 s23, s23
	v_mov_b32_e32 v62, 0x7f800001
	s_xor_b32 exec_lo, exec_lo, s23
	s_cbranch_execnz .LBB2_5963
.LBB2_5831:                             ;   in Loop: Header=BB2_5632 Depth=3
	s_or_b32 exec_lo, exec_lo, s23
	s_and_saveexec_b32 s23, s16
	s_cbranch_execz .LBB2_5833
.LBB2_5832:                             ;   in Loop: Header=BB2_5632 Depth=3
	v_and_b32_e32 v62, 7, v59
	v_lshrrev_b16 v73, 3, v59
	v_ffbh_u32_e32 v72, v62
	v_and_b32_e32 v73, 15, v73
	v_min_u32_e32 v72, 32, v72
	v_cmp_eq_u32_e32 vcc_lo, 0, v73
	v_subrev_nc_u32_e32 v74, 28, v72
	v_sub_nc_u32_e32 v72, 29, v72
	v_lshlrev_b32_e32 v74, v74, v59
	v_lshlrev_b32_e32 v59, 24, v59
	v_cndmask_b32_e32 v72, v73, v72, vcc_lo
	v_and_b32_e32 v74, 7, v74
	v_and_b32_e32 v59, 0x80000000, v59
	v_lshl_add_u32 v72, v72, 23, 0x3b800000
	v_cndmask_b32_e32 v62, v62, v74, vcc_lo
	v_lshlrev_b32_e32 v62, 20, v62
	v_or3_b32 v62, v59, v72, v62
.LBB2_5833:                             ;   in Loop: Header=BB2_5632 Depth=3
	s_or_b32 exec_lo, exec_lo, s23
	s_waitcnt vmcnt(2) lgkmcnt(2)
	v_cmp_gt_i16_sdwa s23, v58, v102 src0_sel:BYTE_0 src1_sel:DWORD
	s_mov_b32 s16, 0
	s_and_saveexec_b32 s73, s23
	s_xor_b32 s23, exec_lo, s73
	s_cbranch_execz .LBB2_5964
; %bb.5834:                             ;   in Loop: Header=BB2_5632 Depth=3
	v_cmp_eq_u16_sdwa s74, v58, v103 src0_sel:BYTE_0 src1_sel:DWORD
	s_mov_b32 s16, -1
	s_and_saveexec_b32 s73, s74
; %bb.5835:                             ;   in Loop: Header=BB2_5632 Depth=3
	s_xor_b32 s16, exec_lo, -1
; %bb.5836:                             ;   in Loop: Header=BB2_5632 Depth=3
	s_or_b32 exec_lo, exec_lo, s73
	s_and_b32 s16, s16, exec_lo
	s_or_saveexec_b32 s23, s23
	v_mov_b32_e32 v59, 0x7f800001
	s_xor_b32 exec_lo, exec_lo, s23
	s_cbranch_execnz .LBB2_5965
.LBB2_5837:                             ;   in Loop: Header=BB2_5632 Depth=3
	s_or_b32 exec_lo, exec_lo, s23
	s_and_saveexec_b32 s23, s16
	s_cbranch_execz .LBB2_5839
.LBB2_5838:                             ;   in Loop: Header=BB2_5632 Depth=3
	v_and_b32_e32 v59, 7, v58
	v_lshrrev_b16 v73, 3, v58
	v_ffbh_u32_e32 v72, v59
	v_and_b32_e32 v73, 15, v73
	v_min_u32_e32 v72, 32, v72
	v_cmp_eq_u32_e32 vcc_lo, 0, v73
	v_subrev_nc_u32_e32 v74, 28, v72
	v_sub_nc_u32_e32 v72, 29, v72
	v_lshlrev_b32_e32 v74, v74, v58
	v_lshlrev_b32_e32 v58, 24, v58
	v_cndmask_b32_e32 v72, v73, v72, vcc_lo
	v_and_b32_e32 v74, 7, v74
	v_and_b32_e32 v58, 0x80000000, v58
	v_lshl_add_u32 v72, v72, 23, 0x3b800000
	v_cndmask_b32_e32 v59, v59, v74, vcc_lo
	v_lshlrev_b32_e32 v59, 20, v59
	v_or3_b32 v59, v58, v72, v59
.LBB2_5839:                             ;   in Loop: Header=BB2_5632 Depth=3
	s_or_b32 exec_lo, exec_lo, s23
	v_max_f32_e32 v58, v59, v59
	v_max_f32_e32 v59, v62, v62
	v_min_f32_e32 v62, v59, v58
.LBB2_5840:                             ;   in Loop: Header=BB2_5632 Depth=3
	s_waitcnt vmcnt(2) lgkmcnt(2)
	v_and_b32_e32 v58, 0x7f800000, v62
	v_cmp_ne_u32_e32 vcc_lo, 0x7f800000, v58
	v_mov_b32_e32 v58, 0x80
	s_and_saveexec_b32 s23, vcc_lo
	s_cbranch_execz .LBB2_5848
; %bb.5841:                             ;   in Loop: Header=BB2_5632 Depth=3
	v_mov_b32_e32 v58, 0
	s_mov_b32 s73, exec_lo
	v_cmpx_ne_u32_e32 0, v62
	s_cbranch_execz .LBB2_5847
; %bb.5842:                             ;   in Loop: Header=BB2_5632 Depth=3
	v_bfe_u32 v58, v62, 23, 8
	v_and_b32_e32 v59, 0x7fffff, v62
	v_sub_nc_u32_e32 v72, 0x78, v58
	v_cmp_gt_u32_e32 vcc_lo, 0x79, v58
	v_or_b32_e32 v73, 0x800000, v59
	v_cndmask_b32_e32 v72, 0, v72, vcc_lo
	v_cmp_eq_u32_e32 vcc_lo, 0, v58
	v_add_nc_u32_e32 v58, 0xffffff89, v58
	v_cndmask_b32_e64 v72, v72, 0x77, vcc_lo
	v_cndmask_b32_e32 v59, v73, v59, vcc_lo
	v_cndmask_b32_e64 v58, v58, 0xffffff8a, vcc_lo
	v_lshl_add_u32 v73, 0x100000, v72, -1
	v_lshrrev_b32_e32 v74, v72, v59
	v_lshlrev_b32_e64 v76, v72, 0x80000
	v_add_nc_u32_e32 v72, v72, v58
	v_and_b32_e32 v59, v73, v59
	v_bfe_u32 v75, v74, 20, 1
	v_cmp_eq_u32_e64 s16, v59, v76
	v_add_nc_u32_e32 v73, -1, v75
	v_cndmask_b32_e64 v59, 0, v73, s16
	v_lshrrev_b32_e32 v73, 23, v74
	s_mov_b32 s16, exec_lo
	v_add_nc_u32_e32 v59, v59, v74
	v_xor_b32_e32 v73, 1, v73
	v_and_b32_e32 v58, 0xfffff, v59
	v_add_nc_u32_e32 v59, v58, v74
                                        ; implicit-def: $vgpr58
	v_cmpx_ne_u32_e64 v72, v73
	s_xor_b32 s16, exec_lo, s16
; %bb.5843:                             ;   in Loop: Header=BB2_5632 Depth=3
	v_cmp_lt_u32_e32 vcc_lo, 0xffffff, v59
	v_sub_nc_u32_e32 v58, v72, v73
	v_cndmask_b32_e64 v72, 0, 1, vcc_lo
	v_add_co_ci_u32_e64 v58, null, 0, v58, vcc_lo
	v_lshrrev_b32_e32 v59, v72, v59
; %bb.5844:                             ;   in Loop: Header=BB2_5632 Depth=3
	s_andn2_saveexec_b32 s16, s16
; %bb.5845:                             ;   in Loop: Header=BB2_5632 Depth=3
	v_bfe_u32 v58, v59, 23, 1
; %bb.5846:                             ;   in Loop: Header=BB2_5632 Depth=3
	s_or_b32 exec_lo, exec_lo, s16
	v_lshrrev_b32_e32 v59, 20, v59
	v_cmp_gt_i32_e32 vcc_lo, 16, v58
	v_min_i32_e32 v72, 15, v58
	v_and_b32_sdwa v62, v62, v103 dst_sel:DWORD dst_unused:UNUSED_PAD src0_sel:BYTE_3 src1_sel:DWORD
	v_cndmask_b32_e32 v59, 7, v59, vcc_lo
	v_lshlrev_b32_e32 v72, 3, v72
	v_and_b32_e32 v73, 7, v59
	v_or_b32_e32 v58, v58, v59
	v_or3_b32 v59, v72, v62, v73
	v_cmp_ne_u32_e32 vcc_lo, 0, v58
	v_cndmask_b32_e32 v58, 0, v59, vcc_lo
.LBB2_5847:                             ;   in Loop: Header=BB2_5632 Depth=3
	s_or_b32 exec_lo, exec_lo, s73
.LBB2_5848:                             ;   in Loop: Header=BB2_5632 Depth=3
	s_or_b32 exec_lo, exec_lo, s23
	v_cmp_gt_i16_sdwa s23, v80, v102 src0_sel:BYTE_0 src1_sel:DWORD
	s_andn2_b32 vcc_lo, exec_lo, s19
	s_mov_b32 s16, -1
                                        ; implicit-def: $vgpr59
	s_cbranch_vccnz .LBB2_5862
; %bb.5849:                             ;   in Loop: Header=BB2_5632 Depth=3
	s_mov_b32 s16, 0
	s_and_saveexec_b32 s73, s23
	s_xor_b32 s23, exec_lo, s73
	s_cbranch_execz .LBB2_5966
; %bb.5850:                             ;   in Loop: Header=BB2_5632 Depth=3
	v_cmp_eq_u16_sdwa s74, v80, v103 src0_sel:BYTE_0 src1_sel:DWORD
	s_mov_b32 s16, -1
	s_and_saveexec_b32 s73, s74
; %bb.5851:                             ;   in Loop: Header=BB2_5632 Depth=3
	s_xor_b32 s16, exec_lo, -1
; %bb.5852:                             ;   in Loop: Header=BB2_5632 Depth=3
	s_or_b32 exec_lo, exec_lo, s73
	s_and_b32 s16, s16, exec_lo
	s_or_saveexec_b32 s23, s23
	v_mov_b32_e32 v59, 0x7f800001
	s_xor_b32 exec_lo, exec_lo, s23
	s_cbranch_execnz .LBB2_5967
.LBB2_5853:                             ;   in Loop: Header=BB2_5632 Depth=3
	s_or_b32 exec_lo, exec_lo, s23
	s_and_saveexec_b32 s23, s16
	s_cbranch_execz .LBB2_5855
.LBB2_5854:                             ;   in Loop: Header=BB2_5632 Depth=3
	v_and_b32_e32 v59, 7, v80
	v_lshrrev_b16 v72, 3, v80
	v_lshlrev_b32_e32 v74, 24, v80
	v_ffbh_u32_e32 v62, v59
	v_and_b32_e32 v72, 15, v72
	v_min_u32_e32 v62, 32, v62
	v_cmp_eq_u32_e32 vcc_lo, 0, v72
	v_subrev_nc_u32_e32 v73, 28, v62
	v_sub_nc_u32_e32 v62, 29, v62
	v_lshlrev_b32_e32 v73, v73, v80
	v_cndmask_b32_e32 v62, v72, v62, vcc_lo
	v_and_b32_e32 v72, 0x80000000, v74
	v_and_b32_e32 v73, 7, v73
	v_lshl_add_u32 v62, v62, 23, 0x3b800000
	v_cndmask_b32_e32 v59, v59, v73, vcc_lo
	v_lshlrev_b32_e32 v59, 20, v59
	v_or3_b32 v59, v72, v62, v59
.LBB2_5855:                             ;   in Loop: Header=BB2_5632 Depth=3
	s_or_b32 exec_lo, exec_lo, s23
	s_waitcnt vmcnt(1) lgkmcnt(1)
	v_cmp_gt_i16_sdwa s23, v67, v102 src0_sel:BYTE_0 src1_sel:DWORD
	s_mov_b32 s16, 0
	s_and_saveexec_b32 s73, s23
	s_xor_b32 s23, exec_lo, s73
	s_cbranch_execz .LBB2_5968
; %bb.5856:                             ;   in Loop: Header=BB2_5632 Depth=3
	v_cmp_eq_u16_sdwa s74, v67, v103 src0_sel:BYTE_0 src1_sel:DWORD
	s_mov_b32 s16, -1
	s_and_saveexec_b32 s73, s74
; %bb.5857:                             ;   in Loop: Header=BB2_5632 Depth=3
	s_xor_b32 s16, exec_lo, -1
; %bb.5858:                             ;   in Loop: Header=BB2_5632 Depth=3
	s_or_b32 exec_lo, exec_lo, s73
	s_and_b32 s16, s16, exec_lo
	s_or_saveexec_b32 s23, s23
	v_mov_b32_e32 v62, 0x7f800001
	s_xor_b32 exec_lo, exec_lo, s23
	s_cbranch_execnz .LBB2_5969
.LBB2_5859:                             ;   in Loop: Header=BB2_5632 Depth=3
	s_or_b32 exec_lo, exec_lo, s23
	s_and_saveexec_b32 s23, s16
	s_cbranch_execz .LBB2_5861
.LBB2_5860:                             ;   in Loop: Header=BB2_5632 Depth=3
	v_and_b32_e32 v62, 7, v67
	v_lshrrev_b16 v73, 3, v67
	v_lshlrev_b32_e32 v75, 24, v67
	v_ffbh_u32_e32 v72, v62
	v_and_b32_e32 v73, 15, v73
	v_min_u32_e32 v72, 32, v72
	v_cmp_eq_u32_e32 vcc_lo, 0, v73
	v_subrev_nc_u32_e32 v74, 28, v72
	v_sub_nc_u32_e32 v72, 29, v72
	v_lshlrev_b32_e32 v74, v74, v67
	v_cndmask_b32_e32 v72, v73, v72, vcc_lo
	v_and_b32_e32 v73, 0x80000000, v75
	v_and_b32_e32 v74, 7, v74
	v_lshl_add_u32 v72, v72, 23, 0x3b800000
	v_cndmask_b32_e32 v62, v62, v74, vcc_lo
	v_lshlrev_b32_e32 v62, 20, v62
	v_or3_b32 v62, v73, v72, v62
.LBB2_5861:                             ;   in Loop: Header=BB2_5632 Depth=3
	s_or_b32 exec_lo, exec_lo, s23
	v_max_f32_e32 v62, v62, v62
	v_max_f32_e32 v59, v59, v59
	s_mov_b32 s16, 0
	v_max_f32_e32 v59, v59, v62
.LBB2_5862:                             ;   in Loop: Header=BB2_5632 Depth=3
	s_and_b32 vcc_lo, exec_lo, s16
	s_cbranch_vccz .LBB2_5876
; %bb.5863:                             ;   in Loop: Header=BB2_5632 Depth=3
	v_cmp_gt_i16_sdwa s23, v80, v102 src0_sel:BYTE_0 src1_sel:DWORD
	s_mov_b32 s16, 0
	s_and_saveexec_b32 s73, s23
	s_xor_b32 s23, exec_lo, s73
	s_cbranch_execz .LBB2_5970
; %bb.5864:                             ;   in Loop: Header=BB2_5632 Depth=3
	v_cmp_eq_u16_sdwa s74, v80, v103 src0_sel:BYTE_0 src1_sel:DWORD
	s_mov_b32 s16, -1
	s_and_saveexec_b32 s73, s74
; %bb.5865:                             ;   in Loop: Header=BB2_5632 Depth=3
	s_xor_b32 s16, exec_lo, -1
; %bb.5866:                             ;   in Loop: Header=BB2_5632 Depth=3
	s_or_b32 exec_lo, exec_lo, s73
	s_and_b32 s16, s16, exec_lo
	s_or_saveexec_b32 s23, s23
	v_mov_b32_e32 v59, 0x7f800001
	s_xor_b32 exec_lo, exec_lo, s23
	s_cbranch_execnz .LBB2_5971
.LBB2_5867:                             ;   in Loop: Header=BB2_5632 Depth=3
	s_or_b32 exec_lo, exec_lo, s23
	s_and_saveexec_b32 s23, s16
	s_cbranch_execz .LBB2_5869
.LBB2_5868:                             ;   in Loop: Header=BB2_5632 Depth=3
	v_and_b32_e32 v59, 7, v80
	v_lshrrev_b16 v72, 3, v80
	v_ffbh_u32_e32 v62, v59
	v_and_b32_e32 v72, 15, v72
	v_min_u32_e32 v62, 32, v62
	v_cmp_eq_u32_e32 vcc_lo, 0, v72
	v_subrev_nc_u32_e32 v73, 28, v62
	v_sub_nc_u32_e32 v62, 29, v62
	v_lshlrev_b32_e32 v73, v73, v80
	v_lshlrev_b32_e32 v80, 24, v80
	v_cndmask_b32_e32 v62, v72, v62, vcc_lo
	v_and_b32_e32 v73, 7, v73
	v_and_b32_e32 v80, 0x80000000, v80
	v_lshl_add_u32 v62, v62, 23, 0x3b800000
	v_cndmask_b32_e32 v59, v59, v73, vcc_lo
	v_lshlrev_b32_e32 v59, 20, v59
	v_or3_b32 v59, v80, v62, v59
.LBB2_5869:                             ;   in Loop: Header=BB2_5632 Depth=3
	s_or_b32 exec_lo, exec_lo, s23
	s_waitcnt vmcnt(1) lgkmcnt(1)
	v_cmp_gt_i16_sdwa s23, v67, v102 src0_sel:BYTE_0 src1_sel:DWORD
	s_mov_b32 s16, 0
	s_and_saveexec_b32 s73, s23
	s_xor_b32 s23, exec_lo, s73
	s_cbranch_execz .LBB2_5972
; %bb.5870:                             ;   in Loop: Header=BB2_5632 Depth=3
	v_cmp_eq_u16_sdwa s74, v67, v103 src0_sel:BYTE_0 src1_sel:DWORD
	s_mov_b32 s16, -1
	s_and_saveexec_b32 s73, s74
; %bb.5871:                             ;   in Loop: Header=BB2_5632 Depth=3
	s_xor_b32 s16, exec_lo, -1
; %bb.5872:                             ;   in Loop: Header=BB2_5632 Depth=3
	s_or_b32 exec_lo, exec_lo, s73
	s_and_b32 s16, s16, exec_lo
	s_or_saveexec_b32 s23, s23
	v_mov_b32_e32 v80, 0x7f800001
	s_xor_b32 exec_lo, exec_lo, s23
	s_cbranch_execnz .LBB2_5973
.LBB2_5873:                             ;   in Loop: Header=BB2_5632 Depth=3
	s_or_b32 exec_lo, exec_lo, s23
	s_and_saveexec_b32 s23, s16
	s_cbranch_execz .LBB2_5875
.LBB2_5874:                             ;   in Loop: Header=BB2_5632 Depth=3
	v_and_b32_e32 v80, 7, v67
	v_lshrrev_b16 v72, 3, v67
	v_ffbh_u32_e32 v62, v80
	v_and_b32_e32 v72, 15, v72
	v_min_u32_e32 v62, 32, v62
	v_cmp_eq_u32_e32 vcc_lo, 0, v72
	v_subrev_nc_u32_e32 v73, 28, v62
	v_sub_nc_u32_e32 v62, 29, v62
	v_lshlrev_b32_e32 v73, v73, v67
	v_lshlrev_b32_e32 v67, 24, v67
	v_cndmask_b32_e32 v62, v72, v62, vcc_lo
	v_and_b32_e32 v73, 7, v73
	v_and_b32_e32 v67, 0x80000000, v67
	v_lshl_add_u32 v62, v62, 23, 0x3b800000
	v_cndmask_b32_e32 v80, v80, v73, vcc_lo
	v_lshlrev_b32_e32 v80, 20, v80
	v_or3_b32 v80, v67, v62, v80
.LBB2_5875:                             ;   in Loop: Header=BB2_5632 Depth=3
	s_or_b32 exec_lo, exec_lo, s23
	v_max_f32_e32 v67, v80, v80
	v_max_f32_e32 v80, v59, v59
	v_min_f32_e32 v59, v80, v67
.LBB2_5876:                             ;   in Loop: Header=BB2_5632 Depth=3
	s_waitcnt vmcnt(1) lgkmcnt(1)
	v_and_b32_e32 v67, 0x7f800000, v59
	v_cmp_ne_u32_e32 vcc_lo, 0x7f800000, v67
	v_mov_b32_e32 v67, 0x80
	s_and_saveexec_b32 s23, vcc_lo
	s_cbranch_execz .LBB2_5884
; %bb.5877:                             ;   in Loop: Header=BB2_5632 Depth=3
	v_mov_b32_e32 v67, 0
	s_mov_b32 s73, exec_lo
	v_cmpx_ne_u32_e32 0, v59
	s_cbranch_execz .LBB2_5883
; %bb.5878:                             ;   in Loop: Header=BB2_5632 Depth=3
	v_bfe_u32 v67, v59, 23, 8
	v_and_b32_e32 v80, 0x7fffff, v59
	v_sub_nc_u32_e32 v62, 0x78, v67
	v_cmp_gt_u32_e32 vcc_lo, 0x79, v67
	v_or_b32_e32 v72, 0x800000, v80
	v_cndmask_b32_e32 v62, 0, v62, vcc_lo
	v_cmp_eq_u32_e32 vcc_lo, 0, v67
	v_add_nc_u32_e32 v67, 0xffffff89, v67
	v_cndmask_b32_e64 v62, v62, 0x77, vcc_lo
	v_cndmask_b32_e32 v80, v72, v80, vcc_lo
	v_cndmask_b32_e64 v67, v67, 0xffffff8a, vcc_lo
	v_lshl_add_u32 v72, 0x100000, v62, -1
	v_lshrrev_b32_e32 v73, v62, v80
	v_lshlrev_b32_e64 v75, v62, 0x80000
	v_add_nc_u32_e32 v62, v62, v67
	v_and_b32_e32 v80, v72, v80
	v_bfe_u32 v74, v73, 20, 1
	v_cmp_eq_u32_e64 s16, v80, v75
	v_add_nc_u32_e32 v72, -1, v74
	v_cndmask_b32_e64 v80, 0, v72, s16
	v_lshrrev_b32_e32 v72, 23, v73
	s_mov_b32 s16, exec_lo
	v_add_nc_u32_e32 v80, v80, v73
	v_xor_b32_e32 v72, 1, v72
	v_and_b32_e32 v67, 0xfffff, v80
	v_add_nc_u32_e32 v80, v67, v73
                                        ; implicit-def: $vgpr67
	v_cmpx_ne_u32_e64 v62, v72
	s_xor_b32 s16, exec_lo, s16
; %bb.5879:                             ;   in Loop: Header=BB2_5632 Depth=3
	v_cmp_lt_u32_e32 vcc_lo, 0xffffff, v80
	v_sub_nc_u32_e32 v67, v62, v72
	v_cndmask_b32_e64 v62, 0, 1, vcc_lo
	v_add_co_ci_u32_e64 v67, null, 0, v67, vcc_lo
	v_lshrrev_b32_e32 v80, v62, v80
; %bb.5880:                             ;   in Loop: Header=BB2_5632 Depth=3
	s_andn2_saveexec_b32 s16, s16
; %bb.5881:                             ;   in Loop: Header=BB2_5632 Depth=3
	v_bfe_u32 v67, v80, 23, 1
; %bb.5882:                             ;   in Loop: Header=BB2_5632 Depth=3
	s_or_b32 exec_lo, exec_lo, s16
	v_lshrrev_b32_e32 v80, 20, v80
	v_cmp_gt_i32_e32 vcc_lo, 16, v67
	v_min_i32_e32 v62, 15, v67
	v_and_b32_sdwa v59, v59, v103 dst_sel:DWORD dst_unused:UNUSED_PAD src0_sel:BYTE_3 src1_sel:DWORD
	v_cndmask_b32_e32 v80, 7, v80, vcc_lo
	v_lshlrev_b32_e32 v62, 3, v62
	v_and_b32_e32 v72, 7, v80
	v_or_b32_e32 v67, v67, v80
	v_or3_b32 v80, v62, v59, v72
	v_cmp_ne_u32_e32 vcc_lo, 0, v67
	v_cndmask_b32_e32 v67, 0, v80, vcc_lo
.LBB2_5883:                             ;   in Loop: Header=BB2_5632 Depth=3
	s_or_b32 exec_lo, exec_lo, s73
.LBB2_5884:                             ;   in Loop: Header=BB2_5632 Depth=3
	s_or_b32 exec_lo, exec_lo, s23
	v_cmp_gt_i16_sdwa s23, v65, v102 src0_sel:BYTE_0 src1_sel:DWORD
	s_andn2_b32 vcc_lo, exec_lo, s19
	s_mov_b32 s16, -1
                                        ; implicit-def: $vgpr80
	s_cbranch_vccnz .LBB2_5898
; %bb.5885:                             ;   in Loop: Header=BB2_5632 Depth=3
	s_mov_b32 s16, 0
	s_and_saveexec_b32 s73, s23
	s_xor_b32 s23, exec_lo, s73
	s_cbranch_execz .LBB2_5974
; %bb.5886:                             ;   in Loop: Header=BB2_5632 Depth=3
	v_cmp_eq_u16_sdwa s74, v65, v103 src0_sel:BYTE_0 src1_sel:DWORD
	s_mov_b32 s16, -1
	s_and_saveexec_b32 s73, s74
; %bb.5887:                             ;   in Loop: Header=BB2_5632 Depth=3
	s_xor_b32 s16, exec_lo, -1
; %bb.5888:                             ;   in Loop: Header=BB2_5632 Depth=3
	s_or_b32 exec_lo, exec_lo, s73
	s_and_b32 s16, s16, exec_lo
	s_or_saveexec_b32 s23, s23
	v_mov_b32_e32 v80, 0x7f800001
	s_xor_b32 exec_lo, exec_lo, s23
	s_cbranch_execnz .LBB2_5975
.LBB2_5889:                             ;   in Loop: Header=BB2_5632 Depth=3
	s_or_b32 exec_lo, exec_lo, s23
	s_and_saveexec_b32 s23, s16
	s_cbranch_execz .LBB2_5891
.LBB2_5890:                             ;   in Loop: Header=BB2_5632 Depth=3
	v_and_b32_e32 v80, 7, v65
	v_lshrrev_b16 v62, 3, v65
	v_lshlrev_b32_e32 v73, 24, v65
	v_ffbh_u32_e32 v59, v80
	v_and_b32_e32 v62, 15, v62
	v_min_u32_e32 v59, 32, v59
	v_cmp_eq_u32_e32 vcc_lo, 0, v62
	v_subrev_nc_u32_e32 v72, 28, v59
	v_sub_nc_u32_e32 v59, 29, v59
	v_lshlrev_b32_e32 v72, v72, v65
	v_cndmask_b32_e32 v59, v62, v59, vcc_lo
	v_and_b32_e32 v62, 0x80000000, v73
	v_and_b32_e32 v72, 7, v72
	v_lshl_add_u32 v59, v59, 23, 0x3b800000
	v_cndmask_b32_e32 v80, v80, v72, vcc_lo
	v_lshlrev_b32_e32 v80, 20, v80
	v_or3_b32 v80, v62, v59, v80
.LBB2_5891:                             ;   in Loop: Header=BB2_5632 Depth=3
	s_or_b32 exec_lo, exec_lo, s23
	s_waitcnt vmcnt(0) lgkmcnt(0)
	v_cmp_gt_i16_sdwa s23, v64, v102 src0_sel:BYTE_0 src1_sel:DWORD
	s_mov_b32 s16, 0
	s_and_saveexec_b32 s73, s23
	s_xor_b32 s23, exec_lo, s73
	s_cbranch_execz .LBB2_5976
; %bb.5892:                             ;   in Loop: Header=BB2_5632 Depth=3
	v_cmp_eq_u16_sdwa s74, v64, v103 src0_sel:BYTE_0 src1_sel:DWORD
	s_mov_b32 s16, -1
	s_and_saveexec_b32 s73, s74
; %bb.5893:                             ;   in Loop: Header=BB2_5632 Depth=3
	s_xor_b32 s16, exec_lo, -1
; %bb.5894:                             ;   in Loop: Header=BB2_5632 Depth=3
	s_or_b32 exec_lo, exec_lo, s73
	s_and_b32 s16, s16, exec_lo
	s_or_saveexec_b32 s23, s23
	v_mov_b32_e32 v59, 0x7f800001
	s_xor_b32 exec_lo, exec_lo, s23
	s_cbranch_execnz .LBB2_5977
.LBB2_5895:                             ;   in Loop: Header=BB2_5632 Depth=3
	s_or_b32 exec_lo, exec_lo, s23
	s_and_saveexec_b32 s23, s16
	s_cbranch_execz .LBB2_5897
.LBB2_5896:                             ;   in Loop: Header=BB2_5632 Depth=3
	v_and_b32_e32 v59, 7, v64
	v_lshrrev_b16 v72, 3, v64
	v_lshlrev_b32_e32 v74, 24, v64
	v_ffbh_u32_e32 v62, v59
	v_and_b32_e32 v72, 15, v72
	v_min_u32_e32 v62, 32, v62
	v_cmp_eq_u32_e32 vcc_lo, 0, v72
	v_subrev_nc_u32_e32 v73, 28, v62
	v_sub_nc_u32_e32 v62, 29, v62
	v_lshlrev_b32_e32 v73, v73, v64
	v_cndmask_b32_e32 v62, v72, v62, vcc_lo
	v_and_b32_e32 v72, 0x80000000, v74
	v_and_b32_e32 v73, 7, v73
	v_lshl_add_u32 v62, v62, 23, 0x3b800000
	v_cndmask_b32_e32 v59, v59, v73, vcc_lo
	v_lshlrev_b32_e32 v59, 20, v59
	v_or3_b32 v59, v72, v62, v59
.LBB2_5897:                             ;   in Loop: Header=BB2_5632 Depth=3
	s_or_b32 exec_lo, exec_lo, s23
	v_max_f32_e32 v59, v59, v59
	v_max_f32_e32 v80, v80, v80
	s_mov_b32 s16, 0
	v_max_f32_e32 v80, v80, v59
.LBB2_5898:                             ;   in Loop: Header=BB2_5632 Depth=3
	s_and_b32 vcc_lo, exec_lo, s16
	s_cbranch_vccz .LBB2_5912
; %bb.5899:                             ;   in Loop: Header=BB2_5632 Depth=3
	v_cmp_gt_i16_sdwa s23, v65, v102 src0_sel:BYTE_0 src1_sel:DWORD
	s_mov_b32 s16, 0
	s_and_saveexec_b32 s73, s23
	s_xor_b32 s23, exec_lo, s73
	s_cbranch_execz .LBB2_5978
; %bb.5900:                             ;   in Loop: Header=BB2_5632 Depth=3
	v_cmp_eq_u16_sdwa s74, v65, v103 src0_sel:BYTE_0 src1_sel:DWORD
	s_mov_b32 s16, -1
	s_and_saveexec_b32 s73, s74
; %bb.5901:                             ;   in Loop: Header=BB2_5632 Depth=3
	s_xor_b32 s16, exec_lo, -1
; %bb.5902:                             ;   in Loop: Header=BB2_5632 Depth=3
	s_or_b32 exec_lo, exec_lo, s73
	s_and_b32 s16, s16, exec_lo
	s_or_saveexec_b32 s23, s23
	v_mov_b32_e32 v80, 0x7f800001
	s_xor_b32 exec_lo, exec_lo, s23
	s_cbranch_execnz .LBB2_5979
.LBB2_5903:                             ;   in Loop: Header=BB2_5632 Depth=3
	s_or_b32 exec_lo, exec_lo, s23
	s_and_saveexec_b32 s23, s16
	s_cbranch_execz .LBB2_5905
.LBB2_5904:                             ;   in Loop: Header=BB2_5632 Depth=3
	v_and_b32_e32 v80, 7, v65
	v_lshrrev_b16 v62, 3, v65
	v_ffbh_u32_e32 v59, v80
	v_and_b32_e32 v62, 15, v62
	v_min_u32_e32 v59, 32, v59
	v_cmp_eq_u32_e32 vcc_lo, 0, v62
	v_subrev_nc_u32_e32 v72, 28, v59
	v_sub_nc_u32_e32 v59, 29, v59
	v_lshlrev_b32_e32 v72, v72, v65
	v_lshlrev_b32_e32 v65, 24, v65
	v_cndmask_b32_e32 v59, v62, v59, vcc_lo
	v_and_b32_e32 v72, 7, v72
	v_and_b32_e32 v65, 0x80000000, v65
	v_lshl_add_u32 v59, v59, 23, 0x3b800000
	v_cndmask_b32_e32 v80, v80, v72, vcc_lo
	v_lshlrev_b32_e32 v80, 20, v80
	v_or3_b32 v80, v65, v59, v80
.LBB2_5905:                             ;   in Loop: Header=BB2_5632 Depth=3
	s_or_b32 exec_lo, exec_lo, s23
	s_waitcnt vmcnt(0) lgkmcnt(0)
	v_cmp_gt_i16_sdwa s23, v64, v102 src0_sel:BYTE_0 src1_sel:DWORD
	s_mov_b32 s16, 0
	s_and_saveexec_b32 s73, s23
	s_xor_b32 s23, exec_lo, s73
	s_cbranch_execz .LBB2_5980
; %bb.5906:                             ;   in Loop: Header=BB2_5632 Depth=3
	v_cmp_eq_u16_sdwa s74, v64, v103 src0_sel:BYTE_0 src1_sel:DWORD
	s_mov_b32 s16, -1
	s_and_saveexec_b32 s73, s74
; %bb.5907:                             ;   in Loop: Header=BB2_5632 Depth=3
	s_xor_b32 s16, exec_lo, -1
; %bb.5908:                             ;   in Loop: Header=BB2_5632 Depth=3
	s_or_b32 exec_lo, exec_lo, s73
	s_and_b32 s16, s16, exec_lo
	s_or_saveexec_b32 s23, s23
	v_mov_b32_e32 v65, 0x7f800001
	s_xor_b32 exec_lo, exec_lo, s23
	s_cbranch_execnz .LBB2_5981
.LBB2_5909:                             ;   in Loop: Header=BB2_5632 Depth=3
	s_or_b32 exec_lo, exec_lo, s23
	s_and_saveexec_b32 s23, s16
	s_cbranch_execz .LBB2_5911
.LBB2_5910:                             ;   in Loop: Header=BB2_5632 Depth=3
	v_and_b32_e32 v65, 7, v64
	v_lshrrev_b16 v62, 3, v64
	v_ffbh_u32_e32 v59, v65
	v_and_b32_e32 v62, 15, v62
	v_min_u32_e32 v59, 32, v59
	v_cmp_eq_u32_e32 vcc_lo, 0, v62
	v_subrev_nc_u32_e32 v72, 28, v59
	v_sub_nc_u32_e32 v59, 29, v59
	v_lshlrev_b32_e32 v72, v72, v64
	v_lshlrev_b32_e32 v64, 24, v64
	v_cndmask_b32_e32 v59, v62, v59, vcc_lo
	v_and_b32_e32 v72, 7, v72
	v_and_b32_e32 v64, 0x80000000, v64
	v_lshl_add_u32 v59, v59, 23, 0x3b800000
	v_cndmask_b32_e32 v65, v65, v72, vcc_lo
	v_lshlrev_b32_e32 v65, 20, v65
	v_or3_b32 v65, v64, v59, v65
.LBB2_5911:                             ;   in Loop: Header=BB2_5632 Depth=3
	s_or_b32 exec_lo, exec_lo, s23
	v_max_f32_e32 v64, v65, v65
	v_max_f32_e32 v65, v80, v80
	v_min_f32_e32 v80, v65, v64
.LBB2_5912:                             ;   in Loop: Header=BB2_5632 Depth=3
	s_waitcnt vmcnt(0) lgkmcnt(0)
	v_and_b32_e32 v64, 0x7f800000, v80
	v_cmp_ne_u32_e32 vcc_lo, 0x7f800000, v64
	v_mov_b32_e32 v64, 0x80
	s_and_saveexec_b32 s23, vcc_lo
	s_cbranch_execz .LBB2_5631
; %bb.5913:                             ;   in Loop: Header=BB2_5632 Depth=3
	v_mov_b32_e32 v64, 0
	s_mov_b32 s73, exec_lo
	v_cmpx_ne_u32_e32 0, v80
	s_cbranch_execz .LBB2_5630
; %bb.5914:                             ;   in Loop: Header=BB2_5632 Depth=3
	v_bfe_u32 v64, v80, 23, 8
	v_and_b32_e32 v65, 0x7fffff, v80
	v_sub_nc_u32_e32 v59, 0x78, v64
	v_cmp_gt_u32_e32 vcc_lo, 0x79, v64
	v_or_b32_e32 v62, 0x800000, v65
	v_cndmask_b32_e32 v59, 0, v59, vcc_lo
	v_cmp_eq_u32_e32 vcc_lo, 0, v64
	v_add_nc_u32_e32 v64, 0xffffff89, v64
	v_cndmask_b32_e64 v59, v59, 0x77, vcc_lo
	v_cndmask_b32_e32 v65, v62, v65, vcc_lo
	v_cndmask_b32_e64 v64, v64, 0xffffff8a, vcc_lo
	v_lshl_add_u32 v62, 0x100000, v59, -1
	v_lshrrev_b32_e32 v72, v59, v65
	v_lshlrev_b32_e64 v74, v59, 0x80000
	v_add_nc_u32_e32 v59, v59, v64
	v_and_b32_e32 v65, v62, v65
	v_bfe_u32 v73, v72, 20, 1
	v_cmp_eq_u32_e64 s16, v65, v74
	v_add_nc_u32_e32 v62, -1, v73
	v_cndmask_b32_e64 v65, 0, v62, s16
	v_lshrrev_b32_e32 v62, 23, v72
	s_mov_b32 s16, exec_lo
	v_add_nc_u32_e32 v65, v65, v72
	v_xor_b32_e32 v62, 1, v62
	v_and_b32_e32 v64, 0xfffff, v65
	v_add_nc_u32_e32 v65, v64, v72
                                        ; implicit-def: $vgpr64
	v_cmpx_ne_u32_e64 v59, v62
	s_xor_b32 s16, exec_lo, s16
; %bb.5915:                             ;   in Loop: Header=BB2_5632 Depth=3
	v_cmp_lt_u32_e32 vcc_lo, 0xffffff, v65
	v_sub_nc_u32_e32 v64, v59, v62
	v_cndmask_b32_e64 v59, 0, 1, vcc_lo
	v_add_co_ci_u32_e64 v64, null, 0, v64, vcc_lo
	v_lshrrev_b32_e32 v65, v59, v65
; %bb.5916:                             ;   in Loop: Header=BB2_5632 Depth=3
	s_andn2_saveexec_b32 s16, s16
	s_cbranch_execz .LBB2_5629
; %bb.5917:                             ;   in Loop: Header=BB2_5632 Depth=3
	v_bfe_u32 v64, v65, 23, 1
	s_branch .LBB2_5629
.LBB2_5918:                             ;   in Loop: Header=BB2_5632 Depth=3
	s_or_saveexec_b32 s23, s23
	v_mov_b32_e32 v76, 0x7f800001
	s_xor_b32 exec_lo, exec_lo, s23
	s_cbranch_execz .LBB2_5637
.LBB2_5919:                             ;   in Loop: Header=BB2_5632 Depth=3
	v_cmp_ne_u16_sdwa s73, v75, v2 src0_sel:BYTE_0 src1_sel:DWORD
	v_mov_b32_e32 v76, 0
	s_andn2_b32 s16, s16, exec_lo
	s_and_b32 s73, s73, exec_lo
	s_or_b32 s16, s16, s73
	s_or_b32 exec_lo, exec_lo, s23
	s_and_saveexec_b32 s23, s16
	s_cbranch_execnz .LBB2_5638
	s_branch .LBB2_5639
.LBB2_5920:                             ;   in Loop: Header=BB2_5632 Depth=3
	s_or_saveexec_b32 s23, s23
	v_mov_b32_e32 v77, 0x7f800001
	s_xor_b32 exec_lo, exec_lo, s23
	s_cbranch_execz .LBB2_5643
.LBB2_5921:                             ;   in Loop: Header=BB2_5632 Depth=3
	v_cmp_ne_u16_sdwa s73, v66, v2 src0_sel:BYTE_0 src1_sel:DWORD
	v_mov_b32_e32 v77, 0
	s_andn2_b32 s16, s16, exec_lo
	s_and_b32 s73, s73, exec_lo
	s_or_b32 s16, s16, s73
	s_or_b32 exec_lo, exec_lo, s23
	s_and_saveexec_b32 s23, s16
	s_cbranch_execnz .LBB2_5644
	s_branch .LBB2_5645
.LBB2_5922:                             ;   in Loop: Header=BB2_5632 Depth=3
	s_or_saveexec_b32 s23, s23
	v_mov_b32_e32 v76, 0x7f800001
	s_xor_b32 exec_lo, exec_lo, s23
	s_cbranch_execz .LBB2_5651
.LBB2_5923:                             ;   in Loop: Header=BB2_5632 Depth=3
	v_cmp_ne_u16_sdwa s73, v75, v2 src0_sel:BYTE_0 src1_sel:DWORD
	v_mov_b32_e32 v76, 0
	s_andn2_b32 s16, s16, exec_lo
	s_and_b32 s73, s73, exec_lo
	s_or_b32 s16, s16, s73
	s_or_b32 exec_lo, exec_lo, s23
	s_and_saveexec_b32 s23, s16
	s_cbranch_execnz .LBB2_5652
	s_branch .LBB2_5653
.LBB2_5924:                             ;   in Loop: Header=BB2_5632 Depth=3
	s_or_saveexec_b32 s23, s23
	v_mov_b32_e32 v75, 0x7f800001
	s_xor_b32 exec_lo, exec_lo, s23
	s_cbranch_execz .LBB2_5657
.LBB2_5925:                             ;   in Loop: Header=BB2_5632 Depth=3
	v_cmp_ne_u16_sdwa s73, v66, v2 src0_sel:BYTE_0 src1_sel:DWORD
	v_mov_b32_e32 v75, 0
	s_andn2_b32 s16, s16, exec_lo
	s_and_b32 s73, s73, exec_lo
	s_or_b32 s16, s16, s73
	s_or_b32 exec_lo, exec_lo, s23
	s_and_saveexec_b32 s23, s16
	s_cbranch_execnz .LBB2_5658
	s_branch .LBB2_5659
.LBB2_5926:                             ;   in Loop: Header=BB2_5632 Depth=3
	s_or_saveexec_b32 s23, s23
	v_mov_b32_e32 v75, 0x7f800001
	s_xor_b32 exec_lo, exec_lo, s23
	s_cbranch_execz .LBB2_5673
.LBB2_5927:                             ;   in Loop: Header=BB2_5632 Depth=3
	v_cmp_ne_u16_sdwa s73, v74, v2 src0_sel:BYTE_0 src1_sel:DWORD
	v_mov_b32_e32 v75, 0
	s_andn2_b32 s16, s16, exec_lo
	s_and_b32 s73, s73, exec_lo
	s_or_b32 s16, s16, s73
	s_or_b32 exec_lo, exec_lo, s23
	s_and_saveexec_b32 s23, s16
	s_cbranch_execnz .LBB2_5674
	s_branch .LBB2_5675
.LBB2_5928:                             ;   in Loop: Header=BB2_5632 Depth=3
	s_or_saveexec_b32 s23, s23
	v_mov_b32_e32 v76, 0x7f800001
	s_xor_b32 exec_lo, exec_lo, s23
	s_cbranch_execz .LBB2_5679
.LBB2_5929:                             ;   in Loop: Header=BB2_5632 Depth=3
	v_cmp_ne_u16_sdwa s73, v81, v2 src0_sel:BYTE_0 src1_sel:DWORD
	v_mov_b32_e32 v76, 0
	s_andn2_b32 s16, s16, exec_lo
	s_and_b32 s73, s73, exec_lo
	s_or_b32 s16, s16, s73
	s_or_b32 exec_lo, exec_lo, s23
	s_and_saveexec_b32 s23, s16
	s_cbranch_execnz .LBB2_5680
	s_branch .LBB2_5681
.LBB2_5930:                             ;   in Loop: Header=BB2_5632 Depth=3
	s_or_saveexec_b32 s23, s23
	v_mov_b32_e32 v75, 0x7f800001
	s_xor_b32 exec_lo, exec_lo, s23
	s_cbranch_execz .LBB2_5687
.LBB2_5931:                             ;   in Loop: Header=BB2_5632 Depth=3
	v_cmp_ne_u16_sdwa s73, v74, v2 src0_sel:BYTE_0 src1_sel:DWORD
	v_mov_b32_e32 v75, 0
	s_andn2_b32 s16, s16, exec_lo
	s_and_b32 s73, s73, exec_lo
	s_or_b32 s16, s16, s73
	s_or_b32 exec_lo, exec_lo, s23
	s_and_saveexec_b32 s23, s16
	s_cbranch_execnz .LBB2_5688
	s_branch .LBB2_5689
.LBB2_5932:                             ;   in Loop: Header=BB2_5632 Depth=3
	s_or_saveexec_b32 s23, s23
	v_mov_b32_e32 v74, 0x7f800001
	s_xor_b32 exec_lo, exec_lo, s23
	s_cbranch_execz .LBB2_5693
.LBB2_5933:                             ;   in Loop: Header=BB2_5632 Depth=3
	v_cmp_ne_u16_sdwa s73, v81, v2 src0_sel:BYTE_0 src1_sel:DWORD
	v_mov_b32_e32 v74, 0
	s_andn2_b32 s16, s16, exec_lo
	s_and_b32 s73, s73, exec_lo
	s_or_b32 s16, s16, s73
	s_or_b32 exec_lo, exec_lo, s23
	s_and_saveexec_b32 s23, s16
	s_cbranch_execnz .LBB2_5694
	s_branch .LBB2_5695
.LBB2_5934:                             ;   in Loop: Header=BB2_5632 Depth=3
	s_or_saveexec_b32 s23, s23
	v_mov_b32_e32 v74, 0x7f800001
	s_xor_b32 exec_lo, exec_lo, s23
	s_cbranch_execz .LBB2_5709
.LBB2_5935:                             ;   in Loop: Header=BB2_5632 Depth=3
	v_cmp_ne_u16_sdwa s73, v73, v2 src0_sel:BYTE_0 src1_sel:DWORD
	v_mov_b32_e32 v74, 0
	s_andn2_b32 s16, s16, exec_lo
	s_and_b32 s73, s73, exec_lo
	s_or_b32 s16, s16, s73
	s_or_b32 exec_lo, exec_lo, s23
	s_and_saveexec_b32 s23, s16
	s_cbranch_execnz .LBB2_5710
	s_branch .LBB2_5711
.LBB2_5936:                             ;   in Loop: Header=BB2_5632 Depth=3
	s_or_saveexec_b32 s23, s23
	v_mov_b32_e32 v75, 0x7f800001
	s_xor_b32 exec_lo, exec_lo, s23
	s_cbranch_execz .LBB2_5715
.LBB2_5937:                             ;   in Loop: Header=BB2_5632 Depth=3
	v_cmp_ne_u16_sdwa s73, v60, v2 src0_sel:BYTE_0 src1_sel:DWORD
	v_mov_b32_e32 v75, 0
	s_andn2_b32 s16, s16, exec_lo
	s_and_b32 s73, s73, exec_lo
	s_or_b32 s16, s16, s73
	s_or_b32 exec_lo, exec_lo, s23
	s_and_saveexec_b32 s23, s16
	s_cbranch_execnz .LBB2_5716
	s_branch .LBB2_5717
.LBB2_5938:                             ;   in Loop: Header=BB2_5632 Depth=3
	s_or_saveexec_b32 s23, s23
	v_mov_b32_e32 v74, 0x7f800001
	s_xor_b32 exec_lo, exec_lo, s23
	s_cbranch_execz .LBB2_5723
.LBB2_5939:                             ;   in Loop: Header=BB2_5632 Depth=3
	v_cmp_ne_u16_sdwa s73, v73, v2 src0_sel:BYTE_0 src1_sel:DWORD
	v_mov_b32_e32 v74, 0
	s_andn2_b32 s16, s16, exec_lo
	s_and_b32 s73, s73, exec_lo
	s_or_b32 s16, s16, s73
	s_or_b32 exec_lo, exec_lo, s23
	s_and_saveexec_b32 s23, s16
	s_cbranch_execnz .LBB2_5724
	s_branch .LBB2_5725
.LBB2_5940:                             ;   in Loop: Header=BB2_5632 Depth=3
	s_or_saveexec_b32 s23, s23
	v_mov_b32_e32 v73, 0x7f800001
	s_xor_b32 exec_lo, exec_lo, s23
	s_cbranch_execz .LBB2_5729
.LBB2_5941:                             ;   in Loop: Header=BB2_5632 Depth=3
	v_cmp_ne_u16_sdwa s73, v60, v2 src0_sel:BYTE_0 src1_sel:DWORD
	v_mov_b32_e32 v73, 0
	s_andn2_b32 s16, s16, exec_lo
	s_and_b32 s73, s73, exec_lo
	s_or_b32 s16, s16, s73
	s_or_b32 exec_lo, exec_lo, s23
	s_and_saveexec_b32 s23, s16
	s_cbranch_execnz .LBB2_5730
	s_branch .LBB2_5731
.LBB2_5942:                             ;   in Loop: Header=BB2_5632 Depth=3
	s_or_saveexec_b32 s23, s23
	v_mov_b32_e32 v73, 0x7f800001
	s_xor_b32 exec_lo, exec_lo, s23
	s_cbranch_execz .LBB2_5745
.LBB2_5943:                             ;   in Loop: Header=BB2_5632 Depth=3
	v_cmp_ne_u16_sdwa s73, v72, v2 src0_sel:BYTE_0 src1_sel:DWORD
	v_mov_b32_e32 v73, 0
	s_andn2_b32 s16, s16, exec_lo
	s_and_b32 s73, s73, exec_lo
	s_or_b32 s16, s16, s73
	s_or_b32 exec_lo, exec_lo, s23
	s_and_saveexec_b32 s23, s16
	s_cbranch_execnz .LBB2_5746
	s_branch .LBB2_5747
.LBB2_5944:                             ;   in Loop: Header=BB2_5632 Depth=3
	s_or_saveexec_b32 s23, s23
	v_mov_b32_e32 v74, 0x7f800001
	s_xor_b32 exec_lo, exec_lo, s23
	s_cbranch_execz .LBB2_5751
.LBB2_5945:                             ;   in Loop: Header=BB2_5632 Depth=3
	v_cmp_ne_u16_sdwa s73, v63, v2 src0_sel:BYTE_0 src1_sel:DWORD
	v_mov_b32_e32 v74, 0
	s_andn2_b32 s16, s16, exec_lo
	s_and_b32 s73, s73, exec_lo
	s_or_b32 s16, s16, s73
	s_or_b32 exec_lo, exec_lo, s23
	s_and_saveexec_b32 s23, s16
	s_cbranch_execnz .LBB2_5752
	s_branch .LBB2_5753
.LBB2_5946:                             ;   in Loop: Header=BB2_5632 Depth=3
	s_or_saveexec_b32 s23, s23
	v_mov_b32_e32 v73, 0x7f800001
	s_xor_b32 exec_lo, exec_lo, s23
	s_cbranch_execz .LBB2_5759
.LBB2_5947:                             ;   in Loop: Header=BB2_5632 Depth=3
	v_cmp_ne_u16_sdwa s73, v72, v2 src0_sel:BYTE_0 src1_sel:DWORD
	v_mov_b32_e32 v73, 0
	s_andn2_b32 s16, s16, exec_lo
	s_and_b32 s73, s73, exec_lo
	s_or_b32 s16, s16, s73
	s_or_b32 exec_lo, exec_lo, s23
	s_and_saveexec_b32 s23, s16
	s_cbranch_execnz .LBB2_5760
	s_branch .LBB2_5761
.LBB2_5948:                             ;   in Loop: Header=BB2_5632 Depth=3
	s_or_saveexec_b32 s23, s23
	v_mov_b32_e32 v72, 0x7f800001
	s_xor_b32 exec_lo, exec_lo, s23
	s_cbranch_execz .LBB2_5765
.LBB2_5949:                             ;   in Loop: Header=BB2_5632 Depth=3
	v_cmp_ne_u16_sdwa s73, v63, v2 src0_sel:BYTE_0 src1_sel:DWORD
	v_mov_b32_e32 v72, 0
	s_andn2_b32 s16, s16, exec_lo
	s_and_b32 s73, s73, exec_lo
	s_or_b32 s16, s16, s73
	s_or_b32 exec_lo, exec_lo, s23
	s_and_saveexec_b32 s23, s16
	s_cbranch_execnz .LBB2_5766
	s_branch .LBB2_5767
.LBB2_5950:                             ;   in Loop: Header=BB2_5632 Depth=3
	s_or_saveexec_b32 s23, s23
	v_mov_b32_e32 v72, 0x7f800001
	s_xor_b32 exec_lo, exec_lo, s23
	s_cbranch_execz .LBB2_5781
.LBB2_5951:                             ;   in Loop: Header=BB2_5632 Depth=3
	v_cmp_ne_u16_sdwa s73, v62, v2 src0_sel:BYTE_0 src1_sel:DWORD
	v_mov_b32_e32 v72, 0
	s_andn2_b32 s16, s16, exec_lo
	s_and_b32 s73, s73, exec_lo
	s_or_b32 s16, s16, s73
	s_or_b32 exec_lo, exec_lo, s23
	s_and_saveexec_b32 s23, s16
	s_cbranch_execnz .LBB2_5782
	s_branch .LBB2_5783
.LBB2_5952:                             ;   in Loop: Header=BB2_5632 Depth=3
	s_or_saveexec_b32 s23, s23
	v_mov_b32_e32 v73, 0x7f800001
	s_xor_b32 exec_lo, exec_lo, s23
	s_cbranch_execz .LBB2_5787
.LBB2_5953:                             ;   in Loop: Header=BB2_5632 Depth=3
	v_cmp_ne_u16_sdwa s73, v61, v2 src0_sel:BYTE_0 src1_sel:DWORD
	v_mov_b32_e32 v73, 0
	s_andn2_b32 s16, s16, exec_lo
	s_and_b32 s73, s73, exec_lo
	s_or_b32 s16, s16, s73
	s_or_b32 exec_lo, exec_lo, s23
	s_and_saveexec_b32 s23, s16
	s_cbranch_execnz .LBB2_5788
	s_branch .LBB2_5789
.LBB2_5954:                             ;   in Loop: Header=BB2_5632 Depth=3
	s_or_saveexec_b32 s23, s23
	v_mov_b32_e32 v72, 0x7f800001
	s_xor_b32 exec_lo, exec_lo, s23
	s_cbranch_execz .LBB2_5795
.LBB2_5955:                             ;   in Loop: Header=BB2_5632 Depth=3
	v_cmp_ne_u16_sdwa s73, v62, v2 src0_sel:BYTE_0 src1_sel:DWORD
	v_mov_b32_e32 v72, 0
	s_andn2_b32 s16, s16, exec_lo
	s_and_b32 s73, s73, exec_lo
	s_or_b32 s16, s16, s73
	s_or_b32 exec_lo, exec_lo, s23
	s_and_saveexec_b32 s23, s16
	s_cbranch_execnz .LBB2_5796
	s_branch .LBB2_5797
.LBB2_5956:                             ;   in Loop: Header=BB2_5632 Depth=3
	s_or_saveexec_b32 s23, s23
	v_mov_b32_e32 v62, 0x7f800001
	s_xor_b32 exec_lo, exec_lo, s23
	s_cbranch_execz .LBB2_5801
.LBB2_5957:                             ;   in Loop: Header=BB2_5632 Depth=3
	v_cmp_ne_u16_sdwa s73, v61, v2 src0_sel:BYTE_0 src1_sel:DWORD
	v_mov_b32_e32 v62, 0
	s_andn2_b32 s16, s16, exec_lo
	s_and_b32 s73, s73, exec_lo
	s_or_b32 s16, s16, s73
	s_or_b32 exec_lo, exec_lo, s23
	s_and_saveexec_b32 s23, s16
	s_cbranch_execnz .LBB2_5802
	s_branch .LBB2_5803
.LBB2_5958:                             ;   in Loop: Header=BB2_5632 Depth=3
	s_or_saveexec_b32 s23, s23
	v_mov_b32_e32 v62, 0x7f800001
	s_xor_b32 exec_lo, exec_lo, s23
	s_cbranch_execz .LBB2_5817
.LBB2_5959:                             ;   in Loop: Header=BB2_5632 Depth=3
	v_cmp_ne_u16_sdwa s73, v59, v2 src0_sel:BYTE_0 src1_sel:DWORD
	v_mov_b32_e32 v62, 0
	s_andn2_b32 s16, s16, exec_lo
	s_and_b32 s73, s73, exec_lo
	s_or_b32 s16, s16, s73
	s_or_b32 exec_lo, exec_lo, s23
	s_and_saveexec_b32 s23, s16
	s_cbranch_execnz .LBB2_5818
	s_branch .LBB2_5819
.LBB2_5960:                             ;   in Loop: Header=BB2_5632 Depth=3
	s_or_saveexec_b32 s23, s23
	v_mov_b32_e32 v72, 0x7f800001
	s_xor_b32 exec_lo, exec_lo, s23
	s_cbranch_execz .LBB2_5823
.LBB2_5961:                             ;   in Loop: Header=BB2_5632 Depth=3
	v_cmp_ne_u16_sdwa s73, v58, v2 src0_sel:BYTE_0 src1_sel:DWORD
	v_mov_b32_e32 v72, 0
	s_andn2_b32 s16, s16, exec_lo
	s_and_b32 s73, s73, exec_lo
	s_or_b32 s16, s16, s73
	s_or_b32 exec_lo, exec_lo, s23
	s_and_saveexec_b32 s23, s16
	s_cbranch_execnz .LBB2_5824
	s_branch .LBB2_5825
.LBB2_5962:                             ;   in Loop: Header=BB2_5632 Depth=3
	s_or_saveexec_b32 s23, s23
	v_mov_b32_e32 v62, 0x7f800001
	s_xor_b32 exec_lo, exec_lo, s23
	s_cbranch_execz .LBB2_5831
.LBB2_5963:                             ;   in Loop: Header=BB2_5632 Depth=3
	v_cmp_ne_u16_sdwa s73, v59, v2 src0_sel:BYTE_0 src1_sel:DWORD
	v_mov_b32_e32 v62, 0
	s_andn2_b32 s16, s16, exec_lo
	s_and_b32 s73, s73, exec_lo
	s_or_b32 s16, s16, s73
	s_or_b32 exec_lo, exec_lo, s23
	s_and_saveexec_b32 s23, s16
	s_cbranch_execnz .LBB2_5832
	s_branch .LBB2_5833
.LBB2_5964:                             ;   in Loop: Header=BB2_5632 Depth=3
	s_or_saveexec_b32 s23, s23
	v_mov_b32_e32 v59, 0x7f800001
	s_xor_b32 exec_lo, exec_lo, s23
	s_cbranch_execz .LBB2_5837
.LBB2_5965:                             ;   in Loop: Header=BB2_5632 Depth=3
	v_cmp_ne_u16_sdwa s73, v58, v2 src0_sel:BYTE_0 src1_sel:DWORD
	v_mov_b32_e32 v59, 0
	s_andn2_b32 s16, s16, exec_lo
	s_and_b32 s73, s73, exec_lo
	s_or_b32 s16, s16, s73
	s_or_b32 exec_lo, exec_lo, s23
	s_and_saveexec_b32 s23, s16
	s_cbranch_execnz .LBB2_5838
	s_branch .LBB2_5839
.LBB2_5966:                             ;   in Loop: Header=BB2_5632 Depth=3
	s_or_saveexec_b32 s23, s23
	v_mov_b32_e32 v59, 0x7f800001
	s_xor_b32 exec_lo, exec_lo, s23
	s_cbranch_execz .LBB2_5853
.LBB2_5967:                             ;   in Loop: Header=BB2_5632 Depth=3
	v_cmp_ne_u16_sdwa s73, v80, v2 src0_sel:BYTE_0 src1_sel:DWORD
	v_mov_b32_e32 v59, 0
	s_andn2_b32 s16, s16, exec_lo
	s_and_b32 s73, s73, exec_lo
	s_or_b32 s16, s16, s73
	s_or_b32 exec_lo, exec_lo, s23
	s_and_saveexec_b32 s23, s16
	s_cbranch_execnz .LBB2_5854
	s_branch .LBB2_5855
.LBB2_5968:                             ;   in Loop: Header=BB2_5632 Depth=3
	s_or_saveexec_b32 s23, s23
	v_mov_b32_e32 v62, 0x7f800001
	s_xor_b32 exec_lo, exec_lo, s23
	s_cbranch_execz .LBB2_5859
.LBB2_5969:                             ;   in Loop: Header=BB2_5632 Depth=3
	v_cmp_ne_u16_sdwa s73, v67, v2 src0_sel:BYTE_0 src1_sel:DWORD
	v_mov_b32_e32 v62, 0
	s_andn2_b32 s16, s16, exec_lo
	s_and_b32 s73, s73, exec_lo
	s_or_b32 s16, s16, s73
	s_or_b32 exec_lo, exec_lo, s23
	s_and_saveexec_b32 s23, s16
	s_cbranch_execnz .LBB2_5860
	s_branch .LBB2_5861
.LBB2_5970:                             ;   in Loop: Header=BB2_5632 Depth=3
	s_or_saveexec_b32 s23, s23
	v_mov_b32_e32 v59, 0x7f800001
	s_xor_b32 exec_lo, exec_lo, s23
	s_cbranch_execz .LBB2_5867
.LBB2_5971:                             ;   in Loop: Header=BB2_5632 Depth=3
	v_cmp_ne_u16_sdwa s73, v80, v2 src0_sel:BYTE_0 src1_sel:DWORD
	v_mov_b32_e32 v59, 0
	s_andn2_b32 s16, s16, exec_lo
	s_and_b32 s73, s73, exec_lo
	s_or_b32 s16, s16, s73
	s_or_b32 exec_lo, exec_lo, s23
	s_and_saveexec_b32 s23, s16
	s_cbranch_execnz .LBB2_5868
	s_branch .LBB2_5869
.LBB2_5972:                             ;   in Loop: Header=BB2_5632 Depth=3
	s_or_saveexec_b32 s23, s23
	v_mov_b32_e32 v80, 0x7f800001
	s_xor_b32 exec_lo, exec_lo, s23
	s_cbranch_execz .LBB2_5873
.LBB2_5973:                             ;   in Loop: Header=BB2_5632 Depth=3
	v_cmp_ne_u16_sdwa s73, v67, v2 src0_sel:BYTE_0 src1_sel:DWORD
	v_mov_b32_e32 v80, 0
	s_andn2_b32 s16, s16, exec_lo
	s_and_b32 s73, s73, exec_lo
	s_or_b32 s16, s16, s73
	s_or_b32 exec_lo, exec_lo, s23
	s_and_saveexec_b32 s23, s16
	s_cbranch_execnz .LBB2_5874
	s_branch .LBB2_5875
.LBB2_5974:                             ;   in Loop: Header=BB2_5632 Depth=3
	s_or_saveexec_b32 s23, s23
	v_mov_b32_e32 v80, 0x7f800001
	s_xor_b32 exec_lo, exec_lo, s23
	s_cbranch_execz .LBB2_5889
.LBB2_5975:                             ;   in Loop: Header=BB2_5632 Depth=3
	v_cmp_ne_u16_sdwa s73, v65, v2 src0_sel:BYTE_0 src1_sel:DWORD
	v_mov_b32_e32 v80, 0
	s_andn2_b32 s16, s16, exec_lo
	s_and_b32 s73, s73, exec_lo
	s_or_b32 s16, s16, s73
	s_or_b32 exec_lo, exec_lo, s23
	s_and_saveexec_b32 s23, s16
	s_cbranch_execnz .LBB2_5890
	s_branch .LBB2_5891
.LBB2_5976:                             ;   in Loop: Header=BB2_5632 Depth=3
	s_or_saveexec_b32 s23, s23
	v_mov_b32_e32 v59, 0x7f800001
	s_xor_b32 exec_lo, exec_lo, s23
	s_cbranch_execz .LBB2_5895
.LBB2_5977:                             ;   in Loop: Header=BB2_5632 Depth=3
	v_cmp_ne_u16_sdwa s73, v64, v2 src0_sel:BYTE_0 src1_sel:DWORD
	v_mov_b32_e32 v59, 0
	s_andn2_b32 s16, s16, exec_lo
	s_and_b32 s73, s73, exec_lo
	s_or_b32 s16, s16, s73
	s_or_b32 exec_lo, exec_lo, s23
	s_and_saveexec_b32 s23, s16
	s_cbranch_execnz .LBB2_5896
	s_branch .LBB2_5897
.LBB2_5978:                             ;   in Loop: Header=BB2_5632 Depth=3
	s_or_saveexec_b32 s23, s23
	v_mov_b32_e32 v80, 0x7f800001
	s_xor_b32 exec_lo, exec_lo, s23
	s_cbranch_execz .LBB2_5903
.LBB2_5979:                             ;   in Loop: Header=BB2_5632 Depth=3
	v_cmp_ne_u16_sdwa s73, v65, v2 src0_sel:BYTE_0 src1_sel:DWORD
	v_mov_b32_e32 v80, 0
	s_andn2_b32 s16, s16, exec_lo
	s_and_b32 s73, s73, exec_lo
	s_or_b32 s16, s16, s73
	s_or_b32 exec_lo, exec_lo, s23
	s_and_saveexec_b32 s23, s16
	s_cbranch_execnz .LBB2_5904
	s_branch .LBB2_5905
.LBB2_5980:                             ;   in Loop: Header=BB2_5632 Depth=3
	s_or_saveexec_b32 s23, s23
	v_mov_b32_e32 v65, 0x7f800001
	s_xor_b32 exec_lo, exec_lo, s23
	s_cbranch_execz .LBB2_5909
.LBB2_5981:                             ;   in Loop: Header=BB2_5632 Depth=3
	v_cmp_ne_u16_sdwa s73, v64, v2 src0_sel:BYTE_0 src1_sel:DWORD
	v_mov_b32_e32 v65, 0
	s_andn2_b32 s16, s16, exec_lo
	s_and_b32 s73, s73, exec_lo
	s_or_b32 s16, s16, s73
	s_or_b32 exec_lo, exec_lo, s23
	s_and_saveexec_b32 s23, s16
	s_cbranch_execnz .LBB2_5910
	s_branch .LBB2_5911
.LBB2_5982:                             ;   in Loop: Header=BB2_2295 Depth=2
	s_or_b32 exec_lo, exec_lo, s22
.LBB2_5983:                             ;   in Loop: Header=BB2_2295 Depth=2
	s_or_b32 exec_lo, exec_lo, s18
	v_lshlrev_b32_e32 v8, 8, v71
	v_cmp_ne_u32_e32 vcc_lo, v15, v8
	s_and_b32 exec_lo, exec_lo, vcc_lo
	s_cbranch_execz .LBB2_6031
; %bb.5984:                             ;   in Loop: Header=BB2_2295 Depth=2
	v_lshlrev_b32_e32 v9, 5, v69
	v_lshlrev_b32_e32 v10, 5, v70
	v_sub_nc_u32_e32 v9, v68, v9
	v_sub_nc_u32_e32 v9, v9, v10
	v_add_nc_u32_e32 v8, v8, v9
	v_sub_nc_u32_e32 v15, v15, v8
	v_cmp_lt_i32_e32 vcc_lo, 0, v15
	s_and_b32 exec_lo, exec_lo, vcc_lo
	s_cbranch_execz .LBB2_6031
; %bb.5985:                             ;   in Loop: Header=BB2_2295 Depth=2
	s_trap 2
	ds_read_b128 v[9:12], v0
	ds_read_b64 v[64:65], v0
	v_add_nc_u32_e32 v13, v8, v14
	s_bitcmp1_b32 s72, 0
	s_mov_b32 s18, 0
	s_cselect_b32 s19, -1, 0
	v_ashrrev_i32_e32 v14, 31, v13
	s_waitcnt lgkmcnt(1)
	v_add_co_u32 v8, vcc_lo, v9, v13
	v_add_co_ci_u32_e64 v9, null, v10, v14, vcc_lo
	v_add_co_u32 v10, vcc_lo, v11, v13
	v_add_co_ci_u32_e64 v11, null, v12, v14, vcc_lo
	s_waitcnt lgkmcnt(0)
	v_add_co_u32 v12, vcc_lo, v64, v13
	v_add_co_ci_u32_e64 v13, null, v65, v14, vcc_lo
	s_branch .LBB2_5989
.LBB2_5986:                             ;   in Loop: Header=BB2_5989 Depth=3
	s_or_b32 exec_lo, exec_lo, s16
	v_lshrrev_b32_e32 v64, 20, v64
	v_cmp_gt_i32_e32 vcc_lo, 16, v14
	v_min_i32_e32 v65, 15, v14
	v_and_b32_sdwa v66, v66, v103 dst_sel:DWORD dst_unused:UNUSED_PAD src0_sel:BYTE_3 src1_sel:DWORD
	v_cndmask_b32_e32 v64, 7, v64, vcc_lo
	v_lshlrev_b32_e32 v65, 3, v65
	v_and_b32_e32 v67, 7, v64
	v_or_b32_e32 v14, v14, v64
	v_or3_b32 v64, v65, v66, v67
	v_cmp_ne_u32_e32 vcc_lo, 0, v14
	v_cndmask_b32_e32 v14, 0, v64, vcc_lo
.LBB2_5987:                             ;   in Loop: Header=BB2_5989 Depth=3
	s_or_b32 exec_lo, exec_lo, s23
.LBB2_5988:                             ;   in Loop: Header=BB2_5989 Depth=3
	s_or_b32 exec_lo, exec_lo, s22
	v_sub_nc_u32_e32 v15, v15, v98
	v_add_co_u32 v8, vcc_lo, v8, v98
	v_add_co_ci_u32_e64 v9, null, 0, v9, vcc_lo
	v_add_co_u32 v10, vcc_lo, v10, v98
	flat_store_byte v[12:13], v14 glc slc
	v_add_co_ci_u32_e64 v11, null, 0, v11, vcc_lo
	v_cmp_gt_i32_e32 vcc_lo, 1, v15
	v_add_co_u32 v12, s16, v12, v98
	v_add_co_ci_u32_e64 v13, null, 0, v13, s16
	s_or_b32 s18, vcc_lo, s18
	s_andn2_b32 exec_lo, exec_lo, s18
	s_cbranch_execz .LBB2_6031
.LBB2_5989:                             ;   Parent Loop BB2_47 Depth=1
                                        ;     Parent Loop BB2_2295 Depth=2
                                        ; =>    This Inner Loop Header: Depth=3
	flat_load_ubyte v64, v[10:11] slc
	s_waitcnt vmcnt(1) lgkmcnt(2)
	flat_load_ubyte v65, v[8:9] slc
	s_mov_b32 s16, -1
	s_waitcnt vmcnt(1) lgkmcnt(1)
	v_and_b32_e32 v14, 7, v64
	v_bfe_u32 v68, v64, 3, 4
	v_lshlrev_b32_e32 v69, 24, v64
	v_ffbh_u32_e32 v66, v14
	v_cmp_eq_u32_e32 vcc_lo, 0, v68
	v_min_u32_e32 v66, 32, v66
	v_subrev_nc_u32_e32 v67, 28, v66
	v_sub_nc_u32_e32 v66, 29, v66
	v_lshlrev_b32_e32 v67, v67, v64
	v_cndmask_b32_e32 v66, v68, v66, vcc_lo
	v_and_b32_e32 v67, 7, v67
	v_lshl_add_u32 v66, v66, 23, 0x3b800000
	v_cndmask_b32_e32 v14, v14, v67, vcc_lo
	v_and_b32_e32 v67, 0x80000000, v69
	s_and_b32 vcc_lo, exec_lo, s19
	v_lshlrev_b32_e32 v14, 20, v14
	v_or3_b32 v14, v67, v66, v14
                                        ; implicit-def: $vgpr66
	s_cbranch_vccz .LBB2_6003
; %bb.5990:                             ;   in Loop: Header=BB2_5989 Depth=3
	s_waitcnt vmcnt(0) lgkmcnt(0)
	v_cmp_gt_i16_sdwa s22, v65, v102 src0_sel:BYTE_0 src1_sel:DWORD
	s_mov_b32 s16, 0
	s_and_saveexec_b32 s23, s22
	s_xor_b32 s22, exec_lo, s23
	s_cbranch_execz .LBB2_6023
; %bb.5991:                             ;   in Loop: Header=BB2_5989 Depth=3
	v_cmp_eq_u16_sdwa s72, v65, v103 src0_sel:BYTE_0 src1_sel:DWORD
	s_mov_b32 s16, -1
	s_and_saveexec_b32 s23, s72
; %bb.5992:                             ;   in Loop: Header=BB2_5989 Depth=3
	s_xor_b32 s16, exec_lo, -1
; %bb.5993:                             ;   in Loop: Header=BB2_5989 Depth=3
	s_or_b32 exec_lo, exec_lo, s23
	s_and_b32 s16, s16, exec_lo
	s_or_saveexec_b32 s22, s22
	v_mov_b32_e32 v66, 0x7f800001
	s_xor_b32 exec_lo, exec_lo, s22
	s_cbranch_execnz .LBB2_6024
.LBB2_5994:                             ;   in Loop: Header=BB2_5989 Depth=3
	s_or_b32 exec_lo, exec_lo, s22
	s_and_saveexec_b32 s22, s16
	s_cbranch_execz .LBB2_5996
.LBB2_5995:                             ;   in Loop: Header=BB2_5989 Depth=3
	v_and_b32_e32 v66, 7, v65
	v_lshrrev_b16 v68, 3, v65
	v_lshlrev_b32_e32 v70, 24, v65
	v_ffbh_u32_e32 v67, v66
	v_and_b32_e32 v68, 15, v68
	v_min_u32_e32 v67, 32, v67
	v_cmp_eq_u32_e32 vcc_lo, 0, v68
	v_subrev_nc_u32_e32 v69, 28, v67
	v_sub_nc_u32_e32 v67, 29, v67
	v_lshlrev_b32_e32 v69, v69, v65
	v_cndmask_b32_e32 v67, v68, v67, vcc_lo
	v_and_b32_e32 v68, 0x80000000, v70
	v_and_b32_e32 v69, 7, v69
	v_lshl_add_u32 v67, v67, 23, 0x3b800000
	v_cndmask_b32_e32 v66, v66, v69, vcc_lo
	v_lshlrev_b32_e32 v66, 20, v66
	v_or3_b32 v66, v68, v67, v66
.LBB2_5996:                             ;   in Loop: Header=BB2_5989 Depth=3
	s_or_b32 exec_lo, exec_lo, s22
	v_cmp_gt_i16_sdwa s22, v64, v102 src0_sel:BYTE_0 src1_sel:DWORD
	s_mov_b32 s16, 0
	s_and_saveexec_b32 s23, s22
	s_xor_b32 s22, exec_lo, s23
	s_cbranch_execz .LBB2_6025
; %bb.5997:                             ;   in Loop: Header=BB2_5989 Depth=3
	v_cmp_eq_u16_sdwa s72, v64, v103 src0_sel:BYTE_0 src1_sel:DWORD
	s_mov_b32 s16, -1
	s_and_saveexec_b32 s23, s72
; %bb.5998:                             ;   in Loop: Header=BB2_5989 Depth=3
	s_xor_b32 s16, exec_lo, -1
; %bb.5999:                             ;   in Loop: Header=BB2_5989 Depth=3
	s_or_b32 exec_lo, exec_lo, s23
	s_and_b32 s16, s16, exec_lo
	s_or_saveexec_b32 s22, s22
	v_mov_b32_e32 v67, 0x7f800001
	s_xor_b32 exec_lo, exec_lo, s22
	s_cbranch_execnz .LBB2_6026
.LBB2_6000:                             ;   in Loop: Header=BB2_5989 Depth=3
	s_or_b32 exec_lo, exec_lo, s22
	s_and_saveexec_b32 s22, s16
.LBB2_6001:                             ;   in Loop: Header=BB2_5989 Depth=3
	v_mov_b32_e32 v67, v14
.LBB2_6002:                             ;   in Loop: Header=BB2_5989 Depth=3
	s_or_b32 exec_lo, exec_lo, s22
	v_max_f32_e32 v67, v67, v67
	v_max_f32_e32 v66, v66, v66
	s_mov_b32 s16, 0
	v_max_f32_e32 v66, v66, v67
.LBB2_6003:                             ;   in Loop: Header=BB2_5989 Depth=3
	s_and_b32 vcc_lo, exec_lo, s16
	s_cbranch_vccz .LBB2_6017
; %bb.6004:                             ;   in Loop: Header=BB2_5989 Depth=3
	s_waitcnt vmcnt(0) lgkmcnt(0)
	v_cmp_gt_i16_sdwa s22, v65, v102 src0_sel:BYTE_0 src1_sel:DWORD
	s_mov_b32 s16, 0
	s_and_saveexec_b32 s23, s22
	s_xor_b32 s22, exec_lo, s23
	s_cbranch_execz .LBB2_6027
; %bb.6005:                             ;   in Loop: Header=BB2_5989 Depth=3
	v_cmp_eq_u16_sdwa s72, v65, v103 src0_sel:BYTE_0 src1_sel:DWORD
	s_mov_b32 s16, -1
	s_and_saveexec_b32 s23, s72
; %bb.6006:                             ;   in Loop: Header=BB2_5989 Depth=3
	s_xor_b32 s16, exec_lo, -1
; %bb.6007:                             ;   in Loop: Header=BB2_5989 Depth=3
	s_or_b32 exec_lo, exec_lo, s23
	s_and_b32 s16, s16, exec_lo
	s_or_saveexec_b32 s22, s22
	v_mov_b32_e32 v66, 0x7f800001
	s_xor_b32 exec_lo, exec_lo, s22
	s_cbranch_execnz .LBB2_6028
.LBB2_6008:                             ;   in Loop: Header=BB2_5989 Depth=3
	s_or_b32 exec_lo, exec_lo, s22
	s_and_saveexec_b32 s22, s16
	s_cbranch_execz .LBB2_6010
.LBB2_6009:                             ;   in Loop: Header=BB2_5989 Depth=3
	v_and_b32_e32 v66, 7, v65
	v_lshrrev_b16 v68, 3, v65
	v_ffbh_u32_e32 v67, v66
	v_and_b32_e32 v68, 15, v68
	v_min_u32_e32 v67, 32, v67
	v_cmp_eq_u32_e32 vcc_lo, 0, v68
	v_subrev_nc_u32_e32 v69, 28, v67
	v_sub_nc_u32_e32 v67, 29, v67
	v_lshlrev_b32_e32 v69, v69, v65
	v_lshlrev_b32_e32 v65, 24, v65
	v_cndmask_b32_e32 v67, v68, v67, vcc_lo
	v_and_b32_e32 v69, 7, v69
	v_and_b32_e32 v65, 0x80000000, v65
	v_lshl_add_u32 v67, v67, 23, 0x3b800000
	v_cndmask_b32_e32 v66, v66, v69, vcc_lo
	v_lshlrev_b32_e32 v66, 20, v66
	v_or3_b32 v66, v65, v67, v66
.LBB2_6010:                             ;   in Loop: Header=BB2_5989 Depth=3
	s_or_b32 exec_lo, exec_lo, s22
	v_cmp_gt_i16_sdwa s22, v64, v102 src0_sel:BYTE_0 src1_sel:DWORD
	s_mov_b32 s16, 0
	s_and_saveexec_b32 s23, s22
	s_xor_b32 s22, exec_lo, s23
	s_cbranch_execz .LBB2_6029
; %bb.6011:                             ;   in Loop: Header=BB2_5989 Depth=3
	v_cmp_eq_u16_sdwa s72, v64, v103 src0_sel:BYTE_0 src1_sel:DWORD
	s_mov_b32 s16, -1
	s_and_saveexec_b32 s23, s72
; %bb.6012:                             ;   in Loop: Header=BB2_5989 Depth=3
	s_xor_b32 s16, exec_lo, -1
; %bb.6013:                             ;   in Loop: Header=BB2_5989 Depth=3
	s_or_b32 exec_lo, exec_lo, s23
	s_and_b32 s16, s16, exec_lo
                                        ; implicit-def: $vgpr64
	s_or_saveexec_b32 s22, s22
	v_mov_b32_e32 v65, 0x7f800001
	s_xor_b32 exec_lo, exec_lo, s22
	s_cbranch_execnz .LBB2_6030
.LBB2_6014:                             ;   in Loop: Header=BB2_5989 Depth=3
	s_or_b32 exec_lo, exec_lo, s22
	s_and_saveexec_b32 s22, s16
.LBB2_6015:                             ;   in Loop: Header=BB2_5989 Depth=3
	v_mov_b32_e32 v65, v14
.LBB2_6016:                             ;   in Loop: Header=BB2_5989 Depth=3
	s_or_b32 exec_lo, exec_lo, s22
	v_max_f32_e32 v14, v65, v65
	v_max_f32_e32 v64, v66, v66
	v_min_f32_e32 v66, v64, v14
.LBB2_6017:                             ;   in Loop: Header=BB2_5989 Depth=3
	v_and_b32_e32 v14, 0x7f800000, v66
	v_cmp_ne_u32_e32 vcc_lo, 0x7f800000, v14
	v_mov_b32_e32 v14, 0x80
	s_and_saveexec_b32 s22, vcc_lo
	s_cbranch_execz .LBB2_5988
; %bb.6018:                             ;   in Loop: Header=BB2_5989 Depth=3
	v_mov_b32_e32 v14, 0
	s_mov_b32 s23, exec_lo
	v_cmpx_ne_u32_e32 0, v66
	s_cbranch_execz .LBB2_5987
; %bb.6019:                             ;   in Loop: Header=BB2_5989 Depth=3
	v_bfe_u32 v14, v66, 23, 8
	v_and_b32_e32 v64, 0x7fffff, v66
	s_waitcnt vmcnt(0) lgkmcnt(0)
	v_sub_nc_u32_e32 v65, 0x78, v14
	v_cmp_gt_u32_e32 vcc_lo, 0x79, v14
	v_or_b32_e32 v67, 0x800000, v64
	v_cndmask_b32_e32 v65, 0, v65, vcc_lo
	v_cmp_eq_u32_e32 vcc_lo, 0, v14
	v_add_nc_u32_e32 v14, 0xffffff89, v14
	v_cndmask_b32_e64 v65, v65, 0x77, vcc_lo
	v_cndmask_b32_e32 v64, v67, v64, vcc_lo
	v_cndmask_b32_e64 v14, v14, 0xffffff8a, vcc_lo
	v_lshl_add_u32 v67, 0x100000, v65, -1
	v_lshrrev_b32_e32 v68, v65, v64
	v_lshlrev_b32_e64 v70, v65, 0x80000
	v_add_nc_u32_e32 v65, v65, v14
	v_and_b32_e32 v64, v67, v64
	v_bfe_u32 v69, v68, 20, 1
	v_cmp_eq_u32_e64 s16, v64, v70
	v_add_nc_u32_e32 v67, -1, v69
	v_cndmask_b32_e64 v64, 0, v67, s16
	v_lshrrev_b32_e32 v67, 23, v68
	s_mov_b32 s16, exec_lo
	v_add_nc_u32_e32 v64, v64, v68
	v_xor_b32_e32 v67, 1, v67
	v_and_b32_e32 v14, 0xfffff, v64
	v_add_nc_u32_e32 v64, v14, v68
                                        ; implicit-def: $vgpr14
	v_cmpx_ne_u32_e64 v65, v67
	s_xor_b32 s16, exec_lo, s16
; %bb.6020:                             ;   in Loop: Header=BB2_5989 Depth=3
	v_cmp_lt_u32_e32 vcc_lo, 0xffffff, v64
	v_sub_nc_u32_e32 v14, v65, v67
	v_cndmask_b32_e64 v65, 0, 1, vcc_lo
	v_add_co_ci_u32_e64 v14, null, 0, v14, vcc_lo
	v_lshrrev_b32_e32 v64, v65, v64
; %bb.6021:                             ;   in Loop: Header=BB2_5989 Depth=3
	s_andn2_saveexec_b32 s16, s16
	s_cbranch_execz .LBB2_5986
; %bb.6022:                             ;   in Loop: Header=BB2_5989 Depth=3
	v_bfe_u32 v14, v64, 23, 1
	s_branch .LBB2_5986
.LBB2_6023:                             ;   in Loop: Header=BB2_5989 Depth=3
	s_or_saveexec_b32 s22, s22
	v_mov_b32_e32 v66, 0x7f800001
	s_xor_b32 exec_lo, exec_lo, s22
	s_cbranch_execz .LBB2_5994
.LBB2_6024:                             ;   in Loop: Header=BB2_5989 Depth=3
	v_cmp_ne_u16_sdwa s23, v65, v2 src0_sel:BYTE_0 src1_sel:DWORD
	v_mov_b32_e32 v66, 0
	s_andn2_b32 s16, s16, exec_lo
	s_and_b32 s23, s23, exec_lo
	s_or_b32 s16, s16, s23
	s_or_b32 exec_lo, exec_lo, s22
	s_and_saveexec_b32 s22, s16
	s_cbranch_execnz .LBB2_5995
	s_branch .LBB2_5996
.LBB2_6025:                             ;   in Loop: Header=BB2_5989 Depth=3
	s_or_saveexec_b32 s22, s22
	v_mov_b32_e32 v67, 0x7f800001
	s_xor_b32 exec_lo, exec_lo, s22
	s_cbranch_execz .LBB2_6000
.LBB2_6026:                             ;   in Loop: Header=BB2_5989 Depth=3
	v_cmp_ne_u16_sdwa s23, v64, v2 src0_sel:BYTE_0 src1_sel:DWORD
	v_mov_b32_e32 v67, 0
	s_andn2_b32 s16, s16, exec_lo
	s_and_b32 s23, s23, exec_lo
	s_or_b32 s16, s16, s23
	s_or_b32 exec_lo, exec_lo, s22
	s_and_saveexec_b32 s22, s16
	s_cbranch_execnz .LBB2_6001
	s_branch .LBB2_6002
.LBB2_6027:                             ;   in Loop: Header=BB2_5989 Depth=3
	s_or_saveexec_b32 s22, s22
	v_mov_b32_e32 v66, 0x7f800001
	s_xor_b32 exec_lo, exec_lo, s22
	s_cbranch_execz .LBB2_6008
.LBB2_6028:                             ;   in Loop: Header=BB2_5989 Depth=3
	v_cmp_ne_u16_sdwa s23, v65, v2 src0_sel:BYTE_0 src1_sel:DWORD
	v_mov_b32_e32 v66, 0
	s_andn2_b32 s16, s16, exec_lo
	s_and_b32 s23, s23, exec_lo
	s_or_b32 s16, s16, s23
	s_or_b32 exec_lo, exec_lo, s22
	s_and_saveexec_b32 s22, s16
	s_cbranch_execnz .LBB2_6009
	s_branch .LBB2_6010
.LBB2_6029:                             ;   in Loop: Header=BB2_5989 Depth=3
	s_or_saveexec_b32 s22, s22
	v_mov_b32_e32 v65, 0x7f800001
	s_xor_b32 exec_lo, exec_lo, s22
	s_cbranch_execz .LBB2_6014
.LBB2_6030:                             ;   in Loop: Header=BB2_5989 Depth=3
	v_cmp_ne_u16_sdwa s23, v64, v2 src0_sel:BYTE_0 src1_sel:DWORD
	v_mov_b32_e32 v65, 0
	s_andn2_b32 s16, s16, exec_lo
	s_and_b32 s23, s23, exec_lo
	s_or_b32 s16, s16, s23
	s_or_b32 exec_lo, exec_lo, s22
	s_and_saveexec_b32 s22, s16
	s_cbranch_execnz .LBB2_6015
	s_branch .LBB2_6016
.LBB2_6031:                             ;   in Loop: Header=BB2_2295 Depth=2
	s_or_b32 exec_lo, exec_lo, s17
.LBB2_6032:                             ;   in Loop: Header=BB2_2295 Depth=2
	v_cmp_lt_i32_e64 s16, 0, v55
	s_and_saveexec_b32 s17, s6
	s_cbranch_execz .LBB2_6051
.LBB2_6033:                             ;   in Loop: Header=BB2_2295 Depth=2
	s_and_saveexec_b32 s18, s29
	s_xor_b32 s18, exec_lo, s18
	s_cbranch_execz .LBB2_6048
; %bb.6034:                             ;   in Loop: Header=BB2_2295 Depth=2
	s_and_saveexec_b32 s19, s11
	s_cbranch_execz .LBB2_6047
; %bb.6035:                             ;   in Loop: Header=BB2_2295 Depth=2
	s_mov_b32 s23, exec_lo
	s_mov_b32 s22, exec_lo
	v_mbcnt_lo_u32_b32 v8, s23, 0
	s_waitcnt vmcnt(0) lgkmcnt(0)
	s_waitcnt_vscnt null, 0x0
	buffer_gl1_inv
	buffer_gl0_inv
	v_cmpx_eq_u32_e32 0, v8
	s_cbranch_execz .LBB2_6037
; %bb.6036:                             ;   in Loop: Header=BB2_2295 Depth=2
	s_bcnt1_i32_b32 s23, s23
	v_mov_b32_e32 v9, v2
	v_mov_b32_e32 v8, s23
	ds_add_u64 v0, v[8:9]
	s_trap 2
.LBB2_6037:                             ;   in Loop: Header=BB2_2295 Depth=2
	s_or_b32 exec_lo, exec_lo, s22
	s_trap 2
	ds_read_b64 v[8:9], v0
	s_waitcnt lgkmcnt(0)
	buffer_gl0_inv
	v_add_co_u32 v28, vcc_lo, v28, v87
	v_add_co_ci_u32_e64 v29, null, 0, v29, vcc_lo
	s_mov_b32 s22, exec_lo
	v_cmpx_lt_u64_e64 v[8:9], v[28:29]
	s_cbranch_execz .LBB2_6046
; %bb.6038:                             ;   in Loop: Header=BB2_2295 Depth=2
	s_mov_b32 s23, 0
	s_mov_b32 s74, 0
                                        ; implicit-def: $sgpr72
                                        ; implicit-def: $sgpr73
	s_inst_prefetch 0x1
	s_branch .LBB2_6040
	.p2align	6
.LBB2_6039:                             ;   in Loop: Header=BB2_6040 Depth=3
	s_or_b32 exec_lo, exec_lo, s76
	s_and_b32 s75, exec_lo, s77
	s_or_b32 s23, s75, s23
	s_andn2_b32 s72, s72, exec_lo
	s_and_b32 s75, s73, exec_lo
	s_or_b32 s72, s72, s75
	s_andn2_b32 exec_lo, exec_lo, s23
	s_cbranch_execz .LBB2_6044
.LBB2_6040:                             ;   Parent Loop BB2_47 Depth=1
                                        ;     Parent Loop BB2_2295 Depth=2
                                        ; =>    This Inner Loop Header: Depth=3
	s_add_i32 s74, s74, 1
	s_cmpk_lg_i32 s74, 0x2710
	s_cselect_b32 s75, -1, 0
	s_and_b32 vcc_lo, exec_lo, s75
	s_cbranch_vccz .LBB2_6042
; %bb.6041:                             ;   in Loop: Header=BB2_6040 Depth=3
	s_mov_b32 s77, -1
	s_or_b32 s73, s73, exec_lo
	s_and_saveexec_b32 s76, s75
	s_cbranch_execz .LBB2_6039
	s_branch .LBB2_6043
	.p2align	6
.LBB2_6042:                             ;   in Loop: Header=BB2_6040 Depth=3
	s_trap 2
	ds_read_b64 v[8:9], v0
	s_andn2_b32 s75, s75, exec_lo
	s_mov_b32 s74, 0
	s_waitcnt lgkmcnt(0)
	flat_load_dword v8, v[8:9] glc dlc
	s_waitcnt vmcnt(0) lgkmcnt(0)
	buffer_gl1_inv
	buffer_gl0_inv
	v_cmp_eq_u32_e32 vcc_lo, 0, v8
	s_and_b32 s76, vcc_lo, exec_lo
	s_or_b32 s75, s75, s76
	s_mov_b32 s77, -1
	s_or_b32 s73, s73, exec_lo
	s_and_saveexec_b32 s76, s75
	s_cbranch_execz .LBB2_6039
.LBB2_6043:                             ;   in Loop: Header=BB2_6040 Depth=3
	s_sleep 1
	s_trap 2
	ds_read_b64 v[8:9], v0
	s_waitcnt lgkmcnt(0)
	buffer_gl0_inv
	s_andn2_b32 s73, s73, exec_lo
	v_cmp_ge_u64_e32 vcc_lo, v[8:9], v[28:29]
	s_orn2_b32 s77, vcc_lo, exec_lo
	s_branch .LBB2_6039
.LBB2_6044:                             ;   in Loop: Header=BB2_2295 Depth=2
	s_inst_prefetch 0x2
	s_or_b32 exec_lo, exec_lo, s23
	s_and_saveexec_b32 s23, s72
	s_xor_b32 s23, exec_lo, s23
	s_cbranch_execz .LBB2_6046
; %bb.6045:                             ;   in Loop: Header=BB2_2295 Depth=2
	ds_write_b32 v0, v100
	s_trap 2
.LBB2_6046:                             ;   in Loop: Header=BB2_2295 Depth=2
	s_or_b32 exec_lo, exec_lo, s22
	;;#ASMSTART
	s_wakeup
	;;#ASMEND
.LBB2_6047:                             ;   in Loop: Header=BB2_2295 Depth=2
	s_or_b32 exec_lo, exec_lo, s19
.LBB2_6048:                             ;   in Loop: Header=BB2_2295 Depth=2
	s_andn2_saveexec_b32 s18, s18
	s_cbranch_execz .LBB2_6050
; %bb.6049:                             ;   in Loop: Header=BB2_2295 Depth=2
	s_waitcnt vmcnt(0) lgkmcnt(0)
	s_waitcnt_vscnt null, 0x0
	buffer_gl1_inv
	buffer_gl0_inv
	s_barrier
.LBB2_6050:                             ;   in Loop: Header=BB2_2295 Depth=2
	s_or_b32 exec_lo, exec_lo, s18
.LBB2_6051:                             ;   in Loop: Header=BB2_2295 Depth=2
	s_or_b32 exec_lo, exec_lo, s17
	v_and_b32_e32 v8, 16, v84
	s_and_saveexec_b32 s17, s15
	s_xor_b32 s17, exec_lo, s17
	s_cbranch_execz .LBB2_6055
; %bb.6052:                             ;   in Loop: Header=BB2_2295 Depth=2
	v_and_b32_e32 v8, 16, v84
	v_cmp_ne_u32_e32 vcc_lo, 0, v8
	v_and_b32_e32 v8, 16, v84
	s_and_b32 s18, vcc_lo, s16
	s_and_saveexec_b32 s16, s18
	s_cbranch_execz .LBB2_6054
; %bb.6053:                             ;   in Loop: Header=BB2_2295 Depth=2
	v_mov_b32_e32 v8, 1
	s_waitcnt vmcnt(0) lgkmcnt(0)
	s_waitcnt_vscnt null, 0x0
	buffer_gl1_inv
	buffer_gl0_inv
.LBB2_6054:                             ;   in Loop: Header=BB2_2295 Depth=2
	s_or_b32 exec_lo, exec_lo, s16
.LBB2_6055:                             ;   in Loop: Header=BB2_2295 Depth=2
	s_andn2_saveexec_b32 s16, s17
	s_cbranch_execz .LBB2_6074
; %bb.6056:                             ;   in Loop: Header=BB2_2295 Depth=2
	s_and_saveexec_b32 s17, s29
	s_xor_b32 s17, exec_lo, s17
	s_cbranch_execz .LBB2_6071
; %bb.6057:                             ;   in Loop: Header=BB2_2295 Depth=2
	s_and_saveexec_b32 s18, s11
	s_cbranch_execz .LBB2_6070
; %bb.6058:                             ;   in Loop: Header=BB2_2295 Depth=2
	s_mov_b32 s22, exec_lo
	s_mov_b32 s19, exec_lo
	v_mbcnt_lo_u32_b32 v9, s22, 0
	;;#ASMSTART
	s_waitcnt lgkmcnt(0) vmcnt(0)
	;;#ASMEND
	v_cmpx_eq_u32_e32 0, v9
	s_cbranch_execz .LBB2_6060
; %bb.6059:                             ;   in Loop: Header=BB2_2295 Depth=2
	s_bcnt1_i32_b32 s22, s22
	v_mov_b32_e32 v10, v2
	v_mov_b32_e32 v9, s22
	s_waitcnt vmcnt(0) lgkmcnt(0)
	s_waitcnt_vscnt null, 0x0
	ds_add_u64 v0, v[9:10]
	s_trap 2
.LBB2_6060:                             ;   in Loop: Header=BB2_2295 Depth=2
	s_or_b32 exec_lo, exec_lo, s19
	s_trap 2
	ds_read_b64 v[9:10], v0
	s_waitcnt vmcnt(0) lgkmcnt(0)
	buffer_gl0_inv
	v_add_co_u32 v28, vcc_lo, v28, v87
	v_add_co_ci_u32_e64 v29, null, 0, v29, vcc_lo
	s_mov_b32 s19, exec_lo
	v_cmpx_lt_u64_e64 v[9:10], v[28:29]
	s_cbranch_execz .LBB2_6069
; %bb.6061:                             ;   in Loop: Header=BB2_2295 Depth=2
	s_mov_b32 s22, 0
	s_mov_b32 s73, 0
                                        ; implicit-def: $sgpr23
                                        ; implicit-def: $sgpr72
	s_inst_prefetch 0x1
	s_branch .LBB2_6063
	.p2align	6
.LBB2_6062:                             ;   in Loop: Header=BB2_6063 Depth=3
	s_or_b32 exec_lo, exec_lo, s75
	s_and_b32 s74, exec_lo, s76
	s_or_b32 s22, s74, s22
	s_andn2_b32 s23, s23, exec_lo
	s_and_b32 s74, s72, exec_lo
	s_or_b32 s23, s23, s74
	s_andn2_b32 exec_lo, exec_lo, s22
	s_cbranch_execz .LBB2_6067
.LBB2_6063:                             ;   Parent Loop BB2_47 Depth=1
                                        ;     Parent Loop BB2_2295 Depth=2
                                        ; =>    This Inner Loop Header: Depth=3
	s_add_i32 s73, s73, 1
	s_cmpk_lg_i32 s73, 0x2710
	s_cselect_b32 s74, -1, 0
	s_and_b32 vcc_lo, exec_lo, s74
	s_cbranch_vccz .LBB2_6065
; %bb.6064:                             ;   in Loop: Header=BB2_6063 Depth=3
	s_mov_b32 s76, -1
	s_or_b32 s72, s72, exec_lo
	s_and_saveexec_b32 s75, s74
	s_cbranch_execz .LBB2_6062
	s_branch .LBB2_6066
	.p2align	6
.LBB2_6065:                             ;   in Loop: Header=BB2_6063 Depth=3
	s_trap 2
	ds_read_b64 v[9:10], v0
	s_andn2_b32 s74, s74, exec_lo
	s_mov_b32 s73, 0
	s_waitcnt lgkmcnt(0)
	s_waitcnt_vscnt null, 0x0
	flat_load_dword v9, v[9:10] glc dlc
	s_waitcnt vmcnt(0) lgkmcnt(0)
	buffer_gl1_inv
	buffer_gl0_inv
	v_cmp_eq_u32_e32 vcc_lo, 0, v9
	s_and_b32 s75, vcc_lo, exec_lo
	s_or_b32 s74, s74, s75
	s_mov_b32 s76, -1
	s_or_b32 s72, s72, exec_lo
	s_and_saveexec_b32 s75, s74
	s_cbranch_execz .LBB2_6062
.LBB2_6066:                             ;   in Loop: Header=BB2_6063 Depth=3
	s_sleep 1
	s_trap 2
	ds_read_b64 v[9:10], v0
	s_waitcnt lgkmcnt(0)
	buffer_gl0_inv
	s_andn2_b32 s72, s72, exec_lo
	v_cmp_ge_u64_e32 vcc_lo, v[9:10], v[28:29]
	s_orn2_b32 s76, vcc_lo, exec_lo
	s_branch .LBB2_6062
.LBB2_6067:                             ;   in Loop: Header=BB2_2295 Depth=2
	s_inst_prefetch 0x2
	s_or_b32 exec_lo, exec_lo, s22
	s_and_saveexec_b32 s22, s23
	s_xor_b32 s22, exec_lo, s22
	s_cbranch_execz .LBB2_6069
; %bb.6068:                             ;   in Loop: Header=BB2_2295 Depth=2
	ds_write_b32 v0, v100
	s_trap 2
.LBB2_6069:                             ;   in Loop: Header=BB2_2295 Depth=2
	s_or_b32 exec_lo, exec_lo, s19
	;;#ASMSTART
	s_wakeup
	;;#ASMEND
.LBB2_6070:                             ;   in Loop: Header=BB2_2295 Depth=2
	s_or_b32 exec_lo, exec_lo, s18
.LBB2_6071:                             ;   in Loop: Header=BB2_2295 Depth=2
	s_andn2_saveexec_b32 s17, s17
	s_cbranch_execz .LBB2_6073
; %bb.6072:                             ;   in Loop: Header=BB2_2295 Depth=2
	;;#ASMSTART
	s_waitcnt lgkmcnt(0) vmcnt(0)
	;;#ASMEND
	s_barrier
.LBB2_6073:                             ;   in Loop: Header=BB2_2295 Depth=2
	s_or_b32 exec_lo, exec_lo, s17
.LBB2_6074:                             ;   in Loop: Header=BB2_2295 Depth=2
	s_or_b32 exec_lo, exec_lo, s16
	v_cmp_ne_u32_e32 vcc_lo, 0, v8
	s_xor_b32 s16, s7, -1
	s_and_b32 s17, vcc_lo, s16
	s_and_saveexec_b32 s16, s17
	s_cbranch_execz .LBB2_6076
; %bb.6075:                             ;   in Loop: Header=BB2_2295 Depth=2
	s_waitcnt vmcnt(0) lgkmcnt(0)
	s_waitcnt_vscnt null, 0x0
	flat_store_dword v[26:27], v100
.LBB2_6076:                             ;   in Loop: Header=BB2_2295 Depth=2
	s_or_b32 exec_lo, exec_lo, s16
	v_and_b32_e32 v8, 48, v84
	s_mov_b32 s16, exec_lo
	v_cmpx_ne_u32_e32 0, v8
	s_cbranch_execz .LBB2_2294
; %bb.6077:                             ;   in Loop: Header=BB2_2295 Depth=2
	v_add_co_u32 v50, vcc_lo, v50, 2
	v_add_co_ci_u32_e64 v51, null, 0, v51, vcc_lo
	s_waitcnt vmcnt(0) lgkmcnt(0)
	s_waitcnt_vscnt null, 0x0
	flat_store_dwordx2 v[22:23], v[50:51]
	s_branch .LBB2_2294
.LBB2_6078:                             ;   in Loop: Header=BB2_47 Depth=1
	s_or_b32 exec_lo, exec_lo, s61
.LBB2_6079:                             ;   in Loop: Header=BB2_47 Depth=1
	s_or_b32 exec_lo, exec_lo, s21
	s_mov_b32 s17, exec_lo
	v_cmpx_gt_i32_e32 2, v10
	s_cbranch_execz .LBB2_6155
; %bb.6080:                             ;   in Loop: Header=BB2_47 Depth=1
	v_cmp_eq_u32_e64 s19, 0, v10
	s_mov_b32 s18, 0
	s_branch .LBB2_6082
.LBB2_6081:                             ;   in Loop: Header=BB2_6082 Depth=2
	s_or_b32 exec_lo, exec_lo, s16
	v_add_nc_u32_e32 v82, v54, v82
	s_mov_b32 s19, 0
	s_andn2_b32 exec_lo, exec_lo, s18
	s_cbranch_execz .LBB2_6154
.LBB2_6082:                             ;   Parent Loop BB2_47 Depth=1
                                        ; =>  This Loop Header: Depth=2
                                        ;       Child Loop BB2_6088 Depth 3
                                        ;       Child Loop BB2_6116 Depth 3
	;; [unrolled: 1-line block ×3, first 2 shown]
	v_sub_nc_u32_e32 v8, v3, v82
	v_and_b32_e32 v9, 12, v84
	s_mov_b32 s21, exec_lo
	v_min_i32_e32 v54, v54, v8
	v_cmpx_ne_u32_e32 0, v9
	s_cbranch_execz .LBB2_6108
; %bb.6083:                             ;   in Loop: Header=BB2_6082 Depth=2
	v_and_b32_e32 v64, 8, v84
	s_mov_b32 s22, exec_lo
	s_waitcnt vmcnt(0) lgkmcnt(1)
	v_add_co_u32 v10, vcc_lo, v32, v64
	v_add_co_ci_u32_e64 v11, null, 0, v33, vcc_lo
	v_add_co_u32 v8, vcc_lo, v50, 2
	v_add_co_ci_u32_e64 v9, null, 0, v51, vcc_lo
	v_cmpx_lt_u64_e64 v[10:11], v[8:9]
	s_cbranch_execz .LBB2_6095
; %bb.6084:                             ;   in Loop: Header=BB2_6082 Depth=2
	v_and_b32_e32 v10, 64, v84
	s_mov_b32 s23, 0
	s_mov_b32 s72, 0
                                        ; implicit-def: $sgpr61
                                        ; implicit-def: $sgpr62
                                        ; implicit-def: $sgpr63
	v_cmp_eq_u32_e32 vcc_lo, 0, v10
	s_branch .LBB2_6088
.LBB2_6085:                             ;   in Loop: Header=BB2_6088 Depth=3
	s_waitcnt vmcnt(0) lgkmcnt(0)
	v_add_co_u32 v11, s16, v32, v64
	v_add_co_ci_u32_e64 v12, null, 0, v33, s16
	s_or_b32 s75, s75, exec_lo
	v_cmp_ge_u64_e64 s16, v[11:12], v[8:9]
	s_orn2_b32 s74, s16, exec_lo
.LBB2_6086:                             ;   in Loop: Header=BB2_6088 Depth=3
	s_or_b32 exec_lo, exec_lo, s77
	s_andn2_b32 s16, s63, exec_lo
	s_and_b32 s63, s75, exec_lo
	s_andn2_b32 s62, s62, exec_lo
	s_and_b32 s74, s74, exec_lo
	s_or_b32 s63, s16, s63
	s_or_b32 s62, s62, s74
.LBB2_6087:                             ;   in Loop: Header=BB2_6088 Depth=3
	s_or_b32 exec_lo, exec_lo, s73
	s_and_b32 s16, exec_lo, s62
	s_or_b32 s23, s16, s23
	s_andn2_b32 s16, s61, exec_lo
	s_and_b32 s61, s63, exec_lo
	s_or_b32 s61, s16, s61
	s_andn2_b32 exec_lo, exec_lo, s23
	s_cbranch_execz .LBB2_6092
.LBB2_6088:                             ;   Parent Loop BB2_47 Depth=1
                                        ;     Parent Loop BB2_6082 Depth=2
                                        ; =>    This Inner Loop Header: Depth=3
	s_sleep 1
	s_waitcnt vmcnt(0) lgkmcnt(0)
	flat_load_dwordx2 v[32:33], v[22:23] glc dlc
	s_or_b32 s63, s63, exec_lo
	s_or_b32 s62, s62, exec_lo
                                        ; implicit-def: $vgpr10
	s_and_saveexec_b32 s73, vcc_lo
	s_cbranch_execz .LBB2_6087
; %bb.6089:                             ;   in Loop: Header=BB2_6088 Depth=3
	s_cmpk_lt_i32 s72, 0x270f
	s_mov_b32 s74, -1
	s_cselect_b32 s76, -1, 0
	s_cmpk_gt_i32 s72, 0x270e
	s_cbranch_scc0 .LBB2_6091
; %bb.6090:                             ;   in Loop: Header=BB2_6088 Depth=3
	s_trap 2
	ds_read_b64 v[10:11], v0
	s_andn2_b32 s72, s76, exec_lo
	s_mov_b32 s75, 0
	s_waitcnt vmcnt(0) lgkmcnt(0)
	s_waitcnt_vscnt null, 0x0
	flat_load_dword v10, v[10:11] glc dlc
	s_waitcnt vmcnt(0) lgkmcnt(0)
	buffer_gl1_inv
	buffer_gl0_inv
	v_cmp_eq_u32_e64 s16, 0, v10
	s_and_b32 s16, s16, exec_lo
	s_or_b32 s76, s72, s16
	s_mov_b32 s72, 0
	s_and_saveexec_b32 s77, s76
	s_cbranch_execz .LBB2_6086
	s_branch .LBB2_6085
.LBB2_6091:                             ;   in Loop: Header=BB2_6088 Depth=3
	s_add_i32 s72, s72, 1
	s_mov_b32 s75, -1
                                        ; implicit-def: $vgpr10
	s_and_saveexec_b32 s77, s76
	s_cbranch_execz .LBB2_6086
	s_branch .LBB2_6085
.LBB2_6092:                             ;   in Loop: Header=BB2_6082 Depth=2
	s_or_b32 exec_lo, exec_lo, s23
	s_xor_b32 s16, s61, -1
	s_and_saveexec_b32 s23, s16
	s_xor_b32 s16, exec_lo, s23
	s_cbranch_execz .LBB2_6094
; %bb.6093:                             ;   in Loop: Header=BB2_6082 Depth=2
	v_or_b32_e32 v84, 64, v84
	s_waitcnt vmcnt(0) lgkmcnt(0)
	s_waitcnt_vscnt null, 0x0
	ds_write_b32 v0, v10
	s_trap 2
.LBB2_6094:                             ;   in Loop: Header=BB2_6082 Depth=2
	s_or_b32 exec_lo, exec_lo, s16
.LBB2_6095:                             ;   in Loop: Header=BB2_6082 Depth=2
	s_or_b32 exec_lo, exec_lo, s22
	v_and_b32_e32 v10, 0x108, v84
	;;#ASMSTART
	s_wakeup
	;;#ASMEND
	v_cmp_ne_u32_e32 vcc_lo, 0x108, v10
                                        ; implicit-def: $vgpr10_vgpr11
	s_and_saveexec_b32 s16, vcc_lo
	s_xor_b32 s16, exec_lo, s16
; %bb.6096:                             ;   in Loop: Header=BB2_6082 Depth=2
	v_and_b32_e32 v10, 7, v50
	v_mov_b32_e32 v11, v2
                                        ; implicit-def: $vgpr50_vgpr51
; %bb.6097:                             ;   in Loop: Header=BB2_6082 Depth=2
	s_andn2_saveexec_b32 s16, s16
	s_cbranch_execz .LBB2_6099
; %bb.6098:                             ;   in Loop: Header=BB2_6082 Depth=2
	v_and_b32_e32 v10, 7, v50
	v_ashrrev_i32_e32 v55, 31, v54
	v_mov_b32_e32 v11, v2
	v_mad_u64_u32 v[12:13], null, v10, 24, v[6:7]
	flat_store_dwordx2 v[12:13], v[54:55] offset:8
.LBB2_6099:                             ;   in Loop: Header=BB2_6082 Depth=2
	s_or_b32 exec_lo, exec_lo, s16
	v_and_b32_e32 v12, 0x100, v84
	s_mov_b32 s16, -1
	v_cmp_ne_u32_e32 vcc_lo, 0, v12
                                        ; implicit-def: $vgpr12_vgpr13
	s_and_saveexec_b32 s22, vcc_lo
	s_cbranch_execz .LBB2_6103
; %bb.6100:                             ;   in Loop: Header=BB2_6082 Depth=2
	v_mad_u64_u32 v[14:15], null, v10, 24, v[6:7]
	v_mov_b32_e32 v12, v15
	v_mad_u64_u32 v[12:13], null, v11, 24, v[12:13]
	v_mov_b32_e32 v15, v12
	flat_load_dword v12, v[14:15]
	s_waitcnt vmcnt(0) lgkmcnt(0)
	v_cmp_eq_u32_e64 s16, 1, v12
	v_cmp_ne_u32_e32 vcc_lo, 1, v12
                                        ; implicit-def: $vgpr12_vgpr13
	s_and_saveexec_b32 s23, s16
	s_cbranch_execz .LBB2_6102
; %bb.6101:                             ;   in Loop: Header=BB2_6082 Depth=2
	flat_load_dword v12, v[14:15] offset:4 glc dlc
	s_waitcnt vmcnt(0) lgkmcnt(0)
	v_ashrrev_i32_e32 v13, 31, v12
.LBB2_6102:                             ;   in Loop: Header=BB2_6082 Depth=2
	s_or_b32 exec_lo, exec_lo, s23
	s_orn2_b32 s16, vcc_lo, exec_lo
.LBB2_6103:                             ;   in Loop: Header=BB2_6082 Depth=2
	s_or_b32 exec_lo, exec_lo, s22
	s_and_saveexec_b32 s22, s16
; %bb.6104:                             ;   in Loop: Header=BB2_6082 Depth=2
	v_mul_lo_u32 v11, v11, v85
	v_mul_lo_u32 v14, v10, v86
	v_mad_u64_u32 v[12:13], null, v10, v85, 0
	v_add3_u32 v13, v13, v14, v11
; %bb.6105:                             ;   in Loop: Header=BB2_6082 Depth=2
	s_or_b32 exec_lo, exec_lo, s22
	v_cmp_eq_u32_e32 vcc_lo, 0, v64
	v_and_b32_e32 v15, 0x2000, v84
	s_mov_b32 s16, exec_lo
	v_cndmask_b32_e32 v14, 0xd0, v101, vcc_lo
	v_add_co_u32 v10, vcc_lo, v24, v12
	v_add_co_ci_u32_e64 v11, null, v25, v13, vcc_lo
	v_add_nc_u32_e32 v12, v0, v14
	ds_write_b64 v12, v[10:11] offset:584
	v_cmpx_ne_u32_e32 0, v15
	s_cbranch_execz .LBB2_6107
; %bb.6106:                             ;   in Loop: Header=BB2_6082 Depth=2
	ds_read_b64 v[10:11], v0 offset:872
	s_waitcnt lgkmcnt(0)
	v_add_co_u32 v10, vcc_lo, v10, 1
	v_add_co_ci_u32_e64 v11, null, 0, v11, vcc_lo
	ds_write_b64 v0, v[10:11] offset:872
.LBB2_6107:                             ;   in Loop: Header=BB2_6082 Depth=2
	s_or_b32 exec_lo, exec_lo, s16
	v_mov_b32_e32 v51, v9
	v_mov_b32_e32 v50, v8
.LBB2_6108:                             ;   in Loop: Header=BB2_6082 Depth=2
	s_or_b32 exec_lo, exec_lo, s21
	s_xor_b32 s16, s19, -1
	s_and_b32 s16, exec_lo, s16
	s_or_b32 s18, s16, s18
	s_and_saveexec_b32 s16, s6
	s_cbranch_execz .LBB2_6127
; %bb.6109:                             ;   in Loop: Header=BB2_6082 Depth=2
	s_and_saveexec_b32 s19, s29
	s_xor_b32 s19, exec_lo, s19
	s_cbranch_execz .LBB2_6124
; %bb.6110:                             ;   in Loop: Header=BB2_6082 Depth=2
	s_and_saveexec_b32 s21, s11
	s_cbranch_execz .LBB2_6123
; %bb.6111:                             ;   in Loop: Header=BB2_6082 Depth=2
	s_mov_b32 s23, exec_lo
	s_mov_b32 s22, exec_lo
	v_mbcnt_lo_u32_b32 v8, s23, 0
	s_waitcnt vmcnt(0) lgkmcnt(0)
	s_waitcnt_vscnt null, 0x0
	buffer_gl1_inv
	buffer_gl0_inv
	v_cmpx_eq_u32_e32 0, v8
	s_cbranch_execz .LBB2_6113
; %bb.6112:                             ;   in Loop: Header=BB2_6082 Depth=2
	s_bcnt1_i32_b32 s23, s23
	v_mov_b32_e32 v9, v2
	v_mov_b32_e32 v8, s23
	ds_add_u64 v0, v[8:9]
	s_trap 2
.LBB2_6113:                             ;   in Loop: Header=BB2_6082 Depth=2
	s_or_b32 exec_lo, exec_lo, s22
	s_trap 2
	ds_read_b64 v[8:9], v0
	s_waitcnt lgkmcnt(0)
	buffer_gl0_inv
	v_add_co_u32 v28, vcc_lo, v28, v87
	v_add_co_ci_u32_e64 v29, null, 0, v29, vcc_lo
	s_mov_b32 s22, exec_lo
	v_cmpx_lt_u64_e64 v[8:9], v[28:29]
	s_cbranch_execz .LBB2_6122
; %bb.6114:                             ;   in Loop: Header=BB2_6082 Depth=2
	s_mov_b32 s23, 0
	s_mov_b32 s63, 0
                                        ; implicit-def: $sgpr61
                                        ; implicit-def: $sgpr62
	s_inst_prefetch 0x1
	s_branch .LBB2_6116
	.p2align	6
.LBB2_6115:                             ;   in Loop: Header=BB2_6116 Depth=3
	s_or_b32 exec_lo, exec_lo, s73
	s_and_b32 s72, exec_lo, s74
	s_or_b32 s23, s72, s23
	s_andn2_b32 s61, s61, exec_lo
	s_and_b32 s72, s62, exec_lo
	s_or_b32 s61, s61, s72
	s_andn2_b32 exec_lo, exec_lo, s23
	s_cbranch_execz .LBB2_6120
.LBB2_6116:                             ;   Parent Loop BB2_47 Depth=1
                                        ;     Parent Loop BB2_6082 Depth=2
                                        ; =>    This Inner Loop Header: Depth=3
	s_add_i32 s63, s63, 1
	s_cmpk_lg_i32 s63, 0x2710
	s_cselect_b32 s72, -1, 0
	s_and_b32 vcc_lo, exec_lo, s72
	s_cbranch_vccz .LBB2_6118
; %bb.6117:                             ;   in Loop: Header=BB2_6116 Depth=3
	s_mov_b32 s74, -1
	s_or_b32 s62, s62, exec_lo
	s_and_saveexec_b32 s73, s72
	s_cbranch_execz .LBB2_6115
	s_branch .LBB2_6119
	.p2align	6
.LBB2_6118:                             ;   in Loop: Header=BB2_6116 Depth=3
	s_trap 2
	ds_read_b64 v[8:9], v0
	s_andn2_b32 s72, s72, exec_lo
	s_mov_b32 s63, 0
	s_waitcnt lgkmcnt(0)
	flat_load_dword v8, v[8:9] glc dlc
	s_waitcnt vmcnt(0) lgkmcnt(0)
	buffer_gl1_inv
	buffer_gl0_inv
	v_cmp_eq_u32_e32 vcc_lo, 0, v8
	s_and_b32 s73, vcc_lo, exec_lo
	s_or_b32 s72, s72, s73
	s_mov_b32 s74, -1
	s_or_b32 s62, s62, exec_lo
	s_and_saveexec_b32 s73, s72
	s_cbranch_execz .LBB2_6115
.LBB2_6119:                             ;   in Loop: Header=BB2_6116 Depth=3
	s_sleep 1
	s_trap 2
	ds_read_b64 v[8:9], v0
	s_waitcnt lgkmcnt(0)
	buffer_gl0_inv
	s_andn2_b32 s62, s62, exec_lo
	v_cmp_ge_u64_e32 vcc_lo, v[8:9], v[28:29]
	s_orn2_b32 s74, vcc_lo, exec_lo
	s_branch .LBB2_6115
.LBB2_6120:                             ;   in Loop: Header=BB2_6082 Depth=2
	s_inst_prefetch 0x2
	s_or_b32 exec_lo, exec_lo, s23
	s_and_saveexec_b32 s23, s61
	s_xor_b32 s23, exec_lo, s23
	s_cbranch_execz .LBB2_6122
; %bb.6121:                             ;   in Loop: Header=BB2_6082 Depth=2
	ds_write_b32 v0, v100
	s_trap 2
.LBB2_6122:                             ;   in Loop: Header=BB2_6082 Depth=2
	s_or_b32 exec_lo, exec_lo, s22
	;;#ASMSTART
	s_wakeup
	;;#ASMEND
.LBB2_6123:                             ;   in Loop: Header=BB2_6082 Depth=2
	s_or_b32 exec_lo, exec_lo, s21
.LBB2_6124:                             ;   in Loop: Header=BB2_6082 Depth=2
	s_andn2_saveexec_b32 s19, s19
	s_cbranch_execz .LBB2_6126
; %bb.6125:                             ;   in Loop: Header=BB2_6082 Depth=2
	s_waitcnt vmcnt(0) lgkmcnt(0)
	s_waitcnt_vscnt null, 0x0
	buffer_gl1_inv
	buffer_gl0_inv
	s_barrier
.LBB2_6126:                             ;   in Loop: Header=BB2_6082 Depth=2
	s_or_b32 exec_lo, exec_lo, s19
.LBB2_6127:                             ;   in Loop: Header=BB2_6082 Depth=2
	s_or_b32 exec_lo, exec_lo, s16
	v_and_b32_e32 v8, 16, v84
	s_and_saveexec_b32 s16, s15
	s_xor_b32 s19, exec_lo, s16
	s_cbranch_execz .LBB2_6131
; %bb.6128:                             ;   in Loop: Header=BB2_6082 Depth=2
	s_trap 2
	ds_read_b32 v8, v0
	v_cmp_lt_i32_e32 vcc_lo, 0, v54
	s_waitcnt lgkmcnt(0)
	v_readfirstlane_b32 s16, v8
	v_and_b32_e32 v8, 16, v84
	s_cmp_eq_u32 s16, 0
	v_cmp_ne_u32_e64 s16, 0, v8
	s_cselect_b32 s21, -1, 0
	v_and_b32_e32 v8, 16, v84
	s_and_b32 s21, vcc_lo, s21
	s_and_b32 s21, s16, s21
	s_and_saveexec_b32 s16, s21
	s_cbranch_execz .LBB2_6130
; %bb.6129:                             ;   in Loop: Header=BB2_6082 Depth=2
	v_mov_b32_e32 v8, 1
	s_waitcnt vmcnt(0)
	s_waitcnt_vscnt null, 0x0
	buffer_gl1_inv
	buffer_gl0_inv
.LBB2_6130:                             ;   in Loop: Header=BB2_6082 Depth=2
	s_or_b32 exec_lo, exec_lo, s16
.LBB2_6131:                             ;   in Loop: Header=BB2_6082 Depth=2
	s_andn2_saveexec_b32 s16, s19
	s_cbranch_execz .LBB2_6150
; %bb.6132:                             ;   in Loop: Header=BB2_6082 Depth=2
	s_and_saveexec_b32 s19, s29
	s_xor_b32 s19, exec_lo, s19
	s_cbranch_execz .LBB2_6147
; %bb.6133:                             ;   in Loop: Header=BB2_6082 Depth=2
	s_and_saveexec_b32 s21, s11
	s_cbranch_execz .LBB2_6146
; %bb.6134:                             ;   in Loop: Header=BB2_6082 Depth=2
	s_mov_b32 s23, exec_lo
	s_mov_b32 s22, exec_lo
	v_mbcnt_lo_u32_b32 v9, s23, 0
	;;#ASMSTART
	s_waitcnt lgkmcnt(0) vmcnt(0)
	;;#ASMEND
	v_cmpx_eq_u32_e32 0, v9
	s_cbranch_execz .LBB2_6136
; %bb.6135:                             ;   in Loop: Header=BB2_6082 Depth=2
	s_bcnt1_i32_b32 s23, s23
	v_mov_b32_e32 v10, v2
	v_mov_b32_e32 v9, s23
	s_waitcnt vmcnt(0) lgkmcnt(0)
	s_waitcnt_vscnt null, 0x0
	ds_add_u64 v0, v[9:10]
	s_trap 2
.LBB2_6136:                             ;   in Loop: Header=BB2_6082 Depth=2
	s_or_b32 exec_lo, exec_lo, s22
	s_trap 2
	ds_read_b64 v[9:10], v0
	s_waitcnt vmcnt(0) lgkmcnt(0)
	buffer_gl0_inv
	v_add_co_u32 v28, vcc_lo, v28, v87
	v_add_co_ci_u32_e64 v29, null, 0, v29, vcc_lo
	s_mov_b32 s22, exec_lo
	v_cmpx_lt_u64_e64 v[9:10], v[28:29]
	s_cbranch_execz .LBB2_6145
; %bb.6137:                             ;   in Loop: Header=BB2_6082 Depth=2
	s_mov_b32 s23, 0
	s_mov_b32 s63, 0
                                        ; implicit-def: $sgpr61
                                        ; implicit-def: $sgpr62
	s_inst_prefetch 0x1
	s_branch .LBB2_6139
	.p2align	6
.LBB2_6138:                             ;   in Loop: Header=BB2_6139 Depth=3
	s_or_b32 exec_lo, exec_lo, s73
	s_and_b32 s72, exec_lo, s74
	s_or_b32 s23, s72, s23
	s_andn2_b32 s61, s61, exec_lo
	s_and_b32 s72, s62, exec_lo
	s_or_b32 s61, s61, s72
	s_andn2_b32 exec_lo, exec_lo, s23
	s_cbranch_execz .LBB2_6143
.LBB2_6139:                             ;   Parent Loop BB2_47 Depth=1
                                        ;     Parent Loop BB2_6082 Depth=2
                                        ; =>    This Inner Loop Header: Depth=3
	s_add_i32 s63, s63, 1
	s_cmpk_lg_i32 s63, 0x2710
	s_cselect_b32 s72, -1, 0
	s_and_b32 vcc_lo, exec_lo, s72
	s_cbranch_vccz .LBB2_6141
; %bb.6140:                             ;   in Loop: Header=BB2_6139 Depth=3
	s_mov_b32 s74, -1
	s_or_b32 s62, s62, exec_lo
	s_and_saveexec_b32 s73, s72
	s_cbranch_execz .LBB2_6138
	s_branch .LBB2_6142
	.p2align	6
.LBB2_6141:                             ;   in Loop: Header=BB2_6139 Depth=3
	s_trap 2
	ds_read_b64 v[9:10], v0
	s_andn2_b32 s72, s72, exec_lo
	s_mov_b32 s63, 0
	s_waitcnt lgkmcnt(0)
	s_waitcnt_vscnt null, 0x0
	flat_load_dword v9, v[9:10] glc dlc
	s_waitcnt vmcnt(0) lgkmcnt(0)
	buffer_gl1_inv
	buffer_gl0_inv
	v_cmp_eq_u32_e32 vcc_lo, 0, v9
	s_and_b32 s73, vcc_lo, exec_lo
	s_or_b32 s72, s72, s73
	s_mov_b32 s74, -1
	s_or_b32 s62, s62, exec_lo
	s_and_saveexec_b32 s73, s72
	s_cbranch_execz .LBB2_6138
.LBB2_6142:                             ;   in Loop: Header=BB2_6139 Depth=3
	s_sleep 1
	s_trap 2
	ds_read_b64 v[9:10], v0
	s_waitcnt lgkmcnt(0)
	buffer_gl0_inv
	s_andn2_b32 s62, s62, exec_lo
	v_cmp_ge_u64_e32 vcc_lo, v[9:10], v[28:29]
	s_orn2_b32 s74, vcc_lo, exec_lo
	s_branch .LBB2_6138
.LBB2_6143:                             ;   in Loop: Header=BB2_6082 Depth=2
	s_inst_prefetch 0x2
	s_or_b32 exec_lo, exec_lo, s23
	s_and_saveexec_b32 s23, s61
	s_xor_b32 s23, exec_lo, s23
	s_cbranch_execz .LBB2_6145
; %bb.6144:                             ;   in Loop: Header=BB2_6082 Depth=2
	ds_write_b32 v0, v100
	s_trap 2
.LBB2_6145:                             ;   in Loop: Header=BB2_6082 Depth=2
	s_or_b32 exec_lo, exec_lo, s22
	;;#ASMSTART
	s_wakeup
	;;#ASMEND
.LBB2_6146:                             ;   in Loop: Header=BB2_6082 Depth=2
	s_or_b32 exec_lo, exec_lo, s21
.LBB2_6147:                             ;   in Loop: Header=BB2_6082 Depth=2
	s_andn2_saveexec_b32 s19, s19
	s_cbranch_execz .LBB2_6149
; %bb.6148:                             ;   in Loop: Header=BB2_6082 Depth=2
	;;#ASMSTART
	s_waitcnt lgkmcnt(0) vmcnt(0)
	;;#ASMEND
	s_barrier
.LBB2_6149:                             ;   in Loop: Header=BB2_6082 Depth=2
	s_or_b32 exec_lo, exec_lo, s19
.LBB2_6150:                             ;   in Loop: Header=BB2_6082 Depth=2
	s_or_b32 exec_lo, exec_lo, s16
	v_cmp_ne_u32_e32 vcc_lo, 0, v8
	s_xor_b32 s16, s7, -1
	s_and_b32 s19, vcc_lo, s16
	s_and_saveexec_b32 s16, s19
	s_cbranch_execz .LBB2_6152
; %bb.6151:                             ;   in Loop: Header=BB2_6082 Depth=2
	s_waitcnt vmcnt(0) lgkmcnt(0)
	s_waitcnt_vscnt null, 0x0
	flat_store_dword v[26:27], v100
.LBB2_6152:                             ;   in Loop: Header=BB2_6082 Depth=2
	s_or_b32 exec_lo, exec_lo, s16
	v_and_b32_e32 v8, 48, v84
	s_mov_b32 s16, exec_lo
	v_cmpx_ne_u32_e32 0, v8
	s_cbranch_execz .LBB2_6081
; %bb.6153:                             ;   in Loop: Header=BB2_6082 Depth=2
	v_add_co_u32 v50, vcc_lo, v50, 2
	v_add_co_ci_u32_e64 v51, null, 0, v51, vcc_lo
	s_waitcnt vmcnt(0) lgkmcnt(0)
	s_waitcnt_vscnt null, 0x0
	flat_store_dwordx2 v[22:23], v[50:51]
	s_branch .LBB2_6081
.LBB2_6154:                             ;   in Loop: Header=BB2_47 Depth=1
	s_or_b32 exec_lo, exec_lo, s18
.LBB2_6155:                             ;   in Loop: Header=BB2_47 Depth=1
	s_or_b32 exec_lo, exec_lo, s17
	s_andn2_b32 vcc_lo, exec_lo, s46
	s_cbranch_vccnz .LBB2_6414
; %bb.6156:                             ;   in Loop: Header=BB2_47 Depth=1
	s_mov_b32 s21, 1
.LBB2_6157:                             ;   Parent Loop BB2_47 Depth=1
                                        ; =>  This Loop Header: Depth=2
                                        ;       Child Loop BB2_6160 Depth 3
                                        ;         Child Loop BB2_6168 Depth 4
                                        ;         Child Loop BB2_6196 Depth 4
                                        ;         Child Loop BB2_6215 Depth 4
                                        ;         Child Loop BB2_6238 Depth 4
                                        ;           Child Loop BB2_6239 Depth 5
                                        ;         Child Loop BB2_6245 Depth 4
                                        ;           Child Loop BB2_6246 Depth 5
                                        ;         Child Loop BB2_6253 Depth 4
                                        ;         Child Loop BB2_6258 Depth 4
                                        ;           Child Loop BB2_6259 Depth 5
                                        ;         Child Loop BB2_6271 Depth 4
                                        ;         Child Loop BB2_6276 Depth 4
	;; [unrolled: 1-line block ×6, first 2 shown]
                                        ;       Child Loop BB2_6339 Depth 3
                                        ;         Child Loop BB2_6345 Depth 4
                                        ;         Child Loop BB2_6373 Depth 4
	;; [unrolled: 1-line block ×3, first 2 shown]
	s_sub_i32 s16, s42, s21
	v_mov_b32_e32 v15, 0
	s_cmp_ge_i32 s16, s25
	s_mov_b32 s62, 0
	s_cselect_b32 s17, s25, 0
	s_sub_i32 s16, s16, s17
	s_ashr_i32 s17, s16, 31
	v_mul_lo_u32 v3, v49, s16
	v_mad_u64_u32 v[8:9], null, v48, s16, 0
	v_mul_lo_u32 v10, v48, s17
	v_add3_u32 v9, v9, v10, v3
	v_sub_co_u32 v10, vcc_lo, v52, v8
	v_sub_co_ci_u32_e64 v11, null, v53, v9, vcc_lo
	v_cmp_lt_i64_e32 vcc_lo, v[48:49], v[10:11]
	v_cndmask_b32_e32 v11, v10, v48, vcc_lo
	v_max_i32_e32 v3, 0, v11
	v_cmp_lt_i32_e32 vcc_lo, 0, v11
	v_add_nc_u32_e32 v10, 31, v3
	s_and_b32 s16, s57, vcc_lo
	v_lshrrev_b32_e32 v10, 1, v10
	v_and_b32_e32 v12, 0x3ffffff0, v10
	v_mov_b32_e32 v10, 0
	v_max_i32_e32 v12, s45, v12
	s_and_saveexec_b32 s61, s16
	s_cbranch_execz .LBB2_6336
; %bb.6158:                             ;   in Loop: Header=BB2_6157 Depth=2
	v_add_co_u32 v68, vcc_lo, v8, v47
	v_add_co_ci_u32_e64 v69, null, v9, v56, vcc_lo
	v_mov_b32_e32 v15, 0
	s_mov_b32 s72, 1
	s_mov_b32 s63, -1
	s_branch .LBB2_6160
.LBB2_6159:                             ;   in Loop: Header=BB2_6160 Depth=3
	s_or_b32 exec_lo, exec_lo, s16
	v_add_nc_u32_e32 v15, v12, v15
	s_xor_b32 s16, s63, -1
	v_mov_b32_e32 v10, s72
	s_mov_b32 s63, 0
	s_mov_b32 s72, 2
	v_cmp_ge_i32_e32 vcc_lo, v15, v3
	s_or_b32 s16, s16, vcc_lo
	s_and_b32 s16, exec_lo, s16
	s_or_b32 s62, s16, s62
	s_andn2_b32 exec_lo, exec_lo, s62
	s_cbranch_execz .LBB2_6335
.LBB2_6160:                             ;   Parent Loop BB2_47 Depth=1
                                        ;     Parent Loop BB2_6157 Depth=2
                                        ; =>    This Loop Header: Depth=3
                                        ;         Child Loop BB2_6168 Depth 4
                                        ;         Child Loop BB2_6196 Depth 4
	;; [unrolled: 1-line block ×4, first 2 shown]
                                        ;           Child Loop BB2_6239 Depth 5
                                        ;         Child Loop BB2_6245 Depth 4
                                        ;           Child Loop BB2_6246 Depth 5
                                        ;         Child Loop BB2_6253 Depth 4
                                        ;         Child Loop BB2_6258 Depth 4
                                        ;           Child Loop BB2_6259 Depth 5
                                        ;         Child Loop BB2_6271 Depth 4
                                        ;         Child Loop BB2_6276 Depth 4
	;; [unrolled: 1-line block ×6, first 2 shown]
	s_and_saveexec_b32 s17, s4
	s_cbranch_execz .LBB2_6162
; %bb.6161:                             ;   in Loop: Header=BB2_6160 Depth=3
	s_trap 2
	ds_read_b128 v[8:11], v0
	v_ashrrev_i32_e32 v13, 31, v15
	s_waitcnt lgkmcnt(0)
	v_add_co_u32 v14, vcc_lo, v10, v68
	v_add_co_ci_u32_e64 v54, null, v11, v69, vcc_lo
	v_add_co_u32 v8, vcc_lo, v8, v68
	v_add_co_ci_u32_e64 v9, null, v9, v69, vcc_lo
	;; [unrolled: 2-line block ×3, first 2 shown]
	v_cmp_ne_u64_e32 vcc_lo, 0, v[10:11]
	v_add_co_u32 v8, s16, v8, v15
	v_add_co_ci_u32_e64 v9, null, v9, v13, s16
	v_cndmask_b32_e32 v11, 0, v54, vcc_lo
	v_cndmask_b32_e32 v10, 0, v14, vcc_lo
	ds_write_b64 v0, v[8:9]
	ds_write_b64 v0, v[10:11]
.LBB2_6162:                             ;   in Loop: Header=BB2_6160 Depth=3
	s_or_b32 exec_lo, exec_lo, s17
	v_sub_nc_u32_e32 v8, v3, v15
	v_and_b32_e32 v9, 12, v84
	s_mov_b32 s17, exec_lo
	v_min_i32_e32 v12, v12, v8
	v_cmpx_ne_u32_e32 0, v9
	s_cbranch_execz .LBB2_6188
; %bb.6163:                             ;   in Loop: Header=BB2_6160 Depth=3
	v_and_b32_e32 v54, 8, v84
	s_mov_b32 s18, exec_lo
	s_waitcnt vmcnt(0) lgkmcnt(1)
	v_add_co_u32 v10, vcc_lo, v32, v54
	v_add_co_ci_u32_e64 v11, null, 0, v33, vcc_lo
	v_add_co_u32 v8, vcc_lo, v50, 2
	v_add_co_ci_u32_e64 v9, null, 0, v51, vcc_lo
	v_cmpx_lt_u64_e64 v[10:11], v[8:9]
	s_cbranch_execz .LBB2_6175
; %bb.6164:                             ;   in Loop: Header=BB2_6160 Depth=3
	v_and_b32_e32 v10, 64, v84
	s_mov_b32 s19, 0
	s_mov_b32 s74, 0
                                        ; implicit-def: $sgpr22
                                        ; implicit-def: $sgpr23
                                        ; implicit-def: $sgpr73
	v_cmp_eq_u32_e32 vcc_lo, 0, v10
	s_branch .LBB2_6168
.LBB2_6165:                             ;   in Loop: Header=BB2_6168 Depth=4
	s_waitcnt vmcnt(0) lgkmcnt(0)
	v_add_co_u32 v13, s16, v32, v54
	v_add_co_ci_u32_e64 v14, null, 0, v33, s16
	s_or_b32 s77, s77, exec_lo
	v_cmp_ge_u64_e64 s16, v[13:14], v[8:9]
	s_orn2_b32 s76, s16, exec_lo
.LBB2_6166:                             ;   in Loop: Header=BB2_6168 Depth=4
	s_or_b32 exec_lo, exec_lo, s79
	s_andn2_b32 s16, s73, exec_lo
	s_and_b32 s73, s77, exec_lo
	s_andn2_b32 s23, s23, exec_lo
	s_and_b32 s76, s76, exec_lo
	s_or_b32 s73, s16, s73
	s_or_b32 s23, s23, s76
.LBB2_6167:                             ;   in Loop: Header=BB2_6168 Depth=4
	s_or_b32 exec_lo, exec_lo, s75
	s_and_b32 s16, exec_lo, s23
	s_or_b32 s19, s16, s19
	s_andn2_b32 s16, s22, exec_lo
	s_and_b32 s22, s73, exec_lo
	s_or_b32 s22, s16, s22
	s_andn2_b32 exec_lo, exec_lo, s19
	s_cbranch_execz .LBB2_6172
.LBB2_6168:                             ;   Parent Loop BB2_47 Depth=1
                                        ;     Parent Loop BB2_6157 Depth=2
                                        ;       Parent Loop BB2_6160 Depth=3
                                        ; =>      This Inner Loop Header: Depth=4
	s_sleep 1
	s_waitcnt vmcnt(0) lgkmcnt(0)
	flat_load_dwordx2 v[32:33], v[22:23] glc dlc
	s_or_b32 s73, s73, exec_lo
	s_or_b32 s23, s23, exec_lo
                                        ; implicit-def: $vgpr10
	s_and_saveexec_b32 s75, vcc_lo
	s_cbranch_execz .LBB2_6167
; %bb.6169:                             ;   in Loop: Header=BB2_6168 Depth=4
	s_cmpk_lt_i32 s74, 0x270f
	s_mov_b32 s76, -1
	s_cselect_b32 s78, -1, 0
	s_cmpk_gt_i32 s74, 0x270e
	s_cbranch_scc0 .LBB2_6171
; %bb.6170:                             ;   in Loop: Header=BB2_6168 Depth=4
	s_trap 2
	ds_read_b64 v[10:11], v0
	s_andn2_b32 s74, s78, exec_lo
	s_mov_b32 s77, 0
	s_waitcnt vmcnt(0) lgkmcnt(0)
	s_waitcnt_vscnt null, 0x0
	flat_load_dword v10, v[10:11] glc dlc
	s_waitcnt vmcnt(0) lgkmcnt(0)
	buffer_gl1_inv
	buffer_gl0_inv
	v_cmp_eq_u32_e64 s16, 0, v10
	s_and_b32 s16, s16, exec_lo
	s_or_b32 s78, s74, s16
	s_mov_b32 s74, 0
	s_and_saveexec_b32 s79, s78
	s_cbranch_execz .LBB2_6166
	s_branch .LBB2_6165
.LBB2_6171:                             ;   in Loop: Header=BB2_6168 Depth=4
	s_add_i32 s74, s74, 1
	s_mov_b32 s77, -1
                                        ; implicit-def: $vgpr10
	s_and_saveexec_b32 s79, s78
	s_cbranch_execz .LBB2_6166
	s_branch .LBB2_6165
.LBB2_6172:                             ;   in Loop: Header=BB2_6160 Depth=3
	s_or_b32 exec_lo, exec_lo, s19
	s_xor_b32 s16, s22, -1
	s_and_saveexec_b32 s19, s16
	s_xor_b32 s16, exec_lo, s19
	s_cbranch_execz .LBB2_6174
; %bb.6173:                             ;   in Loop: Header=BB2_6160 Depth=3
	v_or_b32_e32 v84, 64, v84
	s_waitcnt vmcnt(0) lgkmcnt(0)
	s_waitcnt_vscnt null, 0x0
	ds_write_b32 v0, v10
	s_trap 2
.LBB2_6174:                             ;   in Loop: Header=BB2_6160 Depth=3
	s_or_b32 exec_lo, exec_lo, s16
.LBB2_6175:                             ;   in Loop: Header=BB2_6160 Depth=3
	s_or_b32 exec_lo, exec_lo, s18
	v_and_b32_e32 v10, 0x108, v84
	;;#ASMSTART
	s_wakeup
	;;#ASMEND
	v_cmp_ne_u32_e32 vcc_lo, 0x108, v10
                                        ; implicit-def: $vgpr10_vgpr11
	s_and_saveexec_b32 s16, vcc_lo
	s_xor_b32 s16, exec_lo, s16
; %bb.6176:                             ;   in Loop: Header=BB2_6160 Depth=3
	v_and_b32_e32 v10, 7, v50
	v_mov_b32_e32 v11, v2
                                        ; implicit-def: $vgpr50_vgpr51
; %bb.6177:                             ;   in Loop: Header=BB2_6160 Depth=3
	s_andn2_saveexec_b32 s16, s16
	s_cbranch_execz .LBB2_6179
; %bb.6178:                             ;   in Loop: Header=BB2_6160 Depth=3
	v_and_b32_e32 v10, 7, v50
	v_ashrrev_i32_e32 v13, 31, v12
	v_mov_b32_e32 v11, v2
	v_mad_u64_u32 v[50:51], null, v10, 24, v[6:7]
	flat_store_dwordx2 v[50:51], v[12:13] offset:8
.LBB2_6179:                             ;   in Loop: Header=BB2_6160 Depth=3
	s_or_b32 exec_lo, exec_lo, s16
	v_and_b32_e32 v13, 0x100, v84
	s_mov_b32 s16, -1
	v_cmp_ne_u32_e32 vcc_lo, 0, v13
                                        ; implicit-def: $vgpr13_vgpr14
	s_and_saveexec_b32 s18, vcc_lo
	s_cbranch_execz .LBB2_6183
; %bb.6180:                             ;   in Loop: Header=BB2_6160 Depth=3
	v_mad_u64_u32 v[50:51], null, v10, 24, v[6:7]
	v_mov_b32_e32 v13, v51
	v_mad_u64_u32 v[13:14], null, v11, 24, v[13:14]
	v_mov_b32_e32 v51, v13
	flat_load_dword v13, v[50:51]
	s_waitcnt vmcnt(0) lgkmcnt(0)
	v_cmp_eq_u32_e64 s16, 1, v13
	v_cmp_ne_u32_e32 vcc_lo, 1, v13
                                        ; implicit-def: $vgpr13_vgpr14
	s_and_saveexec_b32 s19, s16
	s_cbranch_execz .LBB2_6182
; %bb.6181:                             ;   in Loop: Header=BB2_6160 Depth=3
	flat_load_dword v13, v[50:51] offset:4 glc dlc
	s_waitcnt vmcnt(0) lgkmcnt(0)
	v_ashrrev_i32_e32 v14, 31, v13
.LBB2_6182:                             ;   in Loop: Header=BB2_6160 Depth=3
	s_or_b32 exec_lo, exec_lo, s19
	s_orn2_b32 s16, vcc_lo, exec_lo
.LBB2_6183:                             ;   in Loop: Header=BB2_6160 Depth=3
	s_or_b32 exec_lo, exec_lo, s18
	s_and_saveexec_b32 s18, s16
; %bb.6184:                             ;   in Loop: Header=BB2_6160 Depth=3
	v_mul_lo_u32 v11, v11, v85
	v_mul_lo_u32 v50, v10, v86
	v_mad_u64_u32 v[13:14], null, v10, v85, 0
	v_add3_u32 v14, v14, v50, v11
; %bb.6185:                             ;   in Loop: Header=BB2_6160 Depth=3
	s_or_b32 exec_lo, exec_lo, s18
	v_cmp_eq_u32_e32 vcc_lo, 0, v54
	v_and_b32_e32 v51, 0x2000, v84
	s_mov_b32 s16, exec_lo
	v_cndmask_b32_e32 v50, 0xd0, v115, vcc_lo
	v_add_co_u32 v10, vcc_lo, v24, v13
	v_add_co_ci_u32_e64 v11, null, v25, v14, vcc_lo
	v_add_nc_u32_e32 v13, v0, v50
	ds_write_b64 v13, v[10:11] offset:584
	v_cmpx_ne_u32_e32 0, v51
	s_cbranch_execz .LBB2_6187
; %bb.6186:                             ;   in Loop: Header=BB2_6160 Depth=3
	ds_read_b64 v[10:11], v0 offset:872
	s_waitcnt lgkmcnt(0)
	v_add_co_u32 v10, vcc_lo, v10, 1
	v_add_co_ci_u32_e64 v11, null, 0, v11, vcc_lo
	ds_write_b64 v0, v[10:11] offset:872
.LBB2_6187:                             ;   in Loop: Header=BB2_6160 Depth=3
	s_or_b32 exec_lo, exec_lo, s16
	v_mov_b32_e32 v51, v9
	v_mov_b32_e32 v50, v8
.LBB2_6188:                             ;   in Loop: Header=BB2_6160 Depth=3
	s_or_b32 exec_lo, exec_lo, s17
	s_and_saveexec_b32 s16, s6
	s_cbranch_execz .LBB2_6207
; %bb.6189:                             ;   in Loop: Header=BB2_6160 Depth=3
	s_and_saveexec_b32 s17, s29
	s_xor_b32 s17, exec_lo, s17
	s_cbranch_execz .LBB2_6204
; %bb.6190:                             ;   in Loop: Header=BB2_6160 Depth=3
	s_and_saveexec_b32 s18, s11
	s_cbranch_execz .LBB2_6203
; %bb.6191:                             ;   in Loop: Header=BB2_6160 Depth=3
	s_mov_b32 s22, exec_lo
	s_mov_b32 s19, exec_lo
	v_mbcnt_lo_u32_b32 v8, s22, 0
	s_waitcnt vmcnt(0) lgkmcnt(0)
	s_waitcnt_vscnt null, 0x0
	buffer_gl1_inv
	buffer_gl0_inv
	v_cmpx_eq_u32_e32 0, v8
	s_cbranch_execz .LBB2_6193
; %bb.6192:                             ;   in Loop: Header=BB2_6160 Depth=3
	s_bcnt1_i32_b32 s22, s22
	v_mov_b32_e32 v9, v2
	v_mov_b32_e32 v8, s22
	ds_add_u64 v0, v[8:9]
	s_trap 2
.LBB2_6193:                             ;   in Loop: Header=BB2_6160 Depth=3
	s_or_b32 exec_lo, exec_lo, s19
	s_trap 2
	ds_read_b64 v[8:9], v0
	s_waitcnt lgkmcnt(0)
	buffer_gl0_inv
	v_add_co_u32 v28, vcc_lo, v28, v87
	v_add_co_ci_u32_e64 v29, null, 0, v29, vcc_lo
	s_mov_b32 s19, exec_lo
	v_cmpx_lt_u64_e64 v[8:9], v[28:29]
	s_cbranch_execz .LBB2_6202
; %bb.6194:                             ;   in Loop: Header=BB2_6160 Depth=3
	s_mov_b32 s22, 0
	s_mov_b32 s74, 0
                                        ; implicit-def: $sgpr23
                                        ; implicit-def: $sgpr73
	s_inst_prefetch 0x1
	s_branch .LBB2_6196
	.p2align	6
.LBB2_6195:                             ;   in Loop: Header=BB2_6196 Depth=4
	s_or_b32 exec_lo, exec_lo, s76
	s_and_b32 s75, exec_lo, s77
	s_or_b32 s22, s75, s22
	s_andn2_b32 s23, s23, exec_lo
	s_and_b32 s75, s73, exec_lo
	s_or_b32 s23, s23, s75
	s_andn2_b32 exec_lo, exec_lo, s22
	s_cbranch_execz .LBB2_6200
.LBB2_6196:                             ;   Parent Loop BB2_47 Depth=1
                                        ;     Parent Loop BB2_6157 Depth=2
                                        ;       Parent Loop BB2_6160 Depth=3
                                        ; =>      This Inner Loop Header: Depth=4
	s_add_i32 s74, s74, 1
	s_cmpk_lg_i32 s74, 0x2710
	s_cselect_b32 s75, -1, 0
	s_and_b32 vcc_lo, exec_lo, s75
	s_cbranch_vccz .LBB2_6198
; %bb.6197:                             ;   in Loop: Header=BB2_6196 Depth=4
	s_mov_b32 s77, -1
	s_or_b32 s73, s73, exec_lo
	s_and_saveexec_b32 s76, s75
	s_cbranch_execz .LBB2_6195
	s_branch .LBB2_6199
	.p2align	6
.LBB2_6198:                             ;   in Loop: Header=BB2_6196 Depth=4
	s_trap 2
	ds_read_b64 v[8:9], v0
	s_andn2_b32 s75, s75, exec_lo
	s_mov_b32 s74, 0
	s_waitcnt lgkmcnt(0)
	flat_load_dword v8, v[8:9] glc dlc
	s_waitcnt vmcnt(0) lgkmcnt(0)
	buffer_gl1_inv
	buffer_gl0_inv
	v_cmp_eq_u32_e32 vcc_lo, 0, v8
	s_and_b32 s76, vcc_lo, exec_lo
	s_or_b32 s75, s75, s76
	s_mov_b32 s77, -1
	s_or_b32 s73, s73, exec_lo
	s_and_saveexec_b32 s76, s75
	s_cbranch_execz .LBB2_6195
.LBB2_6199:                             ;   in Loop: Header=BB2_6196 Depth=4
	s_sleep 1
	s_trap 2
	ds_read_b64 v[8:9], v0
	s_waitcnt lgkmcnt(0)
	buffer_gl0_inv
	s_andn2_b32 s73, s73, exec_lo
	v_cmp_ge_u64_e32 vcc_lo, v[8:9], v[28:29]
	s_orn2_b32 s77, vcc_lo, exec_lo
	s_branch .LBB2_6195
.LBB2_6200:                             ;   in Loop: Header=BB2_6160 Depth=3
	s_inst_prefetch 0x2
	s_or_b32 exec_lo, exec_lo, s22
	s_and_saveexec_b32 s22, s23
	s_xor_b32 s22, exec_lo, s22
	s_cbranch_execz .LBB2_6202
; %bb.6201:                             ;   in Loop: Header=BB2_6160 Depth=3
	ds_write_b32 v0, v100
	s_trap 2
.LBB2_6202:                             ;   in Loop: Header=BB2_6160 Depth=3
	s_or_b32 exec_lo, exec_lo, s19
	;;#ASMSTART
	s_wakeup
	;;#ASMEND
.LBB2_6203:                             ;   in Loop: Header=BB2_6160 Depth=3
	s_or_b32 exec_lo, exec_lo, s18
.LBB2_6204:                             ;   in Loop: Header=BB2_6160 Depth=3
	s_andn2_saveexec_b32 s17, s17
	s_cbranch_execz .LBB2_6206
; %bb.6205:                             ;   in Loop: Header=BB2_6160 Depth=3
	s_waitcnt vmcnt(0) lgkmcnt(0)
	s_waitcnt_vscnt null, 0x0
	buffer_gl1_inv
	buffer_gl0_inv
	s_barrier
.LBB2_6206:                             ;   in Loop: Header=BB2_6160 Depth=3
	s_or_b32 exec_lo, exec_lo, s17
.LBB2_6207:                             ;   in Loop: Header=BB2_6160 Depth=3
	s_or_b32 exec_lo, exec_lo, s16
	s_trap 2
	ds_read_b32 v8, v0
	v_and_b32_e32 v9, 0x4000, v84
	s_xor_b32 s16, s5, -1
	v_cmp_ne_u32_e32 vcc_lo, 0, v9
	s_and_b32 s17, s16, vcc_lo
	s_and_saveexec_b32 s16, s17
	s_cbranch_execz .LBB2_6226
; %bb.6208:                             ;   in Loop: Header=BB2_6160 Depth=3
	s_and_saveexec_b32 s17, s29
	s_xor_b32 s17, exec_lo, s17
	s_cbranch_execz .LBB2_6223
; %bb.6209:                             ;   in Loop: Header=BB2_6160 Depth=3
	s_and_saveexec_b32 s18, s11
	s_cbranch_execz .LBB2_6222
; %bb.6210:                             ;   in Loop: Header=BB2_6160 Depth=3
	s_mov_b32 s22, exec_lo
	s_mov_b32 s19, exec_lo
	v_mbcnt_lo_u32_b32 v9, s22, 0
	s_waitcnt vmcnt(0) lgkmcnt(0)
	s_waitcnt_vscnt null, 0x0
	buffer_gl1_inv
	buffer_gl0_inv
	v_cmpx_eq_u32_e32 0, v9
	s_cbranch_execz .LBB2_6212
; %bb.6211:                             ;   in Loop: Header=BB2_6160 Depth=3
	s_bcnt1_i32_b32 s22, s22
	v_mov_b32_e32 v10, v2
	v_mov_b32_e32 v9, s22
	ds_add_u64 v0, v[9:10]
	s_trap 2
.LBB2_6212:                             ;   in Loop: Header=BB2_6160 Depth=3
	s_or_b32 exec_lo, exec_lo, s19
	s_trap 2
	ds_read_b64 v[9:10], v0
	s_waitcnt lgkmcnt(0)
	buffer_gl0_inv
	v_add_co_u32 v28, vcc_lo, v28, v87
	v_add_co_ci_u32_e64 v29, null, 0, v29, vcc_lo
	s_mov_b32 s19, exec_lo
	v_cmpx_lt_u64_e64 v[9:10], v[28:29]
	s_cbranch_execz .LBB2_6221
; %bb.6213:                             ;   in Loop: Header=BB2_6160 Depth=3
	s_mov_b32 s22, 0
	s_mov_b32 s74, 0
                                        ; implicit-def: $sgpr23
                                        ; implicit-def: $sgpr73
	s_inst_prefetch 0x1
	s_branch .LBB2_6215
	.p2align	6
.LBB2_6214:                             ;   in Loop: Header=BB2_6215 Depth=4
	s_or_b32 exec_lo, exec_lo, s76
	s_and_b32 s75, exec_lo, s77
	s_or_b32 s22, s75, s22
	s_andn2_b32 s23, s23, exec_lo
	s_and_b32 s75, s73, exec_lo
	s_or_b32 s23, s23, s75
	s_andn2_b32 exec_lo, exec_lo, s22
	s_cbranch_execz .LBB2_6219
.LBB2_6215:                             ;   Parent Loop BB2_47 Depth=1
                                        ;     Parent Loop BB2_6157 Depth=2
                                        ;       Parent Loop BB2_6160 Depth=3
                                        ; =>      This Inner Loop Header: Depth=4
	s_add_i32 s74, s74, 1
	s_cmpk_lg_i32 s74, 0x2710
	s_cselect_b32 s75, -1, 0
	s_and_b32 vcc_lo, exec_lo, s75
	s_cbranch_vccz .LBB2_6217
; %bb.6216:                             ;   in Loop: Header=BB2_6215 Depth=4
	s_mov_b32 s77, -1
	s_or_b32 s73, s73, exec_lo
	s_and_saveexec_b32 s76, s75
	s_cbranch_execz .LBB2_6214
	s_branch .LBB2_6218
	.p2align	6
.LBB2_6217:                             ;   in Loop: Header=BB2_6215 Depth=4
	s_trap 2
	ds_read_b64 v[9:10], v0
	s_andn2_b32 s75, s75, exec_lo
	s_mov_b32 s74, 0
	s_waitcnt lgkmcnt(0)
	flat_load_dword v9, v[9:10] glc dlc
	s_waitcnt vmcnt(0) lgkmcnt(0)
	buffer_gl1_inv
	buffer_gl0_inv
	v_cmp_eq_u32_e32 vcc_lo, 0, v9
	s_and_b32 s76, vcc_lo, exec_lo
	s_or_b32 s75, s75, s76
	s_mov_b32 s77, -1
	s_or_b32 s73, s73, exec_lo
	s_and_saveexec_b32 s76, s75
	s_cbranch_execz .LBB2_6214
.LBB2_6218:                             ;   in Loop: Header=BB2_6215 Depth=4
	s_sleep 1
	s_trap 2
	ds_read_b64 v[9:10], v0
	s_waitcnt lgkmcnt(0)
	buffer_gl0_inv
	s_andn2_b32 s73, s73, exec_lo
	v_cmp_ge_u64_e32 vcc_lo, v[9:10], v[28:29]
	s_orn2_b32 s77, vcc_lo, exec_lo
	s_branch .LBB2_6214
.LBB2_6219:                             ;   in Loop: Header=BB2_6160 Depth=3
	s_inst_prefetch 0x2
	s_or_b32 exec_lo, exec_lo, s22
	s_and_saveexec_b32 s22, s23
	s_xor_b32 s22, exec_lo, s22
	s_cbranch_execz .LBB2_6221
; %bb.6220:                             ;   in Loop: Header=BB2_6160 Depth=3
	ds_write_b32 v0, v100
	s_trap 2
.LBB2_6221:                             ;   in Loop: Header=BB2_6160 Depth=3
	s_or_b32 exec_lo, exec_lo, s19
	;;#ASMSTART
	s_wakeup
	;;#ASMEND
.LBB2_6222:                             ;   in Loop: Header=BB2_6160 Depth=3
	s_or_b32 exec_lo, exec_lo, s18
.LBB2_6223:                             ;   in Loop: Header=BB2_6160 Depth=3
	s_andn2_saveexec_b32 s17, s17
	s_cbranch_execz .LBB2_6225
; %bb.6224:                             ;   in Loop: Header=BB2_6160 Depth=3
	s_waitcnt vmcnt(0) lgkmcnt(0)
	s_waitcnt_vscnt null, 0x0
	buffer_gl1_inv
	buffer_gl0_inv
	s_barrier
.LBB2_6225:                             ;   in Loop: Header=BB2_6160 Depth=3
	s_or_b32 exec_lo, exec_lo, s17
.LBB2_6226:                             ;   in Loop: Header=BB2_6160 Depth=3
	s_or_b32 exec_lo, exec_lo, s16
	s_trap 2
	ds_read_b64 v[13:14], v0
	s_waitcnt lgkmcnt(0)
	v_cmp_eq_u64_e32 vcc_lo, 0, v[13:14]
	s_cbranch_vccnz .LBB2_6235
; %bb.6227:                             ;   in Loop: Header=BB2_6160 Depth=3
	s_trap 2
	ds_read_b64 v[54:55], v0
	s_waitcnt lgkmcnt(0)
	v_cmp_eq_u64_e32 vcc_lo, 0, v[54:55]
	s_cbranch_vccnz .LBB2_6235
; %bb.6228:                             ;   in Loop: Header=BB2_6160 Depth=3
	s_trap 2
	s_waitcnt vmcnt(0)
	ds_read_b64 v[64:65], v0
	v_cmp_eq_u32_e64 s16, 0, v8
	v_cndmask_b32_e64 v70, 0, v12, s16
	s_mov_b32 s16, -1
	s_waitcnt lgkmcnt(0)
	v_cmp_ne_u64_e32 vcc_lo, 0, v[64:65]
	s_cbranch_vccz .LBB2_6262
; %bb.6229:                             ;   in Loop: Header=BB2_6160 Depth=3
	s_and_saveexec_b32 s17, s13
	s_cbranch_execz .LBB2_6231
; %bb.6230:                             ;   in Loop: Header=BB2_6160 Depth=3
	ds_read_b32 v8, v0 offset:720
	s_waitcnt lgkmcnt(0)
	v_and_b32_e32 v8, 15, v8
	v_cmp_eq_u32_e32 vcc_lo, 0, v8
	s_orn2_b32 s16, vcc_lo, exec_lo
.LBB2_6231:                             ;   in Loop: Header=BB2_6160 Depth=3
	s_or_b32 exec_lo, exec_lo, s17
	s_and_saveexec_b32 s17, s14
	s_cbranch_execz .LBB2_6233
; %bb.6232:                             ;   in Loop: Header=BB2_6160 Depth=3
	ds_read_b32 v8, v0 offset:784
	s_waitcnt lgkmcnt(0)
	v_and_b32_e32 v8, 15, v8
	v_cmp_eq_u32_e32 vcc_lo, 0, v8
	s_and_b32 s18, s16, vcc_lo
	s_andn2_b32 s16, s16, exec_lo
	s_and_b32 s18, s18, exec_lo
	s_or_b32 s16, s16, s18
.LBB2_6233:                             ;   in Loop: Header=BB2_6160 Depth=3
	s_or_b32 exec_lo, exec_lo, s17
	s_xor_b32 s16, s16, -1
	v_mov_b32_e32 v66, 0
	v_cndmask_b32_e64 v8, 0, 1, s16
	v_mov_b32_e32 v67, v70
	v_mov_b32_e32 v71, v0
	s_mov_b32 s17, -1
	v_cmp_ne_u32_e32 vcc_lo, 0, v8
	s_cbranch_vccz .LBB2_6236
; %bb.6234:                             ;   in Loop: Header=BB2_6160 Depth=3
	s_and_saveexec_b32 s22, s17
	s_cbranch_execnz .LBB2_6251
	s_branch .LBB2_6261
.LBB2_6235:                             ;   in Loop: Header=BB2_6160 Depth=3
	s_mov_b32 s16, 0
	s_and_saveexec_b32 s17, s6
	s_cbranch_execnz .LBB2_6290
	s_branch .LBB2_6308
.LBB2_6236:                             ;   in Loop: Header=BB2_6160 Depth=3
	v_ashrrev_i32_e32 v8, 31, v70
	v_sub_nc_u32_e32 v71, v70, v99
	s_mov_b32 s19, exec_lo
	v_lshrrev_b32_e32 v8, 23, v8
	v_add_nc_u32_e32 v8, v70, v8
	v_and_b32_e32 v80, 0xfffffe00, v8
	v_ashrrev_i32_e32 v8, 9, v8
	v_sub_nc_u32_e32 v82, v70, v80
	v_sub_nc_u32_e32 v8, v8, v97
	v_cmp_lt_i32_e64 s16, 15, v82
	v_add_co_ci_u32_e64 v83, null, 0, v8, s16
	v_cmpx_lt_i32_e32 15, v71
	s_cbranch_execz .LBB2_6242
; %bb.6237:                             ;   in Loop: Header=BB2_6160 Depth=3
	v_add_co_u32 v66, vcc_lo, v13, v99
	v_add_co_ci_u32_e64 v67, null, 0, v14, vcc_lo
	v_add_co_u32 v81, vcc_lo, v54, v99
	v_add_co_ci_u32_e64 v57, null, 0, v55, vcc_lo
	;; [unrolled: 2-line block ×3, first 2 shown]
	s_mov_b32 s73, 0
	s_inst_prefetch 0x1
	.p2align	6
.LBB2_6238:                             ;   Parent Loop BB2_47 Depth=1
                                        ;     Parent Loop BB2_6157 Depth=2
                                        ;       Parent Loop BB2_6160 Depth=3
                                        ; =>      This Loop Header: Depth=4
                                        ;           Child Loop BB2_6239 Depth 5
	global_load_dwordx4 v[8:11], v[66:67], off slc
	s_mov_b64 s[22:23], 0
	s_mov_b32 s74, -1
	.p2align	6
.LBB2_6239:                             ;   Parent Loop BB2_47 Depth=1
                                        ;     Parent Loop BB2_6157 Depth=2
                                        ;       Parent Loop BB2_6160 Depth=3
                                        ;         Parent Loop BB2_6238 Depth=4
                                        ; =>        This Inner Loop Header: Depth=5
	s_cmp_eq_u32 s22, 1
	s_cselect_b32 vcc_lo, -1, 0
	s_cmp_eq_u32 s22, 0
	v_cndmask_b32_e32 v60, v81, v58, vcc_lo
	v_cndmask_b32_e32 v61, v57, v59, vcc_lo
	s_mov_b64 s[22:23], 1
	v_add_co_u32 v62, s17, 0x200, v60
	v_add_co_ci_u32_e64 v63, null, 0, v61, s17
	s_cselect_b32 s17, -1, 0
	v_cndmask_b32_e32 v58, v58, v62, vcc_lo
	v_cndmask_b32_e64 v81, v81, v62, s17
	v_cndmask_b32_e32 v59, v59, v63, vcc_lo
	v_cndmask_b32_e64 v57, v57, v63, s17
	s_and_b32 s18, exec_lo, s74
	s_mov_b32 s74, 0
	s_mov_b32 vcc_lo, s18
	s_waitcnt vmcnt(0)
	global_store_dwordx4 v[60:61], v[8:11], off glc slc
	s_cbranch_vccnz .LBB2_6239
; %bb.6240:                             ;   in Loop: Header=BB2_6238 Depth=4
	v_sub_nc_u32_e32 v71, v71, v117
	v_add_co_u32 v81, vcc_lo, v81, v40
	v_add_co_ci_u32_e64 v57, null, v57, v42, vcc_lo
	v_add_co_u32 v58, vcc_lo, v58, v40
	v_add_co_ci_u32_e64 v59, null, v59, v42, vcc_lo
	v_cmp_gt_i32_e32 vcc_lo, 16, v71
	v_add_co_u32 v66, s17, v45, v66
	v_add_co_ci_u32_e64 v67, null, v46, v67, s17
	v_sub_nc_u32_e32 v83, v83, v87
	s_or_b32 s73, vcc_lo, s73
	s_andn2_b32 exec_lo, exec_lo, s73
	s_cbranch_execnz .LBB2_6238
; %bb.6241:                             ;   in Loop: Header=BB2_6160 Depth=3
	s_inst_prefetch 0x2
	s_or_b32 exec_lo, exec_lo, s73
.LBB2_6242:                             ;   in Loop: Header=BB2_6160 Depth=3
	s_or_b32 exec_lo, exec_lo, s19
	v_and_b32_e32 v8, 15, v70
	v_mov_b32_e32 v66, 0
	s_mov_b32 s17, 0
	s_mov_b32 s19, exec_lo
                                        ; implicit-def: $vgpr67
                                        ; implicit-def: $vgpr71
	v_cndmask_b32_e64 v81, v82, v8, s16
	v_cmpx_ne_u32_e32 0, v81
	s_cbranch_execz .LBB2_6250
; %bb.6243:                             ;   in Loop: Header=BB2_6160 Depth=3
	v_cmp_lt_i32_e32 vcc_lo, 0, v83
	v_ashrrev_i32_e32 v11, 31, v81
	s_mov_b32 s73, exec_lo
	v_cndmask_b32_e32 v9, 0, v87, vcc_lo
	v_lshrrev_b32_e32 v11, 23, v11
	v_sub_nc_u32_e32 v9, v9, v83
	v_add_nc_u32_e32 v11, v81, v11
	v_lshl_or_b32 v9, v9, 5, v96
	v_and_b32_e32 v83, 0xfffffe00, v11
	v_ashrrev_i32_e32 v11, 9, v11
	v_ashrrev_i32_e32 v10, 31, v9
	v_lshrrev_b32_e32 v10, 27, v10
	v_add_nc_u32_e32 v10, v9, v10
	v_and_b32_e32 v66, 0xffffffe0, v10
	v_sub_nc_u32_e32 v71, v9, v66
	v_ashrrev_i32_e32 v9, 5, v10
	v_sub_nc_u32_e32 v66, v82, v8
	v_sub_nc_u32_e32 v82, v81, v83
	v_lshlrev_b32_e32 v10, 4, v71
	v_lshl_add_u32 v8, v9, 9, v10
	v_cndmask_b32_e64 v10, 0, v66, s16
	v_cmp_lt_i32_e64 s16, 15, v82
	v_sub_nc_u32_e32 v58, v81, v8
	v_add_nc_u32_e32 v80, v10, v80
	v_add_co_ci_u32_e64 v11, null, 0, v11, s16
	v_sub_nc_u32_e32 v57, v11, v9
	v_cmpx_lt_i32_e32 15, v58
	s_cbranch_execz .LBB2_6249
; %bb.6244:                             ;   in Loop: Header=BB2_6160 Depth=3
	v_add_nc_u32_e32 v8, v8, v80
	s_mov_b32 s74, 0
	v_ashrrev_i32_e32 v9, 31, v8
	v_add_co_u32 v66, vcc_lo, v8, v13
	v_add_co_ci_u32_e64 v67, null, v9, v14, vcc_lo
	v_add_co_u32 v59, vcc_lo, v8, v54
	v_add_co_ci_u32_e64 v60, null, v9, v55, vcc_lo
	v_add_co_u32 v61, vcc_lo, v8, v64
	v_add_co_ci_u32_e64 v62, null, v9, v65, vcc_lo
	s_inst_prefetch 0x1
	.p2align	6
.LBB2_6245:                             ;   Parent Loop BB2_47 Depth=1
                                        ;     Parent Loop BB2_6157 Depth=2
                                        ;       Parent Loop BB2_6160 Depth=3
                                        ; =>      This Loop Header: Depth=4
                                        ;           Child Loop BB2_6246 Depth 5
	global_load_dwordx4 v[8:11], v[66:67], off slc
	s_mov_b64 s[22:23], 0
	s_mov_b32 s75, -1
	.p2align	6
.LBB2_6246:                             ;   Parent Loop BB2_47 Depth=1
                                        ;     Parent Loop BB2_6157 Depth=2
                                        ;       Parent Loop BB2_6160 Depth=3
                                        ;         Parent Loop BB2_6245 Depth=4
                                        ; =>        This Inner Loop Header: Depth=5
	s_cmp_eq_u32 s22, 1
	s_cselect_b32 vcc_lo, -1, 0
	s_cmp_eq_u32 s22, 0
	v_cndmask_b32_e32 v72, v59, v61, vcc_lo
	v_cndmask_b32_e32 v73, v60, v62, vcc_lo
	s_mov_b64 s[22:23], 1
	v_add_co_u32 v63, s17, 0x200, v72
	v_add_co_ci_u32_e64 v74, null, 0, v73, s17
	s_cselect_b32 s17, -1, 0
	v_cndmask_b32_e32 v61, v61, v63, vcc_lo
	v_cndmask_b32_e64 v59, v59, v63, s17
	v_cndmask_b32_e32 v62, v62, v74, vcc_lo
	v_cndmask_b32_e64 v60, v60, v74, s17
	s_and_b32 s18, exec_lo, s75
	s_mov_b32 s75, 0
	s_mov_b32 vcc_lo, s18
	s_waitcnt vmcnt(0)
	global_store_dwordx4 v[72:73], v[8:11], off glc slc
	s_cbranch_vccnz .LBB2_6246
; %bb.6247:                             ;   in Loop: Header=BB2_6245 Depth=4
	v_sub_nc_u32_e32 v58, v58, v117
	v_add_co_u32 v59, vcc_lo, v59, v40
	v_add_co_ci_u32_e64 v60, null, v60, v42, vcc_lo
	v_add_co_u32 v61, vcc_lo, v61, v40
	v_add_co_ci_u32_e64 v62, null, v62, v42, vcc_lo
	v_cmp_gt_i32_e32 vcc_lo, 16, v58
	v_add_co_u32 v66, s17, v45, v66
	v_add_co_ci_u32_e64 v67, null, v46, v67, s17
	v_sub_nc_u32_e32 v57, v57, v87
	s_or_b32 s74, vcc_lo, s74
	s_andn2_b32 exec_lo, exec_lo, s74
	s_cbranch_execnz .LBB2_6245
; %bb.6248:                             ;   in Loop: Header=BB2_6160 Depth=3
	s_inst_prefetch 0x2
	s_or_b32 exec_lo, exec_lo, s74
.LBB2_6249:                             ;   in Loop: Header=BB2_6160 Depth=3
	s_or_b32 exec_lo, exec_lo, s73
	v_and_b32_e32 v8, 15, v81
	v_cmp_lt_i32_e32 vcc_lo, 0, v57
	v_sub_nc_u32_e32 v9, v82, v8
	v_cndmask_b32_e32 v10, 0, v87, vcc_lo
	v_cndmask_b32_e64 v67, v82, v8, s16
	v_cndmask_b32_e64 v8, 0, v9, s16
	v_sub_nc_u32_e32 v9, v10, v57
	v_cmp_ne_u32_e32 vcc_lo, 0, v67
	v_add3_u32 v66, v83, v80, v8
	v_lshl_add_u32 v71, v9, 5, v71
	s_and_b32 s17, vcc_lo, exec_lo
.LBB2_6250:                             ;   in Loop: Header=BB2_6160 Depth=3
	s_or_b32 exec_lo, exec_lo, s19
	s_and_saveexec_b32 s22, s17
	s_cbranch_execz .LBB2_6261
.LBB2_6251:                             ;   in Loop: Header=BB2_6160 Depth=3
	v_ashrrev_i32_e32 v8, 31, v71
	v_ashrrev_i32_e32 v9, 31, v67
	s_mov_b32 s17, exec_lo
	v_lshrrev_b32_e32 v8, 27, v8
	v_add_nc_u32_sdwa v9, v67, v9 dst_sel:DWORD dst_unused:UNUSED_PAD src0_sel:DWORD src1_sel:BYTE_3
	v_add_nc_u32_e32 v8, v71, v8
	v_ashrrev_i32_e32 v82, 8, v9
	v_ashrrev_i32_e32 v80, 5, v8
	v_sub_nc_u32_e32 v81, v82, v80
	v_cmpx_lt_i32_e32 0, v81
	s_cbranch_execz .LBB2_6255
; %bb.6252:                             ;   in Loop: Header=BB2_6160 Depth=3
	v_and_b32_e32 v8, 0xffffffe0, v8
	v_lshlrev_b32_e32 v9, 8, v80
	v_add_co_u32 v58, vcc_lo, 0xe0, v13
	v_add_co_ci_u32_e64 v59, null, 0, v14, vcc_lo
	v_sub_nc_u32_e32 v8, v71, v8
	s_mov_b32 s18, 0
	v_add3_u32 v83, v66, v8, v9
	v_ashrrev_i32_e32 v57, 31, v83
	v_add_co_u32 v8, vcc_lo, v83, v54
	v_add_co_ci_u32_e64 v9, null, v57, v55, vcc_lo
	v_add_co_u32 v10, vcc_lo, v83, v64
	v_add_co_ci_u32_e64 v11, null, v57, v65, vcc_lo
	;; [unrolled: 2-line block ×3, first 2 shown]
.LBB2_6253:                             ;   Parent Loop BB2_47 Depth=1
                                        ;     Parent Loop BB2_6157 Depth=2
                                        ;       Parent Loop BB2_6160 Depth=3
                                        ; =>      This Inner Loop Header: Depth=4
	v_add_co_u32 v57, vcc_lo, 0xffffff20, v64
	v_add_co_ci_u32_e64 v58, null, -1, v65, vcc_lo
	v_add_co_u32 v59, vcc_lo, 0xffffff40, v64
	v_add_co_ci_u32_e64 v60, null, -1, v65, vcc_lo
	;; [unrolled: 2-line block ×7, first 2 shown]
	flat_load_ubyte v83, v[64:65] slc
	flat_load_ubyte v57, v[57:58] slc
	;; [unrolled: 1-line block ×8, first 2 shown]
	v_sub_nc_u32_e32 v81, v81, v87
	v_add_co_u32 v64, vcc_lo, v64, v118
	v_add_co_ci_u32_e64 v65, null, 0, v65, vcc_lo
	v_cmp_gt_i32_e32 vcc_lo, 1, v81
	s_waitcnt vmcnt(7) lgkmcnt(7)
	flat_store_byte v[8:9], v83 offset:224 glc slc
	s_waitcnt vmcnt(6) lgkmcnt(7)
	flat_store_byte v[8:9], v57 glc slc
	s_waitcnt vmcnt(5) lgkmcnt(7)
	flat_store_byte v[8:9], v58 offset:32 glc slc
	s_waitcnt vmcnt(4) lgkmcnt(7)
	flat_store_byte v[8:9], v59 offset:64 glc slc
	;; [unrolled: 2-line block ×6, first 2 shown]
	flat_store_byte v[10:11], v57 glc slc
	flat_store_byte v[10:11], v58 offset:32 glc slc
	flat_store_byte v[10:11], v59 offset:64 glc slc
	;; [unrolled: 1-line block ×7, first 2 shown]
	v_add_co_u32 v8, s16, v8, v118
	v_add_co_ci_u32_e64 v9, null, 0, v9, s16
	v_add_co_u32 v10, s16, v10, v118
	v_add_co_ci_u32_e64 v11, null, 0, v11, s16
	s_or_b32 s18, vcc_lo, s18
	s_andn2_b32 exec_lo, exec_lo, s18
	s_cbranch_execnz .LBB2_6253
; %bb.6254:                             ;   in Loop: Header=BB2_6160 Depth=3
	s_or_b32 exec_lo, exec_lo, s18
.LBB2_6255:                             ;   in Loop: Header=BB2_6160 Depth=3
	s_or_b32 exec_lo, exec_lo, s17
	v_lshlrev_b32_e32 v8, 8, v82
	v_cmp_ne_u32_e32 vcc_lo, v67, v8
	s_and_b32 exec_lo, exec_lo, vcc_lo
	s_cbranch_execz .LBB2_6261
; %bb.6256:                             ;   in Loop: Header=BB2_6160 Depth=3
	v_lshlrev_b32_e32 v9, 5, v80
	v_lshlrev_b32_e32 v10, 5, v81
	v_sub_nc_u32_e32 v9, v71, v9
	v_sub_nc_u32_e32 v9, v9, v10
	v_add_nc_u32_e32 v8, v8, v9
	v_sub_nc_u32_e32 v10, v67, v8
	v_cmp_lt_i32_e32 vcc_lo, 0, v10
	s_and_b32 exec_lo, exec_lo, vcc_lo
	s_cbranch_execz .LBB2_6261
; %bb.6257:                             ;   in Loop: Header=BB2_6160 Depth=3
	s_trap 2
	ds_read_b64 v[64:65], v0
	ds_read_b128 v[80:83], v0
	v_add_nc_u32_e32 v66, v8, v66
	s_mov_b32 s23, 0
	v_ashrrev_i32_e32 v67, 31, v66
	s_waitcnt lgkmcnt(1)
	v_add_co_u32 v8, vcc_lo, v64, v66
	v_add_co_ci_u32_e64 v9, null, v65, v67, vcc_lo
	s_waitcnt lgkmcnt(0)
	v_add_co_u32 v11, vcc_lo, v80, v66
	v_add_co_ci_u32_e64 v64, null, v81, v67, vcc_lo
	v_add_co_u32 v65, vcc_lo, v82, v66
	v_add_co_ci_u32_e64 v66, null, v83, v67, vcc_lo
	s_inst_prefetch 0x1
	.p2align	6
.LBB2_6258:                             ;   Parent Loop BB2_47 Depth=1
                                        ;     Parent Loop BB2_6157 Depth=2
                                        ;       Parent Loop BB2_6160 Depth=3
                                        ; =>      This Loop Header: Depth=4
                                        ;           Child Loop BB2_6259 Depth 5
	flat_load_ubyte v67, v[8:9] slc
	s_mov_b64 s[18:19], 0
	s_mov_b32 s73, -1
	.p2align	6
.LBB2_6259:                             ;   Parent Loop BB2_47 Depth=1
                                        ;     Parent Loop BB2_6157 Depth=2
                                        ;       Parent Loop BB2_6160 Depth=3
                                        ;         Parent Loop BB2_6258 Depth=4
                                        ; =>        This Inner Loop Header: Depth=5
	s_cmp_eq_u32 s18, 1
	s_cselect_b32 vcc_lo, -1, 0
	s_cmp_eq_u32 s18, 0
	v_cndmask_b32_e32 v80, v11, v65, vcc_lo
	v_cndmask_b32_e32 v81, v64, v66, vcc_lo
	s_mov_b64 s[18:19], 1
	v_add_co_u32 v71, s16, v80, 32
	v_add_co_ci_u32_e64 v82, null, 0, v81, s16
	s_cselect_b32 s16, -1, 0
	v_cndmask_b32_e32 v65, v65, v71, vcc_lo
	v_cndmask_b32_e64 v11, v11, v71, s16
	v_cndmask_b32_e32 v66, v66, v82, vcc_lo
	v_cndmask_b32_e64 v64, v64, v82, s16
	s_and_b32 s17, exec_lo, s73
	s_mov_b32 s73, 0
	s_mov_b32 vcc_lo, s17
	s_waitcnt vmcnt(0) lgkmcnt(0)
	flat_store_byte v[80:81], v67 glc slc
	s_cbranch_vccnz .LBB2_6259
; %bb.6260:                             ;   in Loop: Header=BB2_6258 Depth=4
	v_sub_nc_u32_e32 v10, v10, v98
	v_add_co_u32 v11, vcc_lo, v11, v119
	v_add_co_ci_u32_e64 v64, null, v64, v41, vcc_lo
	v_add_co_u32 v65, vcc_lo, v65, v119
	v_add_co_ci_u32_e64 v66, null, v66, v41, vcc_lo
	v_cmp_gt_i32_e32 vcc_lo, 1, v10
	v_add_co_u32 v8, s16, v43, v8
	v_add_co_ci_u32_e64 v9, null, v44, v9, s16
	s_or_b32 s23, vcc_lo, s23
	s_andn2_b32 exec_lo, exec_lo, s23
	s_cbranch_execnz .LBB2_6258
.LBB2_6261:                             ;   in Loop: Header=BB2_6160 Depth=3
	s_inst_prefetch 0x2
	s_or_b32 exec_lo, exec_lo, s22
	s_mov_b32 s16, 0
.LBB2_6262:                             ;   in Loop: Header=BB2_6160 Depth=3
	s_and_b32 vcc_lo, exec_lo, s16
	s_cbranch_vccz .LBB2_6289
; %bb.6263:                             ;   in Loop: Header=BB2_6160 Depth=3
	s_mov_b32 s16, -1
	s_and_saveexec_b32 s17, s13
	s_cbranch_execz .LBB2_6265
; %bb.6264:                             ;   in Loop: Header=BB2_6160 Depth=3
	ds_read_b32 v8, v0 offset:720
	s_waitcnt lgkmcnt(0)
	v_and_b32_e32 v8, 15, v8
	v_cmp_eq_u32_e32 vcc_lo, 0, v8
	s_orn2_b32 s16, vcc_lo, exec_lo
.LBB2_6265:                             ;   in Loop: Header=BB2_6160 Depth=3
	s_or_b32 exec_lo, exec_lo, s17
	s_and_saveexec_b32 s17, s12
	s_cbranch_execz .LBB2_6267
; %bb.6266:                             ;   in Loop: Header=BB2_6160 Depth=3
	ds_read_b32 v8, v0 offset:784
	s_waitcnt lgkmcnt(0)
	v_and_b32_e32 v8, 15, v8
	v_cmp_eq_u32_e32 vcc_lo, 0, v8
	s_and_b32 s18, s16, vcc_lo
	s_andn2_b32 s16, s16, exec_lo
	s_and_b32 s18, s18, exec_lo
	s_or_b32 s16, s16, s18
.LBB2_6267:                             ;   in Loop: Header=BB2_6160 Depth=3
	s_or_b32 exec_lo, exec_lo, s17
	s_xor_b32 s16, s16, -1
	v_mov_b32_e32 v10, 0
	v_cndmask_b32_e64 v8, 0, 1, s16
	v_mov_b32_e32 v9, v0
	s_mov_b32 s16, -1
	v_cmp_ne_u32_e32 vcc_lo, 0, v8
	v_mov_b32_e32 v8, v70
	s_cbranch_vccz .LBB2_6269
; %bb.6268:                             ;   in Loop: Header=BB2_6160 Depth=3
	s_and_saveexec_b32 s17, s16
	s_cbranch_execnz .LBB2_6280
	s_branch .LBB2_6288
.LBB2_6269:                             ;   in Loop: Header=BB2_6160 Depth=3
	v_ashrrev_i32_e32 v8, 31, v70
	s_mov_b32 s17, exec_lo
	v_lshrrev_b32_e32 v8, 22, v8
	v_add_nc_u32_e32 v8, v70, v8
	v_ashrrev_i32_e32 v10, 10, v8
	v_sub_nc_u32_e32 v64, v10, v97
	v_cmpx_lt_i32_e32 0, v64
	s_cbranch_execz .LBB2_6273
; %bb.6270:                             ;   in Loop: Header=BB2_6160 Depth=3
	v_mov_b32_e32 v8, v38
	v_mov_b32_e32 v9, v39
	s_mov_b32 s18, 0
	.p2align	6
.LBB2_6271:                             ;   Parent Loop BB2_47 Depth=1
                                        ;     Parent Loop BB2_6157 Depth=2
                                        ;       Parent Loop BB2_6160 Depth=3
                                        ; =>      This Inner Loop Header: Depth=4
	v_add_co_u32 v65, vcc_lo, v13, v8
	v_add_co_ci_u32_e64 v66, null, v14, v9, vcc_lo
	v_sub_nc_u32_e32 v64, v64, v87
	s_clause 0x1
	global_load_dwordx4 v[80:83], v[65:66], off slc
	global_load_dwordx4 v[57:60], v[65:66], off offset:512 slc
	v_add_co_u32 v65, vcc_lo, v54, v8
	v_add_co_ci_u32_e64 v66, null, v55, v9, vcc_lo
	v_cmp_gt_i32_e32 vcc_lo, 1, v64
	v_add_co_u32 v8, s16, v8, v116
	v_add_co_ci_u32_e64 v9, null, 0, v9, s16
	s_or_b32 s18, vcc_lo, s18
	s_waitcnt vmcnt(1)
	global_store_dwordx4 v[65:66], v[80:83], off glc slc
	s_waitcnt vmcnt(0)
	global_store_dwordx4 v[65:66], v[57:60], off offset:512 glc slc
	s_andn2_b32 exec_lo, exec_lo, s18
	s_cbranch_execnz .LBB2_6271
; %bb.6272:                             ;   in Loop: Header=BB2_6160 Depth=3
	s_or_b32 exec_lo, exec_lo, s18
.LBB2_6273:                             ;   in Loop: Header=BB2_6160 Depth=3
	s_or_b32 exec_lo, exec_lo, s17
	v_lshlrev_b32_e32 v11, 10, v10
	v_mov_b32_e32 v10, 0
	s_mov_b32 s16, 0
	s_mov_b32 s18, exec_lo
                                        ; implicit-def: $vgpr8
                                        ; implicit-def: $vgpr9
	v_cmpx_ne_u32_e64 v70, v11
	s_cbranch_execz .LBB2_6279
; %bb.6274:                             ;   in Loop: Header=BB2_6160 Depth=3
	v_lshlrev_b32_e32 v8, 5, v64
	v_sub_nc_u32_e32 v64, v70, v11
	s_mov_b32 s19, exec_lo
	v_sub_nc_u32_e32 v8, v96, v8
	v_ashrrev_i32_e32 v10, 31, v64
	v_ashrrev_i32_e32 v9, 31, v8
	v_lshrrev_b32_e32 v9, 27, v9
	v_add_nc_u32_e32 v65, v8, v9
	v_lshrrev_b32_e32 v9, 23, v10
	v_and_b32_e32 v10, 0xffffffe0, v65
	v_add_nc_u32_e32 v66, v64, v9
	v_ashrrev_i32_e32 v67, 5, v65
	v_sub_nc_u32_e32 v9, v8, v10
	v_and_b32_e32 v10, 0xfffffe00, v66
	v_ashrrev_i32_e32 v71, 9, v66
	v_lshlrev_b32_e32 v65, 4, v9
	v_sub_nc_u32_e32 v8, v64, v10
	v_lshl_add_u32 v66, v67, 9, v65
	v_cmp_lt_i32_e32 vcc_lo, 15, v8
	v_sub_nc_u32_e32 v65, v64, v66
	v_add_co_ci_u32_e64 v71, null, 0, v71, vcc_lo
	v_sub_nc_u32_e32 v64, v71, v67
	v_cmpx_lt_i32_e32 15, v65
	s_cbranch_execz .LBB2_6278
; %bb.6275:                             ;   in Loop: Header=BB2_6160 Depth=3
	v_add_nc_u32_e32 v66, v66, v11
	s_mov_b32 s22, 0
	v_ashrrev_i32_e32 v67, 31, v66
	.p2align	6
.LBB2_6276:                             ;   Parent Loop BB2_47 Depth=1
                                        ;     Parent Loop BB2_6157 Depth=2
                                        ;       Parent Loop BB2_6160 Depth=3
                                        ; =>      This Inner Loop Header: Depth=4
	v_add_co_u32 v80, s16, v13, v66
	v_add_co_ci_u32_e64 v81, null, v14, v67, s16
	v_sub_nc_u32_e32 v65, v65, v117
	v_add_co_u32 v57, s16, v54, v66
	global_load_dwordx4 v[80:83], v[80:81], off slc
	v_add_co_ci_u32_e64 v58, null, v55, v67, s16
	v_cmp_gt_i32_e64 s16, 16, v65
	v_add_co_u32 v66, s17, v66, v117
	v_sub_nc_u32_e32 v64, v64, v87
	v_add_co_ci_u32_e64 v67, null, 0, v67, s17
	s_or_b32 s22, s16, s22
	s_waitcnt vmcnt(0)
	global_store_dwordx4 v[57:58], v[80:83], off glc slc
	s_andn2_b32 exec_lo, exec_lo, s22
	s_cbranch_execnz .LBB2_6276
; %bb.6277:                             ;   in Loop: Header=BB2_6160 Depth=3
	s_or_b32 exec_lo, exec_lo, s22
.LBB2_6278:                             ;   in Loop: Header=BB2_6160 Depth=3
	s_or_b32 exec_lo, exec_lo, s19
	v_and_b32_e32 v65, 15, v70
	v_cmp_lt_i32_e64 s16, 0, v64
	v_sub_nc_u32_e32 v66, v8, v65
	v_cndmask_b32_e64 v67, 0, v87, s16
	v_cndmask_b32_e32 v8, v8, v65, vcc_lo
	v_cndmask_b32_e32 v65, 0, v66, vcc_lo
	v_sub_nc_u32_e32 v64, v67, v64
	v_cmp_ne_u32_e32 vcc_lo, 0, v8
	v_add3_u32 v10, v10, v11, v65
	v_lshl_add_u32 v9, v64, 5, v9
	s_and_b32 s16, vcc_lo, exec_lo
.LBB2_6279:                             ;   in Loop: Header=BB2_6160 Depth=3
	s_or_b32 exec_lo, exec_lo, s18
	s_and_saveexec_b32 s17, s16
	s_cbranch_execz .LBB2_6288
.LBB2_6280:                             ;   in Loop: Header=BB2_6160 Depth=3
	v_ashrrev_i32_e32 v11, 31, v9
	v_ashrrev_i32_e32 v64, 31, v8
	s_mov_b32 s16, exec_lo
	v_lshrrev_b32_e32 v11, 27, v11
	v_add_nc_u32_sdwa v64, v8, v64 dst_sel:DWORD dst_unused:UNUSED_PAD src0_sel:DWORD src1_sel:BYTE_3
	v_add_nc_u32_e32 v66, v9, v11
	v_ashrrev_i32_e32 v65, 8, v64
	v_ashrrev_i32_e32 v11, 5, v66
	v_sub_nc_u32_e32 v64, v65, v11
	v_cmpx_lt_i32_e32 0, v64
	s_cbranch_execz .LBB2_6284
; %bb.6281:                             ;   in Loop: Header=BB2_6160 Depth=3
	v_and_b32_e32 v66, 0xffffffe0, v66
	v_lshlrev_b32_e32 v67, 8, v11
	s_mov_b32 s18, 0
	v_sub_nc_u32_e32 v66, v9, v66
	v_add3_u32 v66, v10, v66, v67
	v_ashrrev_i32_e32 v67, 31, v66
.LBB2_6282:                             ;   Parent Loop BB2_47 Depth=1
                                        ;     Parent Loop BB2_6157 Depth=2
                                        ;       Parent Loop BB2_6160 Depth=3
                                        ; =>      This Inner Loop Header: Depth=4
	v_add_co_u32 v80, vcc_lo, v66, v13
	v_add_co_ci_u32_e64 v81, null, v67, v14, vcc_lo
	v_sub_nc_u32_e32 v64, v64, v87
	s_clause 0x7
	flat_load_ubyte v71, v[80:81] slc
	flat_load_ubyte v82, v[80:81] offset:32 slc
	flat_load_ubyte v83, v[80:81] offset:64 slc
	flat_load_ubyte v57, v[80:81] offset:96 slc
	flat_load_ubyte v58, v[80:81] offset:128 slc
	flat_load_ubyte v59, v[80:81] offset:160 slc
	flat_load_ubyte v60, v[80:81] offset:192 slc
	flat_load_ubyte v61, v[80:81] offset:224 slc
	v_add_co_u32 v80, vcc_lo, v66, v54
	v_add_co_ci_u32_e64 v81, null, v67, v55, vcc_lo
	v_add_co_u32 v13, vcc_lo, v13, v118
	v_add_co_ci_u32_e64 v14, null, 0, v14, vcc_lo
	;; [unrolled: 2-line block ×3, first 2 shown]
	v_cmp_gt_i32_e32 vcc_lo, 1, v64
	s_waitcnt vmcnt(7) lgkmcnt(7)
	flat_store_byte v[80:81], v71 glc slc
	s_waitcnt vmcnt(6) lgkmcnt(7)
	flat_store_byte v[80:81], v82 offset:32 glc slc
	s_waitcnt vmcnt(5) lgkmcnt(7)
	flat_store_byte v[80:81], v83 offset:64 glc slc
	;; [unrolled: 2-line block ×7, first 2 shown]
	s_or_b32 s18, vcc_lo, s18
	s_andn2_b32 exec_lo, exec_lo, s18
	s_cbranch_execnz .LBB2_6282
; %bb.6283:                             ;   in Loop: Header=BB2_6160 Depth=3
	s_or_b32 exec_lo, exec_lo, s18
.LBB2_6284:                             ;   in Loop: Header=BB2_6160 Depth=3
	s_or_b32 exec_lo, exec_lo, s16
	v_lshlrev_b32_e32 v13, 8, v65
	v_cmp_ne_u32_e32 vcc_lo, v8, v13
	s_and_b32 exec_lo, exec_lo, vcc_lo
	s_cbranch_execz .LBB2_6288
; %bb.6285:                             ;   in Loop: Header=BB2_6160 Depth=3
	v_lshlrev_b32_e32 v11, 5, v11
	v_sub_nc_u32_e32 v9, v9, v11
	v_lshlrev_b32_e32 v11, 5, v64
	v_sub_nc_u32_e32 v9, v9, v11
	v_add_nc_u32_e32 v13, v13, v9
	v_sub_nc_u32_e32 v11, v8, v13
	v_cmp_lt_i32_e32 vcc_lo, 0, v11
	s_and_b32 exec_lo, exec_lo, vcc_lo
	s_cbranch_execz .LBB2_6288
; %bb.6286:                             ;   in Loop: Header=BB2_6160 Depth=3
	s_trap 2
	ds_read_b64 v[8:9], v0
	v_add_nc_u32_e32 v10, v13, v10
	s_mov_b32 s18, 0
	v_ashrrev_i32_e32 v13, 31, v10
	.p2align	6
.LBB2_6287:                             ;   Parent Loop BB2_47 Depth=1
                                        ;     Parent Loop BB2_6157 Depth=2
                                        ;       Parent Loop BB2_6160 Depth=3
                                        ; =>      This Inner Loop Header: Depth=4
	s_waitcnt lgkmcnt(0)
	v_add_co_u32 v54, vcc_lo, v8, v10
	v_add_co_ci_u32_e64 v55, null, v9, v13, vcc_lo
	v_sub_nc_u32_e32 v11, v11, v98
	v_add_co_u32 v10, s16, v10, v98
	flat_load_ubyte v14, v[54:55] slc
	v_add_co_ci_u32_e64 v13, null, 0, v13, s16
	v_cmp_gt_i32_e32 vcc_lo, 1, v11
	s_or_b32 s18, vcc_lo, s18
	s_waitcnt vmcnt(0) lgkmcnt(0)
	flat_store_byte v[54:55], v14 glc slc
	s_andn2_b32 exec_lo, exec_lo, s18
	s_cbranch_execnz .LBB2_6287
.LBB2_6288:                             ;   in Loop: Header=BB2_6160 Depth=3
	s_or_b32 exec_lo, exec_lo, s17
.LBB2_6289:                             ;   in Loop: Header=BB2_6160 Depth=3
	v_cmp_lt_i32_e64 s16, 0, v70
	s_and_saveexec_b32 s17, s6
	s_cbranch_execz .LBB2_6308
.LBB2_6290:                             ;   in Loop: Header=BB2_6160 Depth=3
	s_and_saveexec_b32 s18, s29
	s_xor_b32 s18, exec_lo, s18
	s_cbranch_execz .LBB2_6305
; %bb.6291:                             ;   in Loop: Header=BB2_6160 Depth=3
	s_and_saveexec_b32 s19, s11
	s_cbranch_execz .LBB2_6304
; %bb.6292:                             ;   in Loop: Header=BB2_6160 Depth=3
	s_mov_b32 s23, exec_lo
	s_mov_b32 s22, exec_lo
	v_mbcnt_lo_u32_b32 v8, s23, 0
	s_waitcnt vmcnt(0) lgkmcnt(0)
	s_waitcnt_vscnt null, 0x0
	buffer_gl1_inv
	buffer_gl0_inv
	v_cmpx_eq_u32_e32 0, v8
	s_cbranch_execz .LBB2_6294
; %bb.6293:                             ;   in Loop: Header=BB2_6160 Depth=3
	s_bcnt1_i32_b32 s23, s23
	v_mov_b32_e32 v9, v2
	v_mov_b32_e32 v8, s23
	ds_add_u64 v0, v[8:9]
	s_trap 2
.LBB2_6294:                             ;   in Loop: Header=BB2_6160 Depth=3
	s_or_b32 exec_lo, exec_lo, s22
	s_trap 2
	ds_read_b64 v[8:9], v0
	s_waitcnt lgkmcnt(0)
	buffer_gl0_inv
	v_add_co_u32 v28, vcc_lo, v28, v87
	v_add_co_ci_u32_e64 v29, null, 0, v29, vcc_lo
	s_mov_b32 s22, exec_lo
	v_cmpx_lt_u64_e64 v[8:9], v[28:29]
	s_cbranch_execz .LBB2_6303
; %bb.6295:                             ;   in Loop: Header=BB2_6160 Depth=3
	s_mov_b32 s23, 0
	s_mov_b32 s75, 0
                                        ; implicit-def: $sgpr73
                                        ; implicit-def: $sgpr74
	s_inst_prefetch 0x1
	s_branch .LBB2_6297
	.p2align	6
.LBB2_6296:                             ;   in Loop: Header=BB2_6297 Depth=4
	s_or_b32 exec_lo, exec_lo, s77
	s_and_b32 s76, exec_lo, s78
	s_or_b32 s23, s76, s23
	s_andn2_b32 s73, s73, exec_lo
	s_and_b32 s76, s74, exec_lo
	s_or_b32 s73, s73, s76
	s_andn2_b32 exec_lo, exec_lo, s23
	s_cbranch_execz .LBB2_6301
.LBB2_6297:                             ;   Parent Loop BB2_47 Depth=1
                                        ;     Parent Loop BB2_6157 Depth=2
                                        ;       Parent Loop BB2_6160 Depth=3
                                        ; =>      This Inner Loop Header: Depth=4
	s_add_i32 s75, s75, 1
	s_cmpk_lg_i32 s75, 0x2710
	s_cselect_b32 s76, -1, 0
	s_and_b32 vcc_lo, exec_lo, s76
	s_cbranch_vccz .LBB2_6299
; %bb.6298:                             ;   in Loop: Header=BB2_6297 Depth=4
	s_mov_b32 s78, -1
	s_or_b32 s74, s74, exec_lo
	s_and_saveexec_b32 s77, s76
	s_cbranch_execz .LBB2_6296
	s_branch .LBB2_6300
	.p2align	6
.LBB2_6299:                             ;   in Loop: Header=BB2_6297 Depth=4
	s_trap 2
	ds_read_b64 v[8:9], v0
	s_andn2_b32 s76, s76, exec_lo
	s_mov_b32 s75, 0
	s_waitcnt lgkmcnt(0)
	flat_load_dword v8, v[8:9] glc dlc
	s_waitcnt vmcnt(0) lgkmcnt(0)
	buffer_gl1_inv
	buffer_gl0_inv
	v_cmp_eq_u32_e32 vcc_lo, 0, v8
	s_and_b32 s77, vcc_lo, exec_lo
	s_or_b32 s76, s76, s77
	s_mov_b32 s78, -1
	s_or_b32 s74, s74, exec_lo
	s_and_saveexec_b32 s77, s76
	s_cbranch_execz .LBB2_6296
.LBB2_6300:                             ;   in Loop: Header=BB2_6297 Depth=4
	s_sleep 1
	s_trap 2
	ds_read_b64 v[8:9], v0
	s_waitcnt lgkmcnt(0)
	buffer_gl0_inv
	s_andn2_b32 s74, s74, exec_lo
	v_cmp_ge_u64_e32 vcc_lo, v[8:9], v[28:29]
	s_orn2_b32 s78, vcc_lo, exec_lo
	s_branch .LBB2_6296
.LBB2_6301:                             ;   in Loop: Header=BB2_6160 Depth=3
	s_inst_prefetch 0x2
	s_or_b32 exec_lo, exec_lo, s23
	s_and_saveexec_b32 s23, s73
	s_xor_b32 s23, exec_lo, s23
	s_cbranch_execz .LBB2_6303
; %bb.6302:                             ;   in Loop: Header=BB2_6160 Depth=3
	ds_write_b32 v0, v100
	s_trap 2
.LBB2_6303:                             ;   in Loop: Header=BB2_6160 Depth=3
	s_or_b32 exec_lo, exec_lo, s22
	;;#ASMSTART
	s_wakeup
	;;#ASMEND
.LBB2_6304:                             ;   in Loop: Header=BB2_6160 Depth=3
	s_or_b32 exec_lo, exec_lo, s19
.LBB2_6305:                             ;   in Loop: Header=BB2_6160 Depth=3
	s_andn2_saveexec_b32 s18, s18
	s_cbranch_execz .LBB2_6307
; %bb.6306:                             ;   in Loop: Header=BB2_6160 Depth=3
	s_waitcnt vmcnt(0) lgkmcnt(0)
	s_waitcnt_vscnt null, 0x0
	buffer_gl1_inv
	buffer_gl0_inv
	s_barrier
.LBB2_6307:                             ;   in Loop: Header=BB2_6160 Depth=3
	s_or_b32 exec_lo, exec_lo, s18
.LBB2_6308:                             ;   in Loop: Header=BB2_6160 Depth=3
	s_or_b32 exec_lo, exec_lo, s17
	v_and_b32_e32 v8, 16, v84
	s_and_saveexec_b32 s17, s15
	s_xor_b32 s17, exec_lo, s17
	s_cbranch_execz .LBB2_6312
; %bb.6309:                             ;   in Loop: Header=BB2_6160 Depth=3
	v_and_b32_e32 v8, 16, v84
	v_cmp_ne_u32_e32 vcc_lo, 0, v8
	v_and_b32_e32 v8, 16, v84
	s_and_b32 s18, vcc_lo, s16
	s_and_saveexec_b32 s16, s18
	s_cbranch_execz .LBB2_6311
; %bb.6310:                             ;   in Loop: Header=BB2_6160 Depth=3
	v_mov_b32_e32 v8, 1
	s_waitcnt vmcnt(0) lgkmcnt(0)
	s_waitcnt_vscnt null, 0x0
	buffer_gl1_inv
	buffer_gl0_inv
.LBB2_6311:                             ;   in Loop: Header=BB2_6160 Depth=3
	s_or_b32 exec_lo, exec_lo, s16
.LBB2_6312:                             ;   in Loop: Header=BB2_6160 Depth=3
	s_andn2_saveexec_b32 s16, s17
	s_cbranch_execz .LBB2_6331
; %bb.6313:                             ;   in Loop: Header=BB2_6160 Depth=3
	s_and_saveexec_b32 s17, s29
	s_xor_b32 s17, exec_lo, s17
	s_cbranch_execz .LBB2_6328
; %bb.6314:                             ;   in Loop: Header=BB2_6160 Depth=3
	s_and_saveexec_b32 s18, s11
	s_cbranch_execz .LBB2_6327
; %bb.6315:                             ;   in Loop: Header=BB2_6160 Depth=3
	s_mov_b32 s22, exec_lo
	s_mov_b32 s19, exec_lo
	v_mbcnt_lo_u32_b32 v9, s22, 0
	;;#ASMSTART
	s_waitcnt lgkmcnt(0) vmcnt(0)
	;;#ASMEND
	v_cmpx_eq_u32_e32 0, v9
	s_cbranch_execz .LBB2_6317
; %bb.6316:                             ;   in Loop: Header=BB2_6160 Depth=3
	s_bcnt1_i32_b32 s22, s22
	v_mov_b32_e32 v10, v2
	v_mov_b32_e32 v9, s22
	s_waitcnt vmcnt(0) lgkmcnt(0)
	s_waitcnt_vscnt null, 0x0
	ds_add_u64 v0, v[9:10]
	s_trap 2
.LBB2_6317:                             ;   in Loop: Header=BB2_6160 Depth=3
	s_or_b32 exec_lo, exec_lo, s19
	s_trap 2
	ds_read_b64 v[9:10], v0
	s_waitcnt vmcnt(0) lgkmcnt(0)
	buffer_gl0_inv
	v_add_co_u32 v28, vcc_lo, v28, v87
	v_add_co_ci_u32_e64 v29, null, 0, v29, vcc_lo
	s_mov_b32 s19, exec_lo
	v_cmpx_lt_u64_e64 v[9:10], v[28:29]
	s_cbranch_execz .LBB2_6326
; %bb.6318:                             ;   in Loop: Header=BB2_6160 Depth=3
	s_mov_b32 s22, 0
	s_mov_b32 s74, 0
                                        ; implicit-def: $sgpr23
                                        ; implicit-def: $sgpr73
	s_inst_prefetch 0x1
	s_branch .LBB2_6320
	.p2align	6
.LBB2_6319:                             ;   in Loop: Header=BB2_6320 Depth=4
	s_or_b32 exec_lo, exec_lo, s76
	s_and_b32 s75, exec_lo, s77
	s_or_b32 s22, s75, s22
	s_andn2_b32 s23, s23, exec_lo
	s_and_b32 s75, s73, exec_lo
	s_or_b32 s23, s23, s75
	s_andn2_b32 exec_lo, exec_lo, s22
	s_cbranch_execz .LBB2_6324
.LBB2_6320:                             ;   Parent Loop BB2_47 Depth=1
                                        ;     Parent Loop BB2_6157 Depth=2
                                        ;       Parent Loop BB2_6160 Depth=3
                                        ; =>      This Inner Loop Header: Depth=4
	s_add_i32 s74, s74, 1
	s_cmpk_lg_i32 s74, 0x2710
	s_cselect_b32 s75, -1, 0
	s_and_b32 vcc_lo, exec_lo, s75
	s_cbranch_vccz .LBB2_6322
; %bb.6321:                             ;   in Loop: Header=BB2_6320 Depth=4
	s_mov_b32 s77, -1
	s_or_b32 s73, s73, exec_lo
	s_and_saveexec_b32 s76, s75
	s_cbranch_execz .LBB2_6319
	s_branch .LBB2_6323
	.p2align	6
.LBB2_6322:                             ;   in Loop: Header=BB2_6320 Depth=4
	s_trap 2
	ds_read_b64 v[9:10], v0
	s_andn2_b32 s75, s75, exec_lo
	s_mov_b32 s74, 0
	s_waitcnt lgkmcnt(0)
	s_waitcnt_vscnt null, 0x0
	flat_load_dword v9, v[9:10] glc dlc
	s_waitcnt vmcnt(0) lgkmcnt(0)
	buffer_gl1_inv
	buffer_gl0_inv
	v_cmp_eq_u32_e32 vcc_lo, 0, v9
	s_and_b32 s76, vcc_lo, exec_lo
	s_or_b32 s75, s75, s76
	s_mov_b32 s77, -1
	s_or_b32 s73, s73, exec_lo
	s_and_saveexec_b32 s76, s75
	s_cbranch_execz .LBB2_6319
.LBB2_6323:                             ;   in Loop: Header=BB2_6320 Depth=4
	s_sleep 1
	s_trap 2
	ds_read_b64 v[9:10], v0
	s_waitcnt lgkmcnt(0)
	buffer_gl0_inv
	s_andn2_b32 s73, s73, exec_lo
	v_cmp_ge_u64_e32 vcc_lo, v[9:10], v[28:29]
	s_orn2_b32 s77, vcc_lo, exec_lo
	s_branch .LBB2_6319
.LBB2_6324:                             ;   in Loop: Header=BB2_6160 Depth=3
	s_inst_prefetch 0x2
	s_or_b32 exec_lo, exec_lo, s22
	s_and_saveexec_b32 s22, s23
	s_xor_b32 s22, exec_lo, s22
	s_cbranch_execz .LBB2_6326
; %bb.6325:                             ;   in Loop: Header=BB2_6160 Depth=3
	ds_write_b32 v0, v100
	s_trap 2
.LBB2_6326:                             ;   in Loop: Header=BB2_6160 Depth=3
	s_or_b32 exec_lo, exec_lo, s19
	;;#ASMSTART
	s_wakeup
	;;#ASMEND
.LBB2_6327:                             ;   in Loop: Header=BB2_6160 Depth=3
	s_or_b32 exec_lo, exec_lo, s18
.LBB2_6328:                             ;   in Loop: Header=BB2_6160 Depth=3
	s_andn2_saveexec_b32 s17, s17
	s_cbranch_execz .LBB2_6330
; %bb.6329:                             ;   in Loop: Header=BB2_6160 Depth=3
	;;#ASMSTART
	s_waitcnt lgkmcnt(0) vmcnt(0)
	;;#ASMEND
	s_barrier
.LBB2_6330:                             ;   in Loop: Header=BB2_6160 Depth=3
	s_or_b32 exec_lo, exec_lo, s17
.LBB2_6331:                             ;   in Loop: Header=BB2_6160 Depth=3
	s_or_b32 exec_lo, exec_lo, s16
	v_cmp_ne_u32_e32 vcc_lo, 0, v8
	s_xor_b32 s16, s7, -1
	s_and_b32 s17, vcc_lo, s16
	s_and_saveexec_b32 s16, s17
	s_cbranch_execz .LBB2_6333
; %bb.6332:                             ;   in Loop: Header=BB2_6160 Depth=3
	s_waitcnt vmcnt(0) lgkmcnt(0)
	s_waitcnt_vscnt null, 0x0
	flat_store_dword v[26:27], v100
.LBB2_6333:                             ;   in Loop: Header=BB2_6160 Depth=3
	s_or_b32 exec_lo, exec_lo, s16
	v_and_b32_e32 v8, 48, v84
	s_mov_b32 s16, exec_lo
	v_cmpx_ne_u32_e32 0, v8
	s_cbranch_execz .LBB2_6159
; %bb.6334:                             ;   in Loop: Header=BB2_6160 Depth=3
	v_add_co_u32 v50, vcc_lo, v50, 2
	v_add_co_ci_u32_e64 v51, null, 0, v51, vcc_lo
	s_waitcnt vmcnt(0) lgkmcnt(0)
	s_waitcnt_vscnt null, 0x0
	flat_store_dwordx2 v[22:23], v[50:51]
	s_branch .LBB2_6159
.LBB2_6335:                             ;   in Loop: Header=BB2_6157 Depth=2
	s_or_b32 exec_lo, exec_lo, s62
.LBB2_6336:                             ;   in Loop: Header=BB2_6157 Depth=2
	s_or_b32 exec_lo, exec_lo, s61
	s_mov_b32 s17, exec_lo
	v_cmpx_gt_i32_e32 2, v10
	s_cbranch_execz .LBB2_6412
; %bb.6337:                             ;   in Loop: Header=BB2_6157 Depth=2
	v_cmp_eq_u32_e64 s19, 0, v10
	s_mov_b32 s18, 0
	s_branch .LBB2_6339
.LBB2_6338:                             ;   in Loop: Header=BB2_6339 Depth=3
	s_or_b32 exec_lo, exec_lo, s16
	v_add_nc_u32_e32 v15, v12, v15
	s_mov_b32 s19, 0
	s_andn2_b32 exec_lo, exec_lo, s18
	s_cbranch_execz .LBB2_6411
.LBB2_6339:                             ;   Parent Loop BB2_47 Depth=1
                                        ;     Parent Loop BB2_6157 Depth=2
                                        ; =>    This Loop Header: Depth=3
                                        ;         Child Loop BB2_6345 Depth 4
                                        ;         Child Loop BB2_6373 Depth 4
	;; [unrolled: 1-line block ×3, first 2 shown]
	v_sub_nc_u32_e32 v8, v3, v15
	v_and_b32_e32 v9, 12, v84
	s_mov_b32 s22, exec_lo
	v_min_i32_e32 v12, v12, v8
	v_cmpx_ne_u32_e32 0, v9
	s_cbranch_execz .LBB2_6365
; %bb.6340:                             ;   in Loop: Header=BB2_6339 Depth=3
	v_and_b32_e32 v54, 8, v84
	s_mov_b32 s23, exec_lo
	s_waitcnt vmcnt(0) lgkmcnt(1)
	v_add_co_u32 v10, vcc_lo, v32, v54
	v_add_co_ci_u32_e64 v11, null, 0, v33, vcc_lo
	v_add_co_u32 v8, vcc_lo, v50, 2
	v_add_co_ci_u32_e64 v9, null, 0, v51, vcc_lo
	v_cmpx_lt_u64_e64 v[10:11], v[8:9]
	s_cbranch_execz .LBB2_6352
; %bb.6341:                             ;   in Loop: Header=BB2_6339 Depth=3
	v_and_b32_e32 v10, 64, v84
	s_mov_b32 s61, 0
	s_mov_b32 s73, 0
                                        ; implicit-def: $sgpr62
                                        ; implicit-def: $sgpr63
                                        ; implicit-def: $sgpr72
	v_cmp_eq_u32_e32 vcc_lo, 0, v10
	s_branch .LBB2_6345
.LBB2_6342:                             ;   in Loop: Header=BB2_6345 Depth=4
	s_waitcnt vmcnt(0) lgkmcnt(0)
	v_add_co_u32 v13, s16, v32, v54
	v_add_co_ci_u32_e64 v14, null, 0, v33, s16
	s_or_b32 s76, s76, exec_lo
	v_cmp_ge_u64_e64 s16, v[13:14], v[8:9]
	s_orn2_b32 s75, s16, exec_lo
.LBB2_6343:                             ;   in Loop: Header=BB2_6345 Depth=4
	s_or_b32 exec_lo, exec_lo, s78
	s_andn2_b32 s16, s72, exec_lo
	s_and_b32 s72, s76, exec_lo
	s_andn2_b32 s63, s63, exec_lo
	s_and_b32 s75, s75, exec_lo
	s_or_b32 s72, s16, s72
	s_or_b32 s63, s63, s75
.LBB2_6344:                             ;   in Loop: Header=BB2_6345 Depth=4
	s_or_b32 exec_lo, exec_lo, s74
	s_and_b32 s16, exec_lo, s63
	s_or_b32 s61, s16, s61
	s_andn2_b32 s16, s62, exec_lo
	s_and_b32 s62, s72, exec_lo
	s_or_b32 s62, s16, s62
	s_andn2_b32 exec_lo, exec_lo, s61
	s_cbranch_execz .LBB2_6349
.LBB2_6345:                             ;   Parent Loop BB2_47 Depth=1
                                        ;     Parent Loop BB2_6157 Depth=2
                                        ;       Parent Loop BB2_6339 Depth=3
                                        ; =>      This Inner Loop Header: Depth=4
	s_sleep 1
	s_waitcnt vmcnt(0) lgkmcnt(0)
	flat_load_dwordx2 v[32:33], v[22:23] glc dlc
	s_or_b32 s72, s72, exec_lo
	s_or_b32 s63, s63, exec_lo
                                        ; implicit-def: $vgpr10
	s_and_saveexec_b32 s74, vcc_lo
	s_cbranch_execz .LBB2_6344
; %bb.6346:                             ;   in Loop: Header=BB2_6345 Depth=4
	s_cmpk_lt_i32 s73, 0x270f
	s_mov_b32 s75, -1
	s_cselect_b32 s77, -1, 0
	s_cmpk_gt_i32 s73, 0x270e
	s_cbranch_scc0 .LBB2_6348
; %bb.6347:                             ;   in Loop: Header=BB2_6345 Depth=4
	s_trap 2
	ds_read_b64 v[10:11], v0
	s_andn2_b32 s73, s77, exec_lo
	s_mov_b32 s76, 0
	s_waitcnt vmcnt(0) lgkmcnt(0)
	s_waitcnt_vscnt null, 0x0
	flat_load_dword v10, v[10:11] glc dlc
	s_waitcnt vmcnt(0) lgkmcnt(0)
	buffer_gl1_inv
	buffer_gl0_inv
	v_cmp_eq_u32_e64 s16, 0, v10
	s_and_b32 s16, s16, exec_lo
	s_or_b32 s77, s73, s16
	s_mov_b32 s73, 0
	s_and_saveexec_b32 s78, s77
	s_cbranch_execz .LBB2_6343
	s_branch .LBB2_6342
.LBB2_6348:                             ;   in Loop: Header=BB2_6345 Depth=4
	s_add_i32 s73, s73, 1
	s_mov_b32 s76, -1
                                        ; implicit-def: $vgpr10
	s_and_saveexec_b32 s78, s77
	s_cbranch_execz .LBB2_6343
	s_branch .LBB2_6342
.LBB2_6349:                             ;   in Loop: Header=BB2_6339 Depth=3
	s_or_b32 exec_lo, exec_lo, s61
	s_xor_b32 s16, s62, -1
	s_and_saveexec_b32 s61, s16
	s_xor_b32 s16, exec_lo, s61
	s_cbranch_execz .LBB2_6351
; %bb.6350:                             ;   in Loop: Header=BB2_6339 Depth=3
	v_or_b32_e32 v84, 64, v84
	s_waitcnt vmcnt(0) lgkmcnt(0)
	s_waitcnt_vscnt null, 0x0
	ds_write_b32 v0, v10
	s_trap 2
.LBB2_6351:                             ;   in Loop: Header=BB2_6339 Depth=3
	s_or_b32 exec_lo, exec_lo, s16
.LBB2_6352:                             ;   in Loop: Header=BB2_6339 Depth=3
	s_or_b32 exec_lo, exec_lo, s23
	v_and_b32_e32 v10, 0x108, v84
	;;#ASMSTART
	s_wakeup
	;;#ASMEND
	v_cmp_ne_u32_e32 vcc_lo, 0x108, v10
                                        ; implicit-def: $vgpr10_vgpr11
	s_and_saveexec_b32 s16, vcc_lo
	s_xor_b32 s16, exec_lo, s16
; %bb.6353:                             ;   in Loop: Header=BB2_6339 Depth=3
	v_and_b32_e32 v10, 7, v50
	v_mov_b32_e32 v11, v2
                                        ; implicit-def: $vgpr50_vgpr51
; %bb.6354:                             ;   in Loop: Header=BB2_6339 Depth=3
	s_andn2_saveexec_b32 s16, s16
	s_cbranch_execz .LBB2_6356
; %bb.6355:                             ;   in Loop: Header=BB2_6339 Depth=3
	v_and_b32_e32 v10, 7, v50
	v_ashrrev_i32_e32 v13, 31, v12
	v_mov_b32_e32 v11, v2
	v_mad_u64_u32 v[50:51], null, v10, 24, v[6:7]
	flat_store_dwordx2 v[50:51], v[12:13] offset:8
.LBB2_6356:                             ;   in Loop: Header=BB2_6339 Depth=3
	s_or_b32 exec_lo, exec_lo, s16
	v_and_b32_e32 v13, 0x100, v84
	s_mov_b32 s16, -1
	v_cmp_ne_u32_e32 vcc_lo, 0, v13
                                        ; implicit-def: $vgpr13_vgpr14
	s_and_saveexec_b32 s23, vcc_lo
	s_cbranch_execz .LBB2_6360
; %bb.6357:                             ;   in Loop: Header=BB2_6339 Depth=3
	v_mad_u64_u32 v[50:51], null, v10, 24, v[6:7]
	v_mov_b32_e32 v13, v51
	v_mad_u64_u32 v[13:14], null, v11, 24, v[13:14]
	v_mov_b32_e32 v51, v13
	flat_load_dword v13, v[50:51]
	s_waitcnt vmcnt(0) lgkmcnt(0)
	v_cmp_eq_u32_e64 s16, 1, v13
	v_cmp_ne_u32_e32 vcc_lo, 1, v13
                                        ; implicit-def: $vgpr13_vgpr14
	s_and_saveexec_b32 s61, s16
	s_cbranch_execz .LBB2_6359
; %bb.6358:                             ;   in Loop: Header=BB2_6339 Depth=3
	flat_load_dword v13, v[50:51] offset:4 glc dlc
	s_waitcnt vmcnt(0) lgkmcnt(0)
	v_ashrrev_i32_e32 v14, 31, v13
.LBB2_6359:                             ;   in Loop: Header=BB2_6339 Depth=3
	s_or_b32 exec_lo, exec_lo, s61
	s_orn2_b32 s16, vcc_lo, exec_lo
.LBB2_6360:                             ;   in Loop: Header=BB2_6339 Depth=3
	s_or_b32 exec_lo, exec_lo, s23
	s_and_saveexec_b32 s23, s16
; %bb.6361:                             ;   in Loop: Header=BB2_6339 Depth=3
	v_mul_lo_u32 v11, v11, v85
	v_mul_lo_u32 v50, v10, v86
	v_mad_u64_u32 v[13:14], null, v10, v85, 0
	v_add3_u32 v14, v14, v50, v11
; %bb.6362:                             ;   in Loop: Header=BB2_6339 Depth=3
	s_or_b32 exec_lo, exec_lo, s23
	v_cmp_eq_u32_e32 vcc_lo, 0, v54
	v_and_b32_e32 v51, 0x2000, v84
	s_mov_b32 s16, exec_lo
	v_cndmask_b32_e32 v50, 0xd0, v115, vcc_lo
	v_add_co_u32 v10, vcc_lo, v24, v13
	v_add_co_ci_u32_e64 v11, null, v25, v14, vcc_lo
	v_add_nc_u32_e32 v13, v0, v50
	ds_write_b64 v13, v[10:11] offset:584
	v_cmpx_ne_u32_e32 0, v51
	s_cbranch_execz .LBB2_6364
; %bb.6363:                             ;   in Loop: Header=BB2_6339 Depth=3
	ds_read_b64 v[10:11], v0 offset:872
	s_waitcnt lgkmcnt(0)
	v_add_co_u32 v10, vcc_lo, v10, 1
	v_add_co_ci_u32_e64 v11, null, 0, v11, vcc_lo
	ds_write_b64 v0, v[10:11] offset:872
.LBB2_6364:                             ;   in Loop: Header=BB2_6339 Depth=3
	s_or_b32 exec_lo, exec_lo, s16
	v_mov_b32_e32 v51, v9
	v_mov_b32_e32 v50, v8
.LBB2_6365:                             ;   in Loop: Header=BB2_6339 Depth=3
	s_or_b32 exec_lo, exec_lo, s22
	s_xor_b32 s16, s19, -1
	s_and_b32 s16, exec_lo, s16
	s_or_b32 s18, s16, s18
	s_and_saveexec_b32 s16, s6
	s_cbranch_execz .LBB2_6384
; %bb.6366:                             ;   in Loop: Header=BB2_6339 Depth=3
	s_and_saveexec_b32 s19, s29
	s_xor_b32 s19, exec_lo, s19
	s_cbranch_execz .LBB2_6381
; %bb.6367:                             ;   in Loop: Header=BB2_6339 Depth=3
	s_and_saveexec_b32 s22, s11
	s_cbranch_execz .LBB2_6380
; %bb.6368:                             ;   in Loop: Header=BB2_6339 Depth=3
	s_mov_b32 s61, exec_lo
	s_mov_b32 s23, exec_lo
	v_mbcnt_lo_u32_b32 v8, s61, 0
	s_waitcnt vmcnt(0) lgkmcnt(0)
	s_waitcnt_vscnt null, 0x0
	buffer_gl1_inv
	buffer_gl0_inv
	v_cmpx_eq_u32_e32 0, v8
	s_cbranch_execz .LBB2_6370
; %bb.6369:                             ;   in Loop: Header=BB2_6339 Depth=3
	s_bcnt1_i32_b32 s61, s61
	v_mov_b32_e32 v9, v2
	v_mov_b32_e32 v8, s61
	ds_add_u64 v0, v[8:9]
	s_trap 2
.LBB2_6370:                             ;   in Loop: Header=BB2_6339 Depth=3
	s_or_b32 exec_lo, exec_lo, s23
	s_trap 2
	ds_read_b64 v[8:9], v0
	s_waitcnt lgkmcnt(0)
	buffer_gl0_inv
	v_add_co_u32 v28, vcc_lo, v28, v87
	v_add_co_ci_u32_e64 v29, null, 0, v29, vcc_lo
	s_mov_b32 s23, exec_lo
	v_cmpx_lt_u64_e64 v[8:9], v[28:29]
	s_cbranch_execz .LBB2_6379
; %bb.6371:                             ;   in Loop: Header=BB2_6339 Depth=3
	s_mov_b32 s61, 0
	s_mov_b32 s72, 0
                                        ; implicit-def: $sgpr62
                                        ; implicit-def: $sgpr63
	s_inst_prefetch 0x1
	s_branch .LBB2_6373
	.p2align	6
.LBB2_6372:                             ;   in Loop: Header=BB2_6373 Depth=4
	s_or_b32 exec_lo, exec_lo, s74
	s_and_b32 s73, exec_lo, s75
	s_or_b32 s61, s73, s61
	s_andn2_b32 s62, s62, exec_lo
	s_and_b32 s73, s63, exec_lo
	s_or_b32 s62, s62, s73
	s_andn2_b32 exec_lo, exec_lo, s61
	s_cbranch_execz .LBB2_6377
.LBB2_6373:                             ;   Parent Loop BB2_47 Depth=1
                                        ;     Parent Loop BB2_6157 Depth=2
                                        ;       Parent Loop BB2_6339 Depth=3
                                        ; =>      This Inner Loop Header: Depth=4
	s_add_i32 s72, s72, 1
	s_cmpk_lg_i32 s72, 0x2710
	s_cselect_b32 s73, -1, 0
	s_and_b32 vcc_lo, exec_lo, s73
	s_cbranch_vccz .LBB2_6375
; %bb.6374:                             ;   in Loop: Header=BB2_6373 Depth=4
	s_mov_b32 s75, -1
	s_or_b32 s63, s63, exec_lo
	s_and_saveexec_b32 s74, s73
	s_cbranch_execz .LBB2_6372
	s_branch .LBB2_6376
	.p2align	6
.LBB2_6375:                             ;   in Loop: Header=BB2_6373 Depth=4
	s_trap 2
	ds_read_b64 v[8:9], v0
	s_andn2_b32 s73, s73, exec_lo
	s_mov_b32 s72, 0
	s_waitcnt lgkmcnt(0)
	flat_load_dword v8, v[8:9] glc dlc
	s_waitcnt vmcnt(0) lgkmcnt(0)
	buffer_gl1_inv
	buffer_gl0_inv
	v_cmp_eq_u32_e32 vcc_lo, 0, v8
	s_and_b32 s74, vcc_lo, exec_lo
	s_or_b32 s73, s73, s74
	s_mov_b32 s75, -1
	s_or_b32 s63, s63, exec_lo
	s_and_saveexec_b32 s74, s73
	s_cbranch_execz .LBB2_6372
.LBB2_6376:                             ;   in Loop: Header=BB2_6373 Depth=4
	s_sleep 1
	s_trap 2
	ds_read_b64 v[8:9], v0
	s_waitcnt lgkmcnt(0)
	buffer_gl0_inv
	s_andn2_b32 s63, s63, exec_lo
	v_cmp_ge_u64_e32 vcc_lo, v[8:9], v[28:29]
	s_orn2_b32 s75, vcc_lo, exec_lo
	s_branch .LBB2_6372
.LBB2_6377:                             ;   in Loop: Header=BB2_6339 Depth=3
	s_inst_prefetch 0x2
	s_or_b32 exec_lo, exec_lo, s61
	s_and_saveexec_b32 s61, s62
	s_xor_b32 s61, exec_lo, s61
	s_cbranch_execz .LBB2_6379
; %bb.6378:                             ;   in Loop: Header=BB2_6339 Depth=3
	ds_write_b32 v0, v100
	s_trap 2
.LBB2_6379:                             ;   in Loop: Header=BB2_6339 Depth=3
	s_or_b32 exec_lo, exec_lo, s23
	;;#ASMSTART
	s_wakeup
	;;#ASMEND
.LBB2_6380:                             ;   in Loop: Header=BB2_6339 Depth=3
	s_or_b32 exec_lo, exec_lo, s22
.LBB2_6381:                             ;   in Loop: Header=BB2_6339 Depth=3
	s_andn2_saveexec_b32 s19, s19
	s_cbranch_execz .LBB2_6383
; %bb.6382:                             ;   in Loop: Header=BB2_6339 Depth=3
	s_waitcnt vmcnt(0) lgkmcnt(0)
	s_waitcnt_vscnt null, 0x0
	buffer_gl1_inv
	buffer_gl0_inv
	s_barrier
.LBB2_6383:                             ;   in Loop: Header=BB2_6339 Depth=3
	s_or_b32 exec_lo, exec_lo, s19
.LBB2_6384:                             ;   in Loop: Header=BB2_6339 Depth=3
	s_or_b32 exec_lo, exec_lo, s16
	v_and_b32_e32 v8, 16, v84
	s_and_saveexec_b32 s16, s15
	s_xor_b32 s19, exec_lo, s16
	s_cbranch_execz .LBB2_6388
; %bb.6385:                             ;   in Loop: Header=BB2_6339 Depth=3
	s_trap 2
	ds_read_b32 v8, v0
	v_cmp_lt_i32_e32 vcc_lo, 0, v12
	s_waitcnt lgkmcnt(0)
	v_readfirstlane_b32 s16, v8
	v_and_b32_e32 v8, 16, v84
	s_cmp_eq_u32 s16, 0
	v_cmp_ne_u32_e64 s16, 0, v8
	s_cselect_b32 s22, -1, 0
	v_and_b32_e32 v8, 16, v84
	s_and_b32 s22, vcc_lo, s22
	s_and_b32 s22, s16, s22
	s_and_saveexec_b32 s16, s22
	s_cbranch_execz .LBB2_6387
; %bb.6386:                             ;   in Loop: Header=BB2_6339 Depth=3
	v_mov_b32_e32 v8, 1
	s_waitcnt vmcnt(0)
	s_waitcnt_vscnt null, 0x0
	buffer_gl1_inv
	buffer_gl0_inv
.LBB2_6387:                             ;   in Loop: Header=BB2_6339 Depth=3
	s_or_b32 exec_lo, exec_lo, s16
.LBB2_6388:                             ;   in Loop: Header=BB2_6339 Depth=3
	s_andn2_saveexec_b32 s16, s19
	s_cbranch_execz .LBB2_6407
; %bb.6389:                             ;   in Loop: Header=BB2_6339 Depth=3
	s_and_saveexec_b32 s19, s29
	s_xor_b32 s19, exec_lo, s19
	s_cbranch_execz .LBB2_6404
; %bb.6390:                             ;   in Loop: Header=BB2_6339 Depth=3
	s_and_saveexec_b32 s22, s11
	s_cbranch_execz .LBB2_6403
; %bb.6391:                             ;   in Loop: Header=BB2_6339 Depth=3
	s_mov_b32 s61, exec_lo
	s_mov_b32 s23, exec_lo
	v_mbcnt_lo_u32_b32 v9, s61, 0
	;;#ASMSTART
	s_waitcnt lgkmcnt(0) vmcnt(0)
	;;#ASMEND
	v_cmpx_eq_u32_e32 0, v9
	s_cbranch_execz .LBB2_6393
; %bb.6392:                             ;   in Loop: Header=BB2_6339 Depth=3
	s_bcnt1_i32_b32 s61, s61
	v_mov_b32_e32 v10, v2
	v_mov_b32_e32 v9, s61
	s_waitcnt vmcnt(0) lgkmcnt(0)
	s_waitcnt_vscnt null, 0x0
	ds_add_u64 v0, v[9:10]
	s_trap 2
.LBB2_6393:                             ;   in Loop: Header=BB2_6339 Depth=3
	s_or_b32 exec_lo, exec_lo, s23
	s_trap 2
	ds_read_b64 v[9:10], v0
	s_waitcnt vmcnt(0) lgkmcnt(0)
	buffer_gl0_inv
	v_add_co_u32 v28, vcc_lo, v28, v87
	v_add_co_ci_u32_e64 v29, null, 0, v29, vcc_lo
	s_mov_b32 s23, exec_lo
	v_cmpx_lt_u64_e64 v[9:10], v[28:29]
	s_cbranch_execz .LBB2_6402
; %bb.6394:                             ;   in Loop: Header=BB2_6339 Depth=3
	s_mov_b32 s61, 0
	s_mov_b32 s72, 0
                                        ; implicit-def: $sgpr62
                                        ; implicit-def: $sgpr63
	s_inst_prefetch 0x1
	s_branch .LBB2_6396
	.p2align	6
.LBB2_6395:                             ;   in Loop: Header=BB2_6396 Depth=4
	s_or_b32 exec_lo, exec_lo, s74
	s_and_b32 s73, exec_lo, s75
	s_or_b32 s61, s73, s61
	s_andn2_b32 s62, s62, exec_lo
	s_and_b32 s73, s63, exec_lo
	s_or_b32 s62, s62, s73
	s_andn2_b32 exec_lo, exec_lo, s61
	s_cbranch_execz .LBB2_6400
.LBB2_6396:                             ;   Parent Loop BB2_47 Depth=1
                                        ;     Parent Loop BB2_6157 Depth=2
                                        ;       Parent Loop BB2_6339 Depth=3
                                        ; =>      This Inner Loop Header: Depth=4
	s_add_i32 s72, s72, 1
	s_cmpk_lg_i32 s72, 0x2710
	s_cselect_b32 s73, -1, 0
	s_and_b32 vcc_lo, exec_lo, s73
	s_cbranch_vccz .LBB2_6398
; %bb.6397:                             ;   in Loop: Header=BB2_6396 Depth=4
	s_mov_b32 s75, -1
	s_or_b32 s63, s63, exec_lo
	s_and_saveexec_b32 s74, s73
	s_cbranch_execz .LBB2_6395
	s_branch .LBB2_6399
	.p2align	6
.LBB2_6398:                             ;   in Loop: Header=BB2_6396 Depth=4
	s_trap 2
	ds_read_b64 v[9:10], v0
	s_andn2_b32 s73, s73, exec_lo
	s_mov_b32 s72, 0
	s_waitcnt lgkmcnt(0)
	s_waitcnt_vscnt null, 0x0
	flat_load_dword v9, v[9:10] glc dlc
	s_waitcnt vmcnt(0) lgkmcnt(0)
	buffer_gl1_inv
	buffer_gl0_inv
	v_cmp_eq_u32_e32 vcc_lo, 0, v9
	s_and_b32 s74, vcc_lo, exec_lo
	s_or_b32 s73, s73, s74
	s_mov_b32 s75, -1
	s_or_b32 s63, s63, exec_lo
	s_and_saveexec_b32 s74, s73
	s_cbranch_execz .LBB2_6395
.LBB2_6399:                             ;   in Loop: Header=BB2_6396 Depth=4
	s_sleep 1
	s_trap 2
	ds_read_b64 v[9:10], v0
	s_waitcnt lgkmcnt(0)
	buffer_gl0_inv
	s_andn2_b32 s63, s63, exec_lo
	v_cmp_ge_u64_e32 vcc_lo, v[9:10], v[28:29]
	s_orn2_b32 s75, vcc_lo, exec_lo
	s_branch .LBB2_6395
.LBB2_6400:                             ;   in Loop: Header=BB2_6339 Depth=3
	s_inst_prefetch 0x2
	s_or_b32 exec_lo, exec_lo, s61
	s_and_saveexec_b32 s61, s62
	s_xor_b32 s61, exec_lo, s61
	s_cbranch_execz .LBB2_6402
; %bb.6401:                             ;   in Loop: Header=BB2_6339 Depth=3
	ds_write_b32 v0, v100
	s_trap 2
.LBB2_6402:                             ;   in Loop: Header=BB2_6339 Depth=3
	s_or_b32 exec_lo, exec_lo, s23
	;;#ASMSTART
	s_wakeup
	;;#ASMEND
.LBB2_6403:                             ;   in Loop: Header=BB2_6339 Depth=3
	s_or_b32 exec_lo, exec_lo, s22
.LBB2_6404:                             ;   in Loop: Header=BB2_6339 Depth=3
	s_andn2_saveexec_b32 s19, s19
	s_cbranch_execz .LBB2_6406
; %bb.6405:                             ;   in Loop: Header=BB2_6339 Depth=3
	;;#ASMSTART
	s_waitcnt lgkmcnt(0) vmcnt(0)
	;;#ASMEND
	s_barrier
.LBB2_6406:                             ;   in Loop: Header=BB2_6339 Depth=3
	s_or_b32 exec_lo, exec_lo, s19
.LBB2_6407:                             ;   in Loop: Header=BB2_6339 Depth=3
	s_or_b32 exec_lo, exec_lo, s16
	v_cmp_ne_u32_e32 vcc_lo, 0, v8
	s_xor_b32 s16, s7, -1
	s_and_b32 s19, vcc_lo, s16
	s_and_saveexec_b32 s16, s19
	s_cbranch_execz .LBB2_6409
; %bb.6408:                             ;   in Loop: Header=BB2_6339 Depth=3
	s_waitcnt vmcnt(0) lgkmcnt(0)
	s_waitcnt_vscnt null, 0x0
	flat_store_dword v[26:27], v100
.LBB2_6409:                             ;   in Loop: Header=BB2_6339 Depth=3
	s_or_b32 exec_lo, exec_lo, s16
	v_and_b32_e32 v8, 48, v84
	s_mov_b32 s16, exec_lo
	v_cmpx_ne_u32_e32 0, v8
	s_cbranch_execz .LBB2_6338
; %bb.6410:                             ;   in Loop: Header=BB2_6339 Depth=3
	v_add_co_u32 v50, vcc_lo, v50, 2
	v_add_co_ci_u32_e64 v51, null, 0, v51, vcc_lo
	s_waitcnt vmcnt(0) lgkmcnt(0)
	s_waitcnt_vscnt null, 0x0
	flat_store_dwordx2 v[22:23], v[50:51]
	s_branch .LBB2_6338
.LBB2_6411:                             ;   in Loop: Header=BB2_6157 Depth=2
	s_or_b32 exec_lo, exec_lo, s18
.LBB2_6412:                             ;   in Loop: Header=BB2_6157 Depth=2
	s_or_b32 exec_lo, exec_lo, s17
	s_add_i32 s16, s21, 1
	s_cmp_eq_u32 s21, s56
	s_cbranch_scc1 .LBB2_6414
; %bb.6413:                             ;   in Loop: Header=BB2_6157 Depth=2
	s_mov_b32 s21, s16
	s_branch .LBB2_6157
.LBB2_6414:                             ;   in Loop: Header=BB2_47 Depth=1
	v_mul_lo_u32 v3, v49, s58
	v_mul_lo_u32 v10, v48, s59
	v_mad_u64_u32 v[8:9], null, v48, s58, 0
	v_mov_b32_e32 v15, 0
	v_add3_u32 v9, v9, v10, v3
	v_sub_co_u32 v10, vcc_lo, v52, v8
	v_sub_co_ci_u32_e64 v11, null, v53, v9, vcc_lo
	v_cmp_lt_i64_e32 vcc_lo, v[48:49], v[10:11]
	v_cndmask_b32_e32 v11, v10, v48, vcc_lo
	v_max_i32_e32 v3, 0, v11
	v_cmp_lt_i32_e32 vcc_lo, 0, v11
	v_add_nc_u32_e32 v10, 31, v3
	s_and_b32 s16, s57, vcc_lo
	v_lshrrev_b32_e32 v10, 1, v10
	v_and_b32_e32 v12, 0x3ffffff0, v10
	v_mov_b32_e32 v10, 0
	v_max_i32_e32 v14, s45, v12
	s_and_saveexec_b32 s18, s16
	s_cbranch_execz .LBB2_6552
; %bb.6415:                             ;   in Loop: Header=BB2_47 Depth=1
	v_add_co_u32 v52, vcc_lo, v8, v47
	v_add_co_ci_u32_e64 v53, null, v9, v56, vcc_lo
	v_mov_b32_e32 v15, 0
	s_mov_b32 s22, 1
	s_mov_b32 s21, -1
	s_mov_b32 s19, 0
	s_branch .LBB2_6417
.LBB2_6416:                             ;   in Loop: Header=BB2_6417 Depth=2
	s_or_b32 exec_lo, exec_lo, s16
	v_add_nc_u32_e32 v15, v14, v15
	s_xor_b32 s16, s21, -1
	v_mov_b32_e32 v10, s22
	s_mov_b32 s21, 0
	s_mov_b32 s22, 2
	v_cmp_ge_i32_e32 vcc_lo, v15, v3
	s_or_b32 s16, s16, vcc_lo
	s_and_b32 s16, exec_lo, s16
	s_or_b32 s19, s16, s19
	s_andn2_b32 exec_lo, exec_lo, s19
	s_cbranch_execz .LBB2_6551
.LBB2_6417:                             ;   Parent Loop BB2_47 Depth=1
                                        ; =>  This Loop Header: Depth=2
                                        ;       Child Loop BB2_6425 Depth 3
                                        ;       Child Loop BB2_6449 Depth 3
	;; [unrolled: 1-line block ×9, first 2 shown]
	s_and_saveexec_b32 s17, s4
	s_cbranch_execz .LBB2_6419
; %bb.6418:                             ;   in Loop: Header=BB2_6417 Depth=2
	s_trap 2
	ds_read_b128 v[8:11], v0
	v_ashrrev_i32_e32 v12, 31, v15
	s_waitcnt lgkmcnt(0)
	v_add_co_u32 v13, vcc_lo, v10, v52
	v_add_co_ci_u32_e64 v54, null, v11, v53, vcc_lo
	v_add_co_u32 v8, vcc_lo, v8, v52
	v_add_co_ci_u32_e64 v9, null, v9, v53, vcc_lo
	;; [unrolled: 2-line block ×3, first 2 shown]
	v_cmp_ne_u64_e32 vcc_lo, 0, v[10:11]
	v_add_co_u32 v8, s16, v8, v15
	v_add_co_ci_u32_e64 v9, null, v9, v12, s16
	v_cndmask_b32_e32 v11, 0, v54, vcc_lo
	v_cndmask_b32_e32 v10, 0, v13, vcc_lo
	ds_write_b64 v0, v[8:9]
	ds_write_b64 v0, v[10:11]
.LBB2_6419:                             ;   in Loop: Header=BB2_6417 Depth=2
	s_or_b32 exec_lo, exec_lo, s17
	v_and_b32_e32 v8, 4, v84
	s_mov_b32 s17, exec_lo
	v_cmpx_ne_u32_e32 0, v8
	s_cbranch_execz .LBB2_6441
; %bb.6420:                             ;   in Loop: Header=BB2_6417 Depth=2
	v_add_co_u32 v8, vcc_lo, v50, 2
	v_add_co_ci_u32_e64 v9, null, 0, v51, vcc_lo
	s_mov_b32 s23, exec_lo
	s_waitcnt vmcnt(0) lgkmcnt(1)
	v_cmpx_lt_u64_e64 v[32:33], v[8:9]
	s_cbranch_execz .LBB2_6432
; %bb.6421:                             ;   in Loop: Header=BB2_6417 Depth=2
	v_and_b32_e32 v10, 64, v84
	s_mov_b32 s61, 0
	s_mov_b32 s73, 0
                                        ; implicit-def: $sgpr62
                                        ; implicit-def: $sgpr63
                                        ; implicit-def: $sgpr72
	v_cmp_eq_u32_e32 vcc_lo, 0, v10
	s_branch .LBB2_6425
.LBB2_6422:                             ;   in Loop: Header=BB2_6425 Depth=3
	s_waitcnt vmcnt(0) lgkmcnt(0)
	v_cmp_ge_u64_e64 s16, v[32:33], v[8:9]
	s_or_b32 s76, s76, exec_lo
	s_orn2_b32 s75, s16, exec_lo
.LBB2_6423:                             ;   in Loop: Header=BB2_6425 Depth=3
	s_or_b32 exec_lo, exec_lo, s78
	s_andn2_b32 s16, s72, exec_lo
	s_and_b32 s72, s76, exec_lo
	s_andn2_b32 s63, s63, exec_lo
	s_and_b32 s75, s75, exec_lo
	s_or_b32 s72, s16, s72
	s_or_b32 s63, s63, s75
.LBB2_6424:                             ;   in Loop: Header=BB2_6425 Depth=3
	s_or_b32 exec_lo, exec_lo, s74
	s_and_b32 s16, exec_lo, s63
	s_or_b32 s61, s16, s61
	s_andn2_b32 s16, s62, exec_lo
	s_and_b32 s62, s72, exec_lo
	s_or_b32 s62, s16, s62
	s_andn2_b32 exec_lo, exec_lo, s61
	s_cbranch_execz .LBB2_6429
.LBB2_6425:                             ;   Parent Loop BB2_47 Depth=1
                                        ;     Parent Loop BB2_6417 Depth=2
                                        ; =>    This Inner Loop Header: Depth=3
	s_sleep 1
	s_waitcnt vmcnt(0) lgkmcnt(0)
	flat_load_dwordx2 v[32:33], v[22:23] glc dlc
	s_or_b32 s72, s72, exec_lo
	s_or_b32 s63, s63, exec_lo
                                        ; implicit-def: $vgpr10
	s_and_saveexec_b32 s74, vcc_lo
	s_cbranch_execz .LBB2_6424
; %bb.6426:                             ;   in Loop: Header=BB2_6425 Depth=3
	s_cmpk_lt_i32 s73, 0x270f
	s_mov_b32 s75, -1
	s_cselect_b32 s77, -1, 0
	s_cmpk_gt_i32 s73, 0x270e
	s_cbranch_scc0 .LBB2_6428
; %bb.6427:                             ;   in Loop: Header=BB2_6425 Depth=3
	s_trap 2
	ds_read_b64 v[10:11], v0
	s_andn2_b32 s73, s77, exec_lo
	s_mov_b32 s76, 0
	s_waitcnt vmcnt(0) lgkmcnt(0)
	s_waitcnt_vscnt null, 0x0
	flat_load_dword v10, v[10:11] glc dlc
	s_waitcnt vmcnt(0) lgkmcnt(0)
	buffer_gl1_inv
	buffer_gl0_inv
	v_cmp_eq_u32_e64 s16, 0, v10
	s_and_b32 s16, s16, exec_lo
	s_or_b32 s77, s73, s16
	s_mov_b32 s73, 0
	s_and_saveexec_b32 s78, s77
	s_cbranch_execz .LBB2_6423
	s_branch .LBB2_6422
.LBB2_6428:                             ;   in Loop: Header=BB2_6425 Depth=3
	s_add_i32 s73, s73, 1
	s_mov_b32 s76, -1
                                        ; implicit-def: $vgpr10
	s_and_saveexec_b32 s78, s77
	s_cbranch_execz .LBB2_6423
	s_branch .LBB2_6422
.LBB2_6429:                             ;   in Loop: Header=BB2_6417 Depth=2
	s_or_b32 exec_lo, exec_lo, s61
	s_xor_b32 s16, s62, -1
	s_and_saveexec_b32 s61, s16
	s_xor_b32 s16, exec_lo, s61
	s_cbranch_execz .LBB2_6431
; %bb.6430:                             ;   in Loop: Header=BB2_6417 Depth=2
	v_or_b32_e32 v84, 64, v84
	s_waitcnt vmcnt(0) lgkmcnt(0)
	s_waitcnt_vscnt null, 0x0
	ds_write_b32 v0, v10
	s_trap 2
.LBB2_6431:                             ;   in Loop: Header=BB2_6417 Depth=2
	s_or_b32 exec_lo, exec_lo, s16
.LBB2_6432:                             ;   in Loop: Header=BB2_6417 Depth=2
	s_or_b32 exec_lo, exec_lo, s23
	v_and_b32_e32 v10, 0x100, v84
	v_and_b32_e32 v50, 7, v50
	s_mov_b32 s16, -1
	;;#ASMSTART
	s_wakeup
	;;#ASMEND
	v_cmp_ne_u32_e32 vcc_lo, 0, v10
                                        ; implicit-def: $vgpr10_vgpr11
	s_and_saveexec_b32 s23, vcc_lo
	s_cbranch_execz .LBB2_6436
; %bb.6433:                             ;   in Loop: Header=BB2_6417 Depth=2
	v_mad_u64_u32 v[12:13], null, v50, 24, v[6:7]
	flat_load_dword v10, v[12:13]
	s_waitcnt vmcnt(0) lgkmcnt(0)
	v_cmp_eq_u32_e64 s16, 1, v10
	v_cmp_ne_u32_e32 vcc_lo, 1, v10
                                        ; implicit-def: $vgpr10_vgpr11
	s_and_saveexec_b32 s61, s16
	s_cbranch_execz .LBB2_6435
; %bb.6434:                             ;   in Loop: Header=BB2_6417 Depth=2
	flat_load_dword v10, v[12:13] offset:4 glc dlc
	s_waitcnt vmcnt(0) lgkmcnt(0)
	v_ashrrev_i32_e32 v11, 31, v10
.LBB2_6435:                             ;   in Loop: Header=BB2_6417 Depth=2
	s_or_b32 exec_lo, exec_lo, s61
	s_orn2_b32 s16, vcc_lo, exec_lo
.LBB2_6436:                             ;   in Loop: Header=BB2_6417 Depth=2
	s_or_b32 exec_lo, exec_lo, s23
	s_and_saveexec_b32 s23, s16
; %bb.6437:                             ;   in Loop: Header=BB2_6417 Depth=2
	v_mad_i64_i32 v[10:11], null, v50, v85, 0
; %bb.6438:                             ;   in Loop: Header=BB2_6417 Depth=2
	s_or_b32 exec_lo, exec_lo, s23
	v_add_co_u32 v10, vcc_lo, v24, v10
	v_and_b32_e32 v12, 0x2000, v84
	v_add_co_ci_u32_e64 v11, null, v25, v11, vcc_lo
	s_mov_b32 s16, exec_lo
	ds_write_b64 v0, v[10:11] offset:720
	v_cmpx_ne_u32_e32 0, v12
	s_cbranch_execz .LBB2_6440
; %bb.6439:                             ;   in Loop: Header=BB2_6417 Depth=2
	ds_read_b64 v[10:11], v0 offset:872
	s_waitcnt lgkmcnt(0)
	v_add_co_u32 v10, vcc_lo, v10, 1
	v_add_co_ci_u32_e64 v11, null, 0, v11, vcc_lo
	ds_write_b64 v0, v[10:11] offset:872
.LBB2_6440:                             ;   in Loop: Header=BB2_6417 Depth=2
	s_or_b32 exec_lo, exec_lo, s16
	v_mov_b32_e32 v51, v9
	v_mov_b32_e32 v50, v8
.LBB2_6441:                             ;   in Loop: Header=BB2_6417 Depth=2
	s_or_b32 exec_lo, exec_lo, s17
	s_and_saveexec_b32 s16, s6
	s_cbranch_execz .LBB2_6460
; %bb.6442:                             ;   in Loop: Header=BB2_6417 Depth=2
	s_and_saveexec_b32 s17, s29
	s_xor_b32 s17, exec_lo, s17
	s_cbranch_execz .LBB2_6457
; %bb.6443:                             ;   in Loop: Header=BB2_6417 Depth=2
	s_and_saveexec_b32 s23, s11
	s_cbranch_execz .LBB2_6456
; %bb.6444:                             ;   in Loop: Header=BB2_6417 Depth=2
	s_mov_b32 s62, exec_lo
	s_mov_b32 s61, exec_lo
	v_mbcnt_lo_u32_b32 v8, s62, 0
	s_waitcnt vmcnt(0) lgkmcnt(0)
	s_waitcnt_vscnt null, 0x0
	buffer_gl1_inv
	buffer_gl0_inv
	v_cmpx_eq_u32_e32 0, v8
	s_cbranch_execz .LBB2_6446
; %bb.6445:                             ;   in Loop: Header=BB2_6417 Depth=2
	s_bcnt1_i32_b32 s62, s62
	v_mov_b32_e32 v9, v2
	v_mov_b32_e32 v8, s62
	ds_add_u64 v0, v[8:9]
	s_trap 2
.LBB2_6446:                             ;   in Loop: Header=BB2_6417 Depth=2
	s_or_b32 exec_lo, exec_lo, s61
	s_trap 2
	ds_read_b64 v[8:9], v0
	s_waitcnt lgkmcnt(0)
	buffer_gl0_inv
	v_add_co_u32 v28, vcc_lo, v28, v87
	v_add_co_ci_u32_e64 v29, null, 0, v29, vcc_lo
	s_mov_b32 s61, exec_lo
	v_cmpx_lt_u64_e64 v[8:9], v[28:29]
	s_cbranch_execz .LBB2_6455
; %bb.6447:                             ;   in Loop: Header=BB2_6417 Depth=2
	s_mov_b32 s62, 0
	s_mov_b32 s73, 0
                                        ; implicit-def: $sgpr63
                                        ; implicit-def: $sgpr72
	s_inst_prefetch 0x1
	s_branch .LBB2_6449
	.p2align	6
.LBB2_6448:                             ;   in Loop: Header=BB2_6449 Depth=3
	s_or_b32 exec_lo, exec_lo, s75
	s_and_b32 s74, exec_lo, s76
	s_or_b32 s62, s74, s62
	s_andn2_b32 s63, s63, exec_lo
	s_and_b32 s74, s72, exec_lo
	s_or_b32 s63, s63, s74
	s_andn2_b32 exec_lo, exec_lo, s62
	s_cbranch_execz .LBB2_6453
.LBB2_6449:                             ;   Parent Loop BB2_47 Depth=1
                                        ;     Parent Loop BB2_6417 Depth=2
                                        ; =>    This Inner Loop Header: Depth=3
	s_add_i32 s73, s73, 1
	s_cmpk_lg_i32 s73, 0x2710
	s_cselect_b32 s74, -1, 0
	s_and_b32 vcc_lo, exec_lo, s74
	s_cbranch_vccz .LBB2_6451
; %bb.6450:                             ;   in Loop: Header=BB2_6449 Depth=3
	s_mov_b32 s76, -1
	s_or_b32 s72, s72, exec_lo
	s_and_saveexec_b32 s75, s74
	s_cbranch_execz .LBB2_6448
	s_branch .LBB2_6452
	.p2align	6
.LBB2_6451:                             ;   in Loop: Header=BB2_6449 Depth=3
	s_trap 2
	ds_read_b64 v[8:9], v0
	s_andn2_b32 s74, s74, exec_lo
	s_mov_b32 s73, 0
	s_waitcnt lgkmcnt(0)
	flat_load_dword v8, v[8:9] glc dlc
	s_waitcnt vmcnt(0) lgkmcnt(0)
	buffer_gl1_inv
	buffer_gl0_inv
	v_cmp_eq_u32_e32 vcc_lo, 0, v8
	s_and_b32 s75, vcc_lo, exec_lo
	s_or_b32 s74, s74, s75
	s_mov_b32 s76, -1
	s_or_b32 s72, s72, exec_lo
	s_and_saveexec_b32 s75, s74
	s_cbranch_execz .LBB2_6448
.LBB2_6452:                             ;   in Loop: Header=BB2_6449 Depth=3
	s_sleep 1
	s_trap 2
	ds_read_b64 v[8:9], v0
	s_waitcnt lgkmcnt(0)
	buffer_gl0_inv
	s_andn2_b32 s72, s72, exec_lo
	v_cmp_ge_u64_e32 vcc_lo, v[8:9], v[28:29]
	s_orn2_b32 s76, vcc_lo, exec_lo
	s_branch .LBB2_6448
.LBB2_6453:                             ;   in Loop: Header=BB2_6417 Depth=2
	s_inst_prefetch 0x2
	s_or_b32 exec_lo, exec_lo, s62
	s_and_saveexec_b32 s62, s63
	s_xor_b32 s62, exec_lo, s62
	s_cbranch_execz .LBB2_6455
; %bb.6454:                             ;   in Loop: Header=BB2_6417 Depth=2
	ds_write_b32 v0, v100
	s_trap 2
.LBB2_6455:                             ;   in Loop: Header=BB2_6417 Depth=2
	s_or_b32 exec_lo, exec_lo, s61
	;;#ASMSTART
	s_wakeup
	;;#ASMEND
.LBB2_6456:                             ;   in Loop: Header=BB2_6417 Depth=2
	s_or_b32 exec_lo, exec_lo, s23
.LBB2_6457:                             ;   in Loop: Header=BB2_6417 Depth=2
	s_andn2_saveexec_b32 s17, s17
	s_cbranch_execz .LBB2_6459
; %bb.6458:                             ;   in Loop: Header=BB2_6417 Depth=2
	s_waitcnt vmcnt(0) lgkmcnt(0)
	s_waitcnt_vscnt null, 0x0
	buffer_gl1_inv
	buffer_gl0_inv
	s_barrier
.LBB2_6459:                             ;   in Loop: Header=BB2_6417 Depth=2
	s_or_b32 exec_lo, exec_lo, s17
.LBB2_6460:                             ;   in Loop: Header=BB2_6417 Depth=2
	s_or_b32 exec_lo, exec_lo, s16
	s_trap 2
	ds_read_b32 v12, v0
	v_and_b32_e32 v8, 0x4000, v84
	s_xor_b32 s16, s5, -1
	v_cmp_ne_u32_e32 vcc_lo, 0, v8
	s_and_b32 s17, s16, vcc_lo
	s_and_saveexec_b32 s16, s17
	s_cbranch_execz .LBB2_6479
; %bb.6461:                             ;   in Loop: Header=BB2_6417 Depth=2
	s_and_saveexec_b32 s17, s29
	s_xor_b32 s17, exec_lo, s17
	s_cbranch_execz .LBB2_6476
; %bb.6462:                             ;   in Loop: Header=BB2_6417 Depth=2
	s_and_saveexec_b32 s23, s11
	s_cbranch_execz .LBB2_6475
; %bb.6463:                             ;   in Loop: Header=BB2_6417 Depth=2
	s_mov_b32 s62, exec_lo
	s_mov_b32 s61, exec_lo
	v_mbcnt_lo_u32_b32 v8, s62, 0
	s_waitcnt vmcnt(0) lgkmcnt(0)
	s_waitcnt_vscnt null, 0x0
	buffer_gl1_inv
	buffer_gl0_inv
	v_cmpx_eq_u32_e32 0, v8
	s_cbranch_execz .LBB2_6465
; %bb.6464:                             ;   in Loop: Header=BB2_6417 Depth=2
	s_bcnt1_i32_b32 s62, s62
	v_mov_b32_e32 v9, v2
	v_mov_b32_e32 v8, s62
	ds_add_u64 v0, v[8:9]
	s_trap 2
.LBB2_6465:                             ;   in Loop: Header=BB2_6417 Depth=2
	s_or_b32 exec_lo, exec_lo, s61
	s_trap 2
	ds_read_b64 v[8:9], v0
	s_waitcnt lgkmcnt(0)
	buffer_gl0_inv
	v_add_co_u32 v28, vcc_lo, v28, v87
	v_add_co_ci_u32_e64 v29, null, 0, v29, vcc_lo
	s_mov_b32 s61, exec_lo
	v_cmpx_lt_u64_e64 v[8:9], v[28:29]
	s_cbranch_execz .LBB2_6474
; %bb.6466:                             ;   in Loop: Header=BB2_6417 Depth=2
	s_mov_b32 s62, 0
	s_mov_b32 s73, 0
                                        ; implicit-def: $sgpr63
                                        ; implicit-def: $sgpr72
	s_inst_prefetch 0x1
	s_branch .LBB2_6468
	.p2align	6
.LBB2_6467:                             ;   in Loop: Header=BB2_6468 Depth=3
	s_or_b32 exec_lo, exec_lo, s75
	s_and_b32 s74, exec_lo, s76
	s_or_b32 s62, s74, s62
	s_andn2_b32 s63, s63, exec_lo
	s_and_b32 s74, s72, exec_lo
	s_or_b32 s63, s63, s74
	s_andn2_b32 exec_lo, exec_lo, s62
	s_cbranch_execz .LBB2_6472
.LBB2_6468:                             ;   Parent Loop BB2_47 Depth=1
                                        ;     Parent Loop BB2_6417 Depth=2
                                        ; =>    This Inner Loop Header: Depth=3
	s_add_i32 s73, s73, 1
	s_cmpk_lg_i32 s73, 0x2710
	s_cselect_b32 s74, -1, 0
	s_and_b32 vcc_lo, exec_lo, s74
	s_cbranch_vccz .LBB2_6470
; %bb.6469:                             ;   in Loop: Header=BB2_6468 Depth=3
	s_mov_b32 s76, -1
	s_or_b32 s72, s72, exec_lo
	s_and_saveexec_b32 s75, s74
	s_cbranch_execz .LBB2_6467
	s_branch .LBB2_6471
	.p2align	6
.LBB2_6470:                             ;   in Loop: Header=BB2_6468 Depth=3
	s_trap 2
	ds_read_b64 v[8:9], v0
	s_andn2_b32 s74, s74, exec_lo
	s_mov_b32 s73, 0
	s_waitcnt lgkmcnt(0)
	flat_load_dword v8, v[8:9] glc dlc
	s_waitcnt vmcnt(0) lgkmcnt(0)
	buffer_gl1_inv
	buffer_gl0_inv
	v_cmp_eq_u32_e32 vcc_lo, 0, v8
	s_and_b32 s75, vcc_lo, exec_lo
	s_or_b32 s74, s74, s75
	s_mov_b32 s76, -1
	s_or_b32 s72, s72, exec_lo
	s_and_saveexec_b32 s75, s74
	s_cbranch_execz .LBB2_6467
.LBB2_6471:                             ;   in Loop: Header=BB2_6468 Depth=3
	s_sleep 1
	s_trap 2
	ds_read_b64 v[8:9], v0
	s_waitcnt lgkmcnt(0)
	buffer_gl0_inv
	s_andn2_b32 s72, s72, exec_lo
	v_cmp_ge_u64_e32 vcc_lo, v[8:9], v[28:29]
	s_orn2_b32 s76, vcc_lo, exec_lo
	s_branch .LBB2_6467
.LBB2_6472:                             ;   in Loop: Header=BB2_6417 Depth=2
	s_inst_prefetch 0x2
	s_or_b32 exec_lo, exec_lo, s62
	s_and_saveexec_b32 s62, s63
	s_xor_b32 s62, exec_lo, s62
	s_cbranch_execz .LBB2_6474
; %bb.6473:                             ;   in Loop: Header=BB2_6417 Depth=2
	ds_write_b32 v0, v100
	s_trap 2
.LBB2_6474:                             ;   in Loop: Header=BB2_6417 Depth=2
	s_or_b32 exec_lo, exec_lo, s61
	;;#ASMSTART
	s_wakeup
	;;#ASMEND
.LBB2_6475:                             ;   in Loop: Header=BB2_6417 Depth=2
	s_or_b32 exec_lo, exec_lo, s23
.LBB2_6476:                             ;   in Loop: Header=BB2_6417 Depth=2
	s_andn2_saveexec_b32 s17, s17
	s_cbranch_execz .LBB2_6478
; %bb.6477:                             ;   in Loop: Header=BB2_6417 Depth=2
	s_waitcnt vmcnt(0) lgkmcnt(0)
	s_waitcnt_vscnt null, 0x0
	buffer_gl1_inv
	buffer_gl0_inv
	s_barrier
.LBB2_6478:                             ;   in Loop: Header=BB2_6417 Depth=2
	s_or_b32 exec_lo, exec_lo, s17
.LBB2_6479:                             ;   in Loop: Header=BB2_6417 Depth=2
	s_or_b32 exec_lo, exec_lo, s16
	s_trap 2
	ds_read_b64 v[8:9], v0
	v_sub_nc_u32_e32 v10, v3, v15
	v_min_i32_e32 v14, v14, v10
	s_waitcnt lgkmcnt(0)
	v_cmp_eq_u64_e32 vcc_lo, 0, v[8:9]
	s_cbranch_vccnz .LBB2_6487
; %bb.6480:                             ;   in Loop: Header=BB2_6417 Depth=2
	s_trap 2
	ds_read_b64 v[10:11], v0
	s_waitcnt lgkmcnt(0)
	v_cmp_eq_u64_e32 vcc_lo, 0, v[10:11]
	s_cbranch_vccnz .LBB2_6487
; %bb.6481:                             ;   in Loop: Header=BB2_6417 Depth=2
	s_mov_b32 s16, -1
	s_and_saveexec_b32 s17, s13
	s_cbranch_execz .LBB2_6483
; %bb.6482:                             ;   in Loop: Header=BB2_6417 Depth=2
	ds_read_b32 v13, v0 offset:720
	s_waitcnt lgkmcnt(0)
	v_and_b32_e32 v13, 15, v13
	v_cmp_eq_u32_e32 vcc_lo, 0, v13
	s_orn2_b32 s16, vcc_lo, exec_lo
.LBB2_6483:                             ;   in Loop: Header=BB2_6417 Depth=2
	s_or_b32 exec_lo, exec_lo, s17
	s_and_saveexec_b32 s17, s12
	s_cbranch_execz .LBB2_6485
; %bb.6484:                             ;   in Loop: Header=BB2_6417 Depth=2
	ds_read_b32 v13, v0 offset:784
	s_waitcnt lgkmcnt(0)
	v_and_b32_e32 v13, 15, v13
	v_cmp_eq_u32_e32 vcc_lo, 0, v13
	s_and_b32 s23, s16, vcc_lo
	s_andn2_b32 s16, s16, exec_lo
	s_and_b32 s23, s23, exec_lo
	s_or_b32 s16, s16, s23
.LBB2_6485:                             ;   in Loop: Header=BB2_6417 Depth=2
	s_or_b32 exec_lo, exec_lo, s17
	v_cmp_eq_u32_e32 vcc_lo, 0, v12
	s_xor_b32 s16, s16, -1
	v_mov_b32_e32 v12, 0
	v_cndmask_b32_e64 v13, 0, 1, s16
	v_mov_b32_e32 v55, v0
	v_cndmask_b32_e32 v54, 0, v14, vcc_lo
	s_mov_b32 s16, -1
	v_cmp_ne_u32_e32 vcc_lo, 0, v13
	v_mov_b32_e32 v13, v54
	s_cbranch_vccz .LBB2_6492
; %bb.6486:                             ;   in Loop: Header=BB2_6417 Depth=2
	s_and_saveexec_b32 s17, s16
	s_cbranch_execnz .LBB2_6503
	s_branch .LBB2_6511
.LBB2_6487:                             ;   in Loop: Header=BB2_6417 Depth=2
	s_mov_b32 s16, 0
	s_and_saveexec_b32 s17, s6
	s_cbranch_execnz .LBB2_6512
.LBB2_6488:                             ;   in Loop: Header=BB2_6417 Depth=2
	s_or_b32 exec_lo, exec_lo, s17
	s_and_saveexec_b32 s17, s15
	s_xor_b32 s17, exec_lo, s17
	s_cbranch_execz .LBB2_6530
.LBB2_6489:                             ;   in Loop: Header=BB2_6417 Depth=2
	v_and_b32_e32 v8, 16, v84
	v_cmp_ne_u32_e32 vcc_lo, 0, v8
	s_and_b32 s23, vcc_lo, s16
	s_and_saveexec_b32 s16, s23
	s_cbranch_execz .LBB2_6491
; %bb.6490:                             ;   in Loop: Header=BB2_6417 Depth=2
	s_waitcnt vmcnt(0) lgkmcnt(0)
	s_waitcnt_vscnt null, 0x0
	buffer_gl1_inv
	buffer_gl0_inv
.LBB2_6491:                             ;   in Loop: Header=BB2_6417 Depth=2
	s_or_b32 exec_lo, exec_lo, s16
	s_andn2_saveexec_b32 s16, s17
	s_cbranch_execz .LBB2_6549
	s_branch .LBB2_6531
.LBB2_6492:                             ;   in Loop: Header=BB2_6417 Depth=2
	v_ashrrev_i32_e32 v12, 31, v54
	s_mov_b32 s17, exec_lo
	v_lshrrev_b32_e32 v12, 22, v12
	v_add_nc_u32_e32 v12, v54, v12
	v_ashrrev_i32_e32 v55, 10, v12
	s_waitcnt vmcnt(0)
	v_sub_nc_u32_e32 v65, v55, v97
	v_cmpx_lt_i32_e32 0, v65
	s_cbranch_execz .LBB2_6496
; %bb.6493:                             ;   in Loop: Header=BB2_6417 Depth=2
	v_mov_b32_e32 v12, v38
	v_mov_b32_e32 v13, v39
	s_mov_b32 s23, 0
	.p2align	6
.LBB2_6494:                             ;   Parent Loop BB2_47 Depth=1
                                        ;     Parent Loop BB2_6417 Depth=2
                                        ; =>    This Inner Loop Header: Depth=3
	v_add_co_u32 v70, vcc_lo, v8, v12
	v_add_co_ci_u32_e64 v71, null, v9, v13, vcc_lo
	v_sub_nc_u32_e32 v65, v65, v87
	s_clause 0x1
	global_load_dwordx4 v[66:69], v[70:71], off slc
	global_load_dwordx4 v[80:83], v[70:71], off offset:512 slc
	v_add_co_u32 v70, vcc_lo, v10, v12
	v_add_co_ci_u32_e64 v71, null, v11, v13, vcc_lo
	v_cmp_gt_i32_e32 vcc_lo, 1, v65
	v_add_co_u32 v12, s16, v12, v116
	v_add_co_ci_u32_e64 v13, null, 0, v13, s16
	s_or_b32 s23, vcc_lo, s23
	s_waitcnt vmcnt(1)
	global_store_dwordx4 v[70:71], v[66:69], off glc slc
	s_waitcnt vmcnt(0)
	global_store_dwordx4 v[70:71], v[80:83], off offset:512 glc slc
	s_andn2_b32 exec_lo, exec_lo, s23
	s_cbranch_execnz .LBB2_6494
; %bb.6495:                             ;   in Loop: Header=BB2_6417 Depth=2
	s_or_b32 exec_lo, exec_lo, s23
.LBB2_6496:                             ;   in Loop: Header=BB2_6417 Depth=2
	s_or_b32 exec_lo, exec_lo, s17
	v_lshlrev_b32_e32 v64, 10, v55
	v_mov_b32_e32 v12, 0
	s_mov_b32 s16, 0
	s_mov_b32 s23, exec_lo
                                        ; implicit-def: $vgpr13
                                        ; implicit-def: $vgpr55
	v_cmpx_ne_u32_e64 v54, v64
	s_cbranch_execz .LBB2_6502
; %bb.6497:                             ;   in Loop: Header=BB2_6417 Depth=2
	v_lshlrev_b32_e32 v12, 5, v65
	v_sub_nc_u32_e32 v65, v54, v64
	s_mov_b32 s61, exec_lo
	v_sub_nc_u32_e32 v12, v96, v12
	v_ashrrev_i32_e32 v55, 31, v65
	v_ashrrev_i32_e32 v13, 31, v12
	v_lshrrev_b32_e32 v55, 23, v55
	v_lshrrev_b32_e32 v13, 27, v13
	v_add_nc_u32_e32 v67, v65, v55
	v_add_nc_u32_e32 v13, v12, v13
	v_ashrrev_i32_e32 v69, 9, v67
	v_and_b32_e32 v66, 0xffffffe0, v13
	v_ashrrev_i32_e32 v68, 5, v13
	v_sub_nc_u32_e32 v55, v12, v66
	v_and_b32_e32 v12, 0xfffffe00, v67
	v_lshlrev_b32_e32 v66, 4, v55
	v_sub_nc_u32_e32 v13, v65, v12
	v_lshl_add_u32 v67, v68, 9, v66
	v_cmp_lt_i32_e32 vcc_lo, 15, v13
	v_sub_nc_u32_e32 v66, v65, v67
	v_add_co_ci_u32_e64 v69, null, 0, v69, vcc_lo
	v_sub_nc_u32_e32 v65, v69, v68
	v_cmpx_lt_i32_e32 15, v66
	s_cbranch_execz .LBB2_6501
; %bb.6498:                             ;   in Loop: Header=BB2_6417 Depth=2
	v_add_nc_u32_e32 v67, v67, v64
	s_mov_b32 s62, 0
	v_ashrrev_i32_e32 v68, 31, v67
	.p2align	6
.LBB2_6499:                             ;   Parent Loop BB2_47 Depth=1
                                        ;     Parent Loop BB2_6417 Depth=2
                                        ; =>    This Inner Loop Header: Depth=3
	v_add_co_u32 v69, s16, v8, v67
	v_add_co_ci_u32_e64 v70, null, v9, v68, s16
	v_sub_nc_u32_e32 v66, v66, v117
	v_sub_nc_u32_e32 v65, v65, v87
	global_load_dwordx4 v[80:83], v[69:70], off slc
	v_add_co_u32 v69, s16, v10, v67
	v_add_co_ci_u32_e64 v70, null, v11, v68, s16
	v_cmp_gt_i32_e64 s16, 16, v66
	v_add_co_u32 v67, s17, v67, v117
	v_add_co_ci_u32_e64 v68, null, 0, v68, s17
	s_or_b32 s62, s16, s62
	s_waitcnt vmcnt(0)
	global_store_dwordx4 v[69:70], v[80:83], off glc slc
	s_andn2_b32 exec_lo, exec_lo, s62
	s_cbranch_execnz .LBB2_6499
; %bb.6500:                             ;   in Loop: Header=BB2_6417 Depth=2
	s_or_b32 exec_lo, exec_lo, s62
.LBB2_6501:                             ;   in Loop: Header=BB2_6417 Depth=2
	s_or_b32 exec_lo, exec_lo, s61
	v_and_b32_e32 v66, 15, v54
	v_cmp_lt_i32_e64 s16, 0, v65
	v_sub_nc_u32_e32 v67, v13, v66
	v_cndmask_b32_e64 v68, 0, v87, s16
	v_cndmask_b32_e32 v13, v13, v66, vcc_lo
	v_cndmask_b32_e32 v66, 0, v67, vcc_lo
	v_sub_nc_u32_e32 v65, v68, v65
	v_cmp_ne_u32_e32 vcc_lo, 0, v13
	v_add3_u32 v12, v12, v64, v66
	v_lshl_add_u32 v55, v65, 5, v55
	s_and_b32 s16, vcc_lo, exec_lo
.LBB2_6502:                             ;   in Loop: Header=BB2_6417 Depth=2
	s_or_b32 exec_lo, exec_lo, s23
	s_and_saveexec_b32 s17, s16
	s_cbranch_execz .LBB2_6511
.LBB2_6503:                             ;   in Loop: Header=BB2_6417 Depth=2
	v_ashrrev_i32_e32 v64, 31, v55
	s_waitcnt vmcnt(0)
	v_ashrrev_i32_e32 v65, 31, v13
	s_mov_b32 s16, exec_lo
	v_lshrrev_b32_e32 v64, 27, v64
	v_add_nc_u32_sdwa v65, v13, v65 dst_sel:DWORD dst_unused:UNUSED_PAD src0_sel:DWORD src1_sel:BYTE_3
	v_add_nc_u32_e32 v67, v55, v64
	v_ashrrev_i32_e32 v66, 8, v65
	v_ashrrev_i32_e32 v64, 5, v67
	v_sub_nc_u32_e32 v65, v66, v64
	v_cmpx_lt_i32_e32 0, v65
	s_cbranch_execz .LBB2_6507
; %bb.6504:                             ;   in Loop: Header=BB2_6417 Depth=2
	v_and_b32_e32 v67, 0xffffffe0, v67
	v_lshlrev_b32_e32 v68, 8, v64
	s_mov_b32 s23, 0
	v_sub_nc_u32_e32 v67, v55, v67
	v_add3_u32 v67, v12, v67, v68
	v_ashrrev_i32_e32 v68, 31, v67
.LBB2_6505:                             ;   Parent Loop BB2_47 Depth=1
                                        ;     Parent Loop BB2_6417 Depth=2
                                        ; =>    This Inner Loop Header: Depth=3
	v_add_co_u32 v69, vcc_lo, v67, v8
	v_add_co_ci_u32_e64 v70, null, v68, v9, vcc_lo
	v_sub_nc_u32_e32 v65, v65, v87
	s_clause 0x7
	flat_load_ubyte v71, v[69:70] slc
	flat_load_ubyte v80, v[69:70] offset:32 slc
	flat_load_ubyte v81, v[69:70] offset:64 slc
	;; [unrolled: 1-line block ×7, first 2 shown]
	v_add_co_u32 v69, vcc_lo, v67, v10
	v_add_co_ci_u32_e64 v70, null, v68, v11, vcc_lo
	v_add_co_u32 v8, vcc_lo, v8, v118
	v_add_co_ci_u32_e64 v9, null, 0, v9, vcc_lo
	;; [unrolled: 2-line block ×3, first 2 shown]
	v_cmp_gt_i32_e32 vcc_lo, 1, v65
	s_waitcnt vmcnt(7) lgkmcnt(7)
	flat_store_byte v[69:70], v71 glc slc
	s_waitcnt vmcnt(6) lgkmcnt(7)
	flat_store_byte v[69:70], v80 offset:32 glc slc
	s_waitcnt vmcnt(5) lgkmcnt(7)
	flat_store_byte v[69:70], v81 offset:64 glc slc
	;; [unrolled: 2-line block ×7, first 2 shown]
	s_or_b32 s23, vcc_lo, s23
	s_andn2_b32 exec_lo, exec_lo, s23
	s_cbranch_execnz .LBB2_6505
; %bb.6506:                             ;   in Loop: Header=BB2_6417 Depth=2
	s_or_b32 exec_lo, exec_lo, s23
.LBB2_6507:                             ;   in Loop: Header=BB2_6417 Depth=2
	s_or_b32 exec_lo, exec_lo, s16
	v_lshlrev_b32_e32 v8, 8, v66
	v_cmp_ne_u32_e32 vcc_lo, v13, v8
	s_and_b32 exec_lo, exec_lo, vcc_lo
	s_cbranch_execz .LBB2_6511
; %bb.6508:                             ;   in Loop: Header=BB2_6417 Depth=2
	v_lshlrev_b32_e32 v9, 5, v64
	v_lshlrev_b32_e32 v10, 5, v65
	v_sub_nc_u32_e32 v9, v55, v9
	v_sub_nc_u32_e32 v9, v9, v10
	v_add_nc_u32_e32 v11, v8, v9
	v_sub_nc_u32_e32 v10, v13, v11
	v_cmp_lt_i32_e32 vcc_lo, 0, v10
	s_and_b32 exec_lo, exec_lo, vcc_lo
	s_cbranch_execz .LBB2_6511
; %bb.6509:                             ;   in Loop: Header=BB2_6417 Depth=2
	s_trap 2
	ds_read_b64 v[8:9], v0
	v_add_nc_u32_e32 v11, v11, v12
	s_mov_b32 s23, 0
	v_ashrrev_i32_e32 v12, 31, v11
	.p2align	6
.LBB2_6510:                             ;   Parent Loop BB2_47 Depth=1
                                        ;     Parent Loop BB2_6417 Depth=2
                                        ; =>    This Inner Loop Header: Depth=3
	s_waitcnt lgkmcnt(0)
	v_add_co_u32 v64, vcc_lo, v8, v11
	v_add_co_ci_u32_e64 v65, null, v9, v12, vcc_lo
	v_sub_nc_u32_e32 v10, v10, v98
	v_add_co_u32 v11, s16, v11, v98
	flat_load_ubyte v13, v[64:65] slc
	v_add_co_ci_u32_e64 v12, null, 0, v12, s16
	v_cmp_gt_i32_e32 vcc_lo, 1, v10
	s_or_b32 s23, vcc_lo, s23
	s_waitcnt vmcnt(0) lgkmcnt(0)
	flat_store_byte v[64:65], v13 glc slc
	s_andn2_b32 exec_lo, exec_lo, s23
	s_cbranch_execnz .LBB2_6510
.LBB2_6511:                             ;   in Loop: Header=BB2_6417 Depth=2
	s_or_b32 exec_lo, exec_lo, s17
	v_cmp_lt_i32_e64 s16, 0, v54
	s_and_saveexec_b32 s17, s6
	s_cbranch_execz .LBB2_6488
.LBB2_6512:                             ;   in Loop: Header=BB2_6417 Depth=2
	s_and_saveexec_b32 s23, s29
	s_xor_b32 s23, exec_lo, s23
	s_cbranch_execz .LBB2_6527
; %bb.6513:                             ;   in Loop: Header=BB2_6417 Depth=2
	s_and_saveexec_b32 s61, s11
	s_cbranch_execz .LBB2_6526
; %bb.6514:                             ;   in Loop: Header=BB2_6417 Depth=2
	s_mov_b32 s63, exec_lo
	s_mov_b32 s62, exec_lo
	v_mbcnt_lo_u32_b32 v8, s63, 0
	s_waitcnt vmcnt(0) lgkmcnt(0)
	s_waitcnt_vscnt null, 0x0
	buffer_gl1_inv
	buffer_gl0_inv
	v_cmpx_eq_u32_e32 0, v8
	s_cbranch_execz .LBB2_6516
; %bb.6515:                             ;   in Loop: Header=BB2_6417 Depth=2
	s_bcnt1_i32_b32 s63, s63
	v_mov_b32_e32 v9, v2
	v_mov_b32_e32 v8, s63
	ds_add_u64 v0, v[8:9]
	s_trap 2
.LBB2_6516:                             ;   in Loop: Header=BB2_6417 Depth=2
	s_or_b32 exec_lo, exec_lo, s62
	s_trap 2
	ds_read_b64 v[8:9], v0
	s_waitcnt lgkmcnt(0)
	buffer_gl0_inv
	v_add_co_u32 v28, vcc_lo, v28, v87
	v_add_co_ci_u32_e64 v29, null, 0, v29, vcc_lo
	s_mov_b32 s62, exec_lo
	v_cmpx_lt_u64_e64 v[8:9], v[28:29]
	s_cbranch_execz .LBB2_6525
; %bb.6517:                             ;   in Loop: Header=BB2_6417 Depth=2
	s_mov_b32 s63, 0
	s_mov_b32 s74, 0
                                        ; implicit-def: $sgpr72
                                        ; implicit-def: $sgpr73
	s_inst_prefetch 0x1
	s_branch .LBB2_6519
	.p2align	6
.LBB2_6518:                             ;   in Loop: Header=BB2_6519 Depth=3
	s_or_b32 exec_lo, exec_lo, s76
	s_and_b32 s75, exec_lo, s77
	s_or_b32 s63, s75, s63
	s_andn2_b32 s72, s72, exec_lo
	s_and_b32 s75, s73, exec_lo
	s_or_b32 s72, s72, s75
	s_andn2_b32 exec_lo, exec_lo, s63
	s_cbranch_execz .LBB2_6523
.LBB2_6519:                             ;   Parent Loop BB2_47 Depth=1
                                        ;     Parent Loop BB2_6417 Depth=2
                                        ; =>    This Inner Loop Header: Depth=3
	s_add_i32 s74, s74, 1
	s_cmpk_lg_i32 s74, 0x2710
	s_cselect_b32 s75, -1, 0
	s_and_b32 vcc_lo, exec_lo, s75
	s_cbranch_vccz .LBB2_6521
; %bb.6520:                             ;   in Loop: Header=BB2_6519 Depth=3
	s_mov_b32 s77, -1
	s_or_b32 s73, s73, exec_lo
	s_and_saveexec_b32 s76, s75
	s_cbranch_execz .LBB2_6518
	s_branch .LBB2_6522
	.p2align	6
.LBB2_6521:                             ;   in Loop: Header=BB2_6519 Depth=3
	s_trap 2
	ds_read_b64 v[8:9], v0
	s_andn2_b32 s75, s75, exec_lo
	s_mov_b32 s74, 0
	s_waitcnt lgkmcnt(0)
	flat_load_dword v8, v[8:9] glc dlc
	s_waitcnt vmcnt(0) lgkmcnt(0)
	buffer_gl1_inv
	buffer_gl0_inv
	v_cmp_eq_u32_e32 vcc_lo, 0, v8
	s_and_b32 s76, vcc_lo, exec_lo
	s_or_b32 s75, s75, s76
	s_mov_b32 s77, -1
	s_or_b32 s73, s73, exec_lo
	s_and_saveexec_b32 s76, s75
	s_cbranch_execz .LBB2_6518
.LBB2_6522:                             ;   in Loop: Header=BB2_6519 Depth=3
	s_sleep 1
	s_trap 2
	ds_read_b64 v[8:9], v0
	s_waitcnt lgkmcnt(0)
	buffer_gl0_inv
	s_andn2_b32 s73, s73, exec_lo
	v_cmp_ge_u64_e32 vcc_lo, v[8:9], v[28:29]
	s_orn2_b32 s77, vcc_lo, exec_lo
	s_branch .LBB2_6518
.LBB2_6523:                             ;   in Loop: Header=BB2_6417 Depth=2
	s_inst_prefetch 0x2
	s_or_b32 exec_lo, exec_lo, s63
	s_and_saveexec_b32 s63, s72
	s_xor_b32 s63, exec_lo, s63
	s_cbranch_execz .LBB2_6525
; %bb.6524:                             ;   in Loop: Header=BB2_6417 Depth=2
	ds_write_b32 v0, v100
	s_trap 2
.LBB2_6525:                             ;   in Loop: Header=BB2_6417 Depth=2
	s_or_b32 exec_lo, exec_lo, s62
	;;#ASMSTART
	s_wakeup
	;;#ASMEND
.LBB2_6526:                             ;   in Loop: Header=BB2_6417 Depth=2
	s_or_b32 exec_lo, exec_lo, s61
.LBB2_6527:                             ;   in Loop: Header=BB2_6417 Depth=2
	s_andn2_saveexec_b32 s23, s23
	s_cbranch_execz .LBB2_6529
; %bb.6528:                             ;   in Loop: Header=BB2_6417 Depth=2
	s_waitcnt vmcnt(0) lgkmcnt(0)
	s_waitcnt_vscnt null, 0x0
	buffer_gl1_inv
	buffer_gl0_inv
	s_barrier
.LBB2_6529:                             ;   in Loop: Header=BB2_6417 Depth=2
	s_or_b32 exec_lo, exec_lo, s23
	s_or_b32 exec_lo, exec_lo, s17
	s_and_saveexec_b32 s17, s15
	s_xor_b32 s17, exec_lo, s17
	s_cbranch_execnz .LBB2_6489
.LBB2_6530:                             ;   in Loop: Header=BB2_6417 Depth=2
	s_andn2_saveexec_b32 s16, s17
	s_cbranch_execz .LBB2_6549
.LBB2_6531:                             ;   in Loop: Header=BB2_6417 Depth=2
	s_and_saveexec_b32 s17, s29
	s_xor_b32 s17, exec_lo, s17
	s_cbranch_execz .LBB2_6546
; %bb.6532:                             ;   in Loop: Header=BB2_6417 Depth=2
	s_and_saveexec_b32 s23, s11
	s_cbranch_execz .LBB2_6545
; %bb.6533:                             ;   in Loop: Header=BB2_6417 Depth=2
	s_mov_b32 s62, exec_lo
	s_mov_b32 s61, exec_lo
	v_mbcnt_lo_u32_b32 v8, s62, 0
	;;#ASMSTART
	s_waitcnt lgkmcnt(0) vmcnt(0)
	;;#ASMEND
	v_cmpx_eq_u32_e32 0, v8
	s_cbranch_execz .LBB2_6535
; %bb.6534:                             ;   in Loop: Header=BB2_6417 Depth=2
	s_bcnt1_i32_b32 s62, s62
	v_mov_b32_e32 v9, v2
	v_mov_b32_e32 v8, s62
	s_waitcnt vmcnt(0) lgkmcnt(0)
	s_waitcnt_vscnt null, 0x0
	ds_add_u64 v0, v[8:9]
	s_trap 2
.LBB2_6535:                             ;   in Loop: Header=BB2_6417 Depth=2
	s_or_b32 exec_lo, exec_lo, s61
	s_trap 2
	ds_read_b64 v[8:9], v0
	s_waitcnt vmcnt(0) lgkmcnt(0)
	buffer_gl0_inv
	v_add_co_u32 v28, vcc_lo, v28, v87
	v_add_co_ci_u32_e64 v29, null, 0, v29, vcc_lo
	s_mov_b32 s61, exec_lo
	v_cmpx_lt_u64_e64 v[8:9], v[28:29]
	s_cbranch_execz .LBB2_6544
; %bb.6536:                             ;   in Loop: Header=BB2_6417 Depth=2
	s_mov_b32 s62, 0
	s_mov_b32 s73, 0
                                        ; implicit-def: $sgpr63
                                        ; implicit-def: $sgpr72
	s_inst_prefetch 0x1
	s_branch .LBB2_6538
	.p2align	6
.LBB2_6537:                             ;   in Loop: Header=BB2_6538 Depth=3
	s_or_b32 exec_lo, exec_lo, s75
	s_and_b32 s74, exec_lo, s76
	s_or_b32 s62, s74, s62
	s_andn2_b32 s63, s63, exec_lo
	s_and_b32 s74, s72, exec_lo
	s_or_b32 s63, s63, s74
	s_andn2_b32 exec_lo, exec_lo, s62
	s_cbranch_execz .LBB2_6542
.LBB2_6538:                             ;   Parent Loop BB2_47 Depth=1
                                        ;     Parent Loop BB2_6417 Depth=2
                                        ; =>    This Inner Loop Header: Depth=3
	s_add_i32 s73, s73, 1
	s_cmpk_lg_i32 s73, 0x2710
	s_cselect_b32 s74, -1, 0
	s_and_b32 vcc_lo, exec_lo, s74
	s_cbranch_vccz .LBB2_6540
; %bb.6539:                             ;   in Loop: Header=BB2_6538 Depth=3
	s_mov_b32 s76, -1
	s_or_b32 s72, s72, exec_lo
	s_and_saveexec_b32 s75, s74
	s_cbranch_execz .LBB2_6537
	s_branch .LBB2_6541
	.p2align	6
.LBB2_6540:                             ;   in Loop: Header=BB2_6538 Depth=3
	s_trap 2
	ds_read_b64 v[8:9], v0
	s_andn2_b32 s74, s74, exec_lo
	s_mov_b32 s73, 0
	s_waitcnt lgkmcnt(0)
	s_waitcnt_vscnt null, 0x0
	flat_load_dword v8, v[8:9] glc dlc
	s_waitcnt vmcnt(0) lgkmcnt(0)
	buffer_gl1_inv
	buffer_gl0_inv
	v_cmp_eq_u32_e32 vcc_lo, 0, v8
	s_and_b32 s75, vcc_lo, exec_lo
	s_or_b32 s74, s74, s75
	s_mov_b32 s76, -1
	s_or_b32 s72, s72, exec_lo
	s_and_saveexec_b32 s75, s74
	s_cbranch_execz .LBB2_6537
.LBB2_6541:                             ;   in Loop: Header=BB2_6538 Depth=3
	s_sleep 1
	s_trap 2
	ds_read_b64 v[8:9], v0
	s_waitcnt lgkmcnt(0)
	buffer_gl0_inv
	s_andn2_b32 s72, s72, exec_lo
	v_cmp_ge_u64_e32 vcc_lo, v[8:9], v[28:29]
	s_orn2_b32 s76, vcc_lo, exec_lo
	s_branch .LBB2_6537
.LBB2_6542:                             ;   in Loop: Header=BB2_6417 Depth=2
	s_inst_prefetch 0x2
	s_or_b32 exec_lo, exec_lo, s62
	s_and_saveexec_b32 s62, s63
	s_xor_b32 s62, exec_lo, s62
	s_cbranch_execz .LBB2_6544
; %bb.6543:                             ;   in Loop: Header=BB2_6417 Depth=2
	ds_write_b32 v0, v100
	s_trap 2
.LBB2_6544:                             ;   in Loop: Header=BB2_6417 Depth=2
	s_or_b32 exec_lo, exec_lo, s61
	;;#ASMSTART
	s_wakeup
	;;#ASMEND
.LBB2_6545:                             ;   in Loop: Header=BB2_6417 Depth=2
	s_or_b32 exec_lo, exec_lo, s23
.LBB2_6546:                             ;   in Loop: Header=BB2_6417 Depth=2
	s_andn2_saveexec_b32 s17, s17
	s_cbranch_execz .LBB2_6548
; %bb.6547:                             ;   in Loop: Header=BB2_6417 Depth=2
	;;#ASMSTART
	s_waitcnt lgkmcnt(0) vmcnt(0)
	;;#ASMEND
	s_barrier
.LBB2_6548:                             ;   in Loop: Header=BB2_6417 Depth=2
	s_or_b32 exec_lo, exec_lo, s17
.LBB2_6549:                             ;   in Loop: Header=BB2_6417 Depth=2
	s_or_b32 exec_lo, exec_lo, s16
	v_and_b32_e32 v8, 32, v84
	s_mov_b32 s16, exec_lo
	v_cmpx_ne_u32_e32 0, v8
	s_cbranch_execz .LBB2_6416
; %bb.6550:                             ;   in Loop: Header=BB2_6417 Depth=2
	v_add_co_u32 v50, vcc_lo, v50, 2
	v_add_co_ci_u32_e64 v51, null, 0, v51, vcc_lo
	s_waitcnt vmcnt(0) lgkmcnt(0)
	s_waitcnt_vscnt null, 0x0
	flat_store_dwordx2 v[22:23], v[50:51]
	s_branch .LBB2_6416
.LBB2_6551:                             ;   in Loop: Header=BB2_47 Depth=1
	s_or_b32 exec_lo, exec_lo, s19
.LBB2_6552:                             ;   in Loop: Header=BB2_47 Depth=1
	s_or_b32 exec_lo, exec_lo, s18
	s_mov_b32 s17, exec_lo
	v_cmpx_gt_i32_e32 2, v10
	s_cbranch_execnz .LBB2_6553
; %bb.6665:                             ;   in Loop: Header=BB2_47 Depth=1
	s_getpc_b64 s[34:35]
.Lpost_getpc3:
	s_add_u32 s34, s34, (.LBB2_46-.Lpost_getpc3)&4294967295
	s_addc_u32 s35, s35, (.LBB2_46-.Lpost_getpc3)>>32
	s_setpc_b64 s[34:35]
.LBB2_6553:                             ;   in Loop: Header=BB2_47 Depth=1
	v_cmp_eq_u32_e64 s19, 0, v10
	s_mov_b32 s18, 0
	s_branch .LBB2_6555
.LBB2_6554:                             ;   in Loop: Header=BB2_6555 Depth=2
	s_or_b32 exec_lo, exec_lo, s16
	v_add_nc_u32_e32 v15, v14, v15
	s_mov_b32 s19, 0
	s_andn2_b32 exec_lo, exec_lo, s18
	s_cbranch_execnz .LBB2_6555
; %bb.6667:                             ;   in Loop: Header=BB2_47 Depth=1
	s_getpc_b64 s[34:35]
.Lpost_getpc4:
	s_add_u32 s34, s34, (.LBB2_45-.Lpost_getpc4)&4294967295
	s_addc_u32 s35, s35, (.LBB2_45-.Lpost_getpc4)>>32
	s_setpc_b64 s[34:35]
.LBB2_6555:                             ;   Parent Loop BB2_47 Depth=1
                                        ; =>  This Loop Header: Depth=2
                                        ;       Child Loop BB2_6561 Depth 3
                                        ;       Child Loop BB2_6585 Depth 3
	;; [unrolled: 1-line block ×3, first 2 shown]
	v_and_b32_e32 v8, 4, v84
	s_mov_b32 s21, exec_lo
	v_cmpx_ne_u32_e32 0, v8
	s_cbranch_execz .LBB2_6577
; %bb.6556:                             ;   in Loop: Header=BB2_6555 Depth=2
	v_add_co_u32 v8, vcc_lo, v50, 2
	v_add_co_ci_u32_e64 v9, null, 0, v51, vcc_lo
	s_mov_b32 s22, exec_lo
	s_waitcnt vmcnt(0) lgkmcnt(1)
	v_cmpx_lt_u64_e64 v[32:33], v[8:9]
	s_cbranch_execz .LBB2_6568
; %bb.6557:                             ;   in Loop: Header=BB2_6555 Depth=2
	v_and_b32_e32 v10, 64, v84
	s_mov_b32 s23, 0
	s_mov_b32 s72, 0
                                        ; implicit-def: $sgpr61
                                        ; implicit-def: $sgpr62
                                        ; implicit-def: $sgpr63
	v_cmp_eq_u32_e32 vcc_lo, 0, v10
	s_branch .LBB2_6561
.LBB2_6558:                             ;   in Loop: Header=BB2_6561 Depth=3
	s_waitcnt vmcnt(0) lgkmcnt(0)
	v_cmp_ge_u64_e64 s16, v[32:33], v[8:9]
	s_or_b32 s75, s75, exec_lo
	s_orn2_b32 s74, s16, exec_lo
.LBB2_6559:                             ;   in Loop: Header=BB2_6561 Depth=3
	s_or_b32 exec_lo, exec_lo, s77
	s_andn2_b32 s16, s63, exec_lo
	s_and_b32 s63, s75, exec_lo
	s_andn2_b32 s62, s62, exec_lo
	s_and_b32 s74, s74, exec_lo
	s_or_b32 s63, s16, s63
	s_or_b32 s62, s62, s74
.LBB2_6560:                             ;   in Loop: Header=BB2_6561 Depth=3
	s_or_b32 exec_lo, exec_lo, s73
	s_and_b32 s16, exec_lo, s62
	s_or_b32 s23, s16, s23
	s_andn2_b32 s16, s61, exec_lo
	s_and_b32 s61, s63, exec_lo
	s_or_b32 s61, s16, s61
	s_andn2_b32 exec_lo, exec_lo, s23
	s_cbranch_execz .LBB2_6565
.LBB2_6561:                             ;   Parent Loop BB2_47 Depth=1
                                        ;     Parent Loop BB2_6555 Depth=2
                                        ; =>    This Inner Loop Header: Depth=3
	s_sleep 1
	s_waitcnt vmcnt(0) lgkmcnt(0)
	flat_load_dwordx2 v[32:33], v[22:23] glc dlc
	s_or_b32 s63, s63, exec_lo
	s_or_b32 s62, s62, exec_lo
                                        ; implicit-def: $vgpr10
	s_and_saveexec_b32 s73, vcc_lo
	s_cbranch_execz .LBB2_6560
; %bb.6562:                             ;   in Loop: Header=BB2_6561 Depth=3
	s_cmpk_lt_i32 s72, 0x270f
	s_mov_b32 s74, -1
	s_cselect_b32 s76, -1, 0
	s_cmpk_gt_i32 s72, 0x270e
	s_cbranch_scc0 .LBB2_6564
; %bb.6563:                             ;   in Loop: Header=BB2_6561 Depth=3
	s_trap 2
	ds_read_b64 v[10:11], v0
	s_andn2_b32 s72, s76, exec_lo
	s_mov_b32 s75, 0
	s_waitcnt vmcnt(0) lgkmcnt(0)
	s_waitcnt_vscnt null, 0x0
	flat_load_dword v10, v[10:11] glc dlc
	s_waitcnt vmcnt(0) lgkmcnt(0)
	buffer_gl1_inv
	buffer_gl0_inv
	v_cmp_eq_u32_e64 s16, 0, v10
	s_and_b32 s16, s16, exec_lo
	s_or_b32 s76, s72, s16
	s_mov_b32 s72, 0
	s_and_saveexec_b32 s77, s76
	s_cbranch_execz .LBB2_6559
	s_branch .LBB2_6558
.LBB2_6564:                             ;   in Loop: Header=BB2_6561 Depth=3
	s_add_i32 s72, s72, 1
	s_mov_b32 s75, -1
                                        ; implicit-def: $vgpr10
	s_and_saveexec_b32 s77, s76
	s_cbranch_execz .LBB2_6559
	s_branch .LBB2_6558
.LBB2_6565:                             ;   in Loop: Header=BB2_6555 Depth=2
	s_or_b32 exec_lo, exec_lo, s23
	s_xor_b32 s16, s61, -1
	s_and_saveexec_b32 s23, s16
	s_xor_b32 s16, exec_lo, s23
	s_cbranch_execz .LBB2_6567
; %bb.6566:                             ;   in Loop: Header=BB2_6555 Depth=2
	v_or_b32_e32 v84, 64, v84
	s_waitcnt vmcnt(0) lgkmcnt(0)
	s_waitcnt_vscnt null, 0x0
	ds_write_b32 v0, v10
	s_trap 2
.LBB2_6567:                             ;   in Loop: Header=BB2_6555 Depth=2
	s_or_b32 exec_lo, exec_lo, s16
.LBB2_6568:                             ;   in Loop: Header=BB2_6555 Depth=2
	s_or_b32 exec_lo, exec_lo, s22
	v_and_b32_e32 v10, 0x100, v84
	v_and_b32_e32 v50, 7, v50
	s_mov_b32 s16, -1
	;;#ASMSTART
	s_wakeup
	;;#ASMEND
	v_cmp_ne_u32_e32 vcc_lo, 0, v10
                                        ; implicit-def: $vgpr10_vgpr11
	s_and_saveexec_b32 s22, vcc_lo
	s_cbranch_execz .LBB2_6572
; %bb.6569:                             ;   in Loop: Header=BB2_6555 Depth=2
	v_mad_u64_u32 v[12:13], null, v50, 24, v[6:7]
	flat_load_dword v10, v[12:13]
	s_waitcnt vmcnt(0) lgkmcnt(0)
	v_cmp_eq_u32_e64 s16, 1, v10
	v_cmp_ne_u32_e32 vcc_lo, 1, v10
                                        ; implicit-def: $vgpr10_vgpr11
	s_and_saveexec_b32 s23, s16
	s_cbranch_execz .LBB2_6571
; %bb.6570:                             ;   in Loop: Header=BB2_6555 Depth=2
	flat_load_dword v10, v[12:13] offset:4 glc dlc
	s_waitcnt vmcnt(0) lgkmcnt(0)
	v_ashrrev_i32_e32 v11, 31, v10
.LBB2_6571:                             ;   in Loop: Header=BB2_6555 Depth=2
	s_or_b32 exec_lo, exec_lo, s23
	s_orn2_b32 s16, vcc_lo, exec_lo
.LBB2_6572:                             ;   in Loop: Header=BB2_6555 Depth=2
	s_or_b32 exec_lo, exec_lo, s22
	s_and_saveexec_b32 s22, s16
; %bb.6573:                             ;   in Loop: Header=BB2_6555 Depth=2
	v_mad_i64_i32 v[10:11], null, v50, v85, 0
; %bb.6574:                             ;   in Loop: Header=BB2_6555 Depth=2
	s_or_b32 exec_lo, exec_lo, s22
	v_add_co_u32 v10, vcc_lo, v24, v10
	v_and_b32_e32 v12, 0x2000, v84
	v_add_co_ci_u32_e64 v11, null, v25, v11, vcc_lo
	s_mov_b32 s16, exec_lo
	ds_write_b64 v0, v[10:11] offset:720
	v_cmpx_ne_u32_e32 0, v12
	s_cbranch_execz .LBB2_6576
; %bb.6575:                             ;   in Loop: Header=BB2_6555 Depth=2
	ds_read_b64 v[10:11], v0 offset:872
	s_waitcnt lgkmcnt(0)
	v_add_co_u32 v10, vcc_lo, v10, 1
	v_add_co_ci_u32_e64 v11, null, 0, v11, vcc_lo
	ds_write_b64 v0, v[10:11] offset:872
.LBB2_6576:                             ;   in Loop: Header=BB2_6555 Depth=2
	s_or_b32 exec_lo, exec_lo, s16
	v_mov_b32_e32 v51, v9
	v_mov_b32_e32 v50, v8
.LBB2_6577:                             ;   in Loop: Header=BB2_6555 Depth=2
	s_or_b32 exec_lo, exec_lo, s21
	s_xor_b32 s16, s19, -1
	s_and_b32 s16, exec_lo, s16
	s_or_b32 s18, s16, s18
	s_and_saveexec_b32 s16, s6
	s_cbranch_execz .LBB2_6596
; %bb.6578:                             ;   in Loop: Header=BB2_6555 Depth=2
	s_and_saveexec_b32 s19, s29
	s_xor_b32 s19, exec_lo, s19
	s_cbranch_execz .LBB2_6593
; %bb.6579:                             ;   in Loop: Header=BB2_6555 Depth=2
	s_and_saveexec_b32 s21, s11
	s_cbranch_execz .LBB2_6592
; %bb.6580:                             ;   in Loop: Header=BB2_6555 Depth=2
	s_mov_b32 s23, exec_lo
	s_mov_b32 s22, exec_lo
	v_mbcnt_lo_u32_b32 v8, s23, 0
	s_waitcnt vmcnt(0) lgkmcnt(0)
	s_waitcnt_vscnt null, 0x0
	buffer_gl1_inv
	buffer_gl0_inv
	v_cmpx_eq_u32_e32 0, v8
	s_cbranch_execz .LBB2_6582
; %bb.6581:                             ;   in Loop: Header=BB2_6555 Depth=2
	s_bcnt1_i32_b32 s23, s23
	v_mov_b32_e32 v9, v2
	v_mov_b32_e32 v8, s23
	ds_add_u64 v0, v[8:9]
	s_trap 2
.LBB2_6582:                             ;   in Loop: Header=BB2_6555 Depth=2
	s_or_b32 exec_lo, exec_lo, s22
	s_trap 2
	ds_read_b64 v[8:9], v0
	s_waitcnt lgkmcnt(0)
	buffer_gl0_inv
	v_add_co_u32 v28, vcc_lo, v28, v87
	v_add_co_ci_u32_e64 v29, null, 0, v29, vcc_lo
	s_mov_b32 s22, exec_lo
	v_cmpx_lt_u64_e64 v[8:9], v[28:29]
	s_cbranch_execz .LBB2_6591
; %bb.6583:                             ;   in Loop: Header=BB2_6555 Depth=2
	s_mov_b32 s23, 0
	s_mov_b32 s63, 0
                                        ; implicit-def: $sgpr61
                                        ; implicit-def: $sgpr62
	s_inst_prefetch 0x1
	s_branch .LBB2_6585
	.p2align	6
.LBB2_6584:                             ;   in Loop: Header=BB2_6585 Depth=3
	s_or_b32 exec_lo, exec_lo, s73
	s_and_b32 s72, exec_lo, s74
	s_or_b32 s23, s72, s23
	s_andn2_b32 s61, s61, exec_lo
	s_and_b32 s72, s62, exec_lo
	s_or_b32 s61, s61, s72
	s_andn2_b32 exec_lo, exec_lo, s23
	s_cbranch_execz .LBB2_6589
.LBB2_6585:                             ;   Parent Loop BB2_47 Depth=1
                                        ;     Parent Loop BB2_6555 Depth=2
                                        ; =>    This Inner Loop Header: Depth=3
	s_add_i32 s63, s63, 1
	s_cmpk_lg_i32 s63, 0x2710
	s_cselect_b32 s72, -1, 0
	s_and_b32 vcc_lo, exec_lo, s72
	s_cbranch_vccz .LBB2_6587
; %bb.6586:                             ;   in Loop: Header=BB2_6585 Depth=3
	s_mov_b32 s74, -1
	s_or_b32 s62, s62, exec_lo
	s_and_saveexec_b32 s73, s72
	s_cbranch_execz .LBB2_6584
	s_branch .LBB2_6588
	.p2align	6
.LBB2_6587:                             ;   in Loop: Header=BB2_6585 Depth=3
	s_trap 2
	ds_read_b64 v[8:9], v0
	s_andn2_b32 s72, s72, exec_lo
	s_mov_b32 s63, 0
	s_waitcnt lgkmcnt(0)
	flat_load_dword v8, v[8:9] glc dlc
	s_waitcnt vmcnt(0) lgkmcnt(0)
	buffer_gl1_inv
	buffer_gl0_inv
	v_cmp_eq_u32_e32 vcc_lo, 0, v8
	s_and_b32 s73, vcc_lo, exec_lo
	s_or_b32 s72, s72, s73
	s_mov_b32 s74, -1
	s_or_b32 s62, s62, exec_lo
	s_and_saveexec_b32 s73, s72
	s_cbranch_execz .LBB2_6584
.LBB2_6588:                             ;   in Loop: Header=BB2_6585 Depth=3
	s_sleep 1
	s_trap 2
	ds_read_b64 v[8:9], v0
	s_waitcnt lgkmcnt(0)
	buffer_gl0_inv
	s_andn2_b32 s62, s62, exec_lo
	v_cmp_ge_u64_e32 vcc_lo, v[8:9], v[28:29]
	s_orn2_b32 s74, vcc_lo, exec_lo
	s_branch .LBB2_6584
.LBB2_6589:                             ;   in Loop: Header=BB2_6555 Depth=2
	s_inst_prefetch 0x2
	s_or_b32 exec_lo, exec_lo, s23
	s_and_saveexec_b32 s23, s61
	s_xor_b32 s23, exec_lo, s23
	s_cbranch_execz .LBB2_6591
; %bb.6590:                             ;   in Loop: Header=BB2_6555 Depth=2
	ds_write_b32 v0, v100
	s_trap 2
.LBB2_6591:                             ;   in Loop: Header=BB2_6555 Depth=2
	s_or_b32 exec_lo, exec_lo, s22
	;;#ASMSTART
	s_wakeup
	;;#ASMEND
.LBB2_6592:                             ;   in Loop: Header=BB2_6555 Depth=2
	s_or_b32 exec_lo, exec_lo, s21
.LBB2_6593:                             ;   in Loop: Header=BB2_6555 Depth=2
	s_andn2_saveexec_b32 s19, s19
	s_cbranch_execz .LBB2_6595
; %bb.6594:                             ;   in Loop: Header=BB2_6555 Depth=2
	s_waitcnt vmcnt(0) lgkmcnt(0)
	s_waitcnt_vscnt null, 0x0
	buffer_gl1_inv
	buffer_gl0_inv
	s_barrier
.LBB2_6595:                             ;   in Loop: Header=BB2_6555 Depth=2
	s_or_b32 exec_lo, exec_lo, s19
.LBB2_6596:                             ;   in Loop: Header=BB2_6555 Depth=2
	s_or_b32 exec_lo, exec_lo, s16
	v_sub_nc_u32_e32 v8, v3, v15
	v_min_i32_e32 v14, v14, v8
	s_and_saveexec_b32 s16, s15
	s_xor_b32 s19, exec_lo, s16
	s_cbranch_execz .LBB2_6600
; %bb.6597:                             ;   in Loop: Header=BB2_6555 Depth=2
	s_trap 2
	ds_read_b32 v8, v0
	v_cmp_lt_i32_e32 vcc_lo, 0, v14
	s_waitcnt lgkmcnt(0)
	v_readfirstlane_b32 s16, v8
	v_and_b32_e32 v8, 16, v84
	s_cmp_eq_u32 s16, 0
	v_cmp_ne_u32_e64 s16, 0, v8
	s_cselect_b32 s21, -1, 0
	s_and_b32 s21, vcc_lo, s21
	s_and_b32 s21, s16, s21
	s_and_saveexec_b32 s16, s21
	s_cbranch_execz .LBB2_6599
; %bb.6598:                             ;   in Loop: Header=BB2_6555 Depth=2
	s_waitcnt vmcnt(0)
	s_waitcnt_vscnt null, 0x0
	buffer_gl1_inv
	buffer_gl0_inv
.LBB2_6599:                             ;   in Loop: Header=BB2_6555 Depth=2
	s_or_b32 exec_lo, exec_lo, s16
.LBB2_6600:                             ;   in Loop: Header=BB2_6555 Depth=2
	s_andn2_saveexec_b32 s16, s19
	s_cbranch_execz .LBB2_6619
; %bb.6601:                             ;   in Loop: Header=BB2_6555 Depth=2
	s_and_saveexec_b32 s19, s29
	s_xor_b32 s19, exec_lo, s19
	s_cbranch_execz .LBB2_6616
; %bb.6602:                             ;   in Loop: Header=BB2_6555 Depth=2
	s_and_saveexec_b32 s21, s11
	s_cbranch_execz .LBB2_6615
; %bb.6603:                             ;   in Loop: Header=BB2_6555 Depth=2
	s_mov_b32 s23, exec_lo
	s_mov_b32 s22, exec_lo
	v_mbcnt_lo_u32_b32 v8, s23, 0
	;;#ASMSTART
	s_waitcnt lgkmcnt(0) vmcnt(0)
	;;#ASMEND
	v_cmpx_eq_u32_e32 0, v8
	s_cbranch_execz .LBB2_6605
; %bb.6604:                             ;   in Loop: Header=BB2_6555 Depth=2
	s_bcnt1_i32_b32 s23, s23
	v_mov_b32_e32 v9, v2
	v_mov_b32_e32 v8, s23
	s_waitcnt vmcnt(0) lgkmcnt(0)
	s_waitcnt_vscnt null, 0x0
	ds_add_u64 v0, v[8:9]
	s_trap 2
.LBB2_6605:                             ;   in Loop: Header=BB2_6555 Depth=2
	s_or_b32 exec_lo, exec_lo, s22
	s_trap 2
	ds_read_b64 v[8:9], v0
	s_waitcnt vmcnt(0) lgkmcnt(0)
	buffer_gl0_inv
	v_add_co_u32 v28, vcc_lo, v28, v87
	v_add_co_ci_u32_e64 v29, null, 0, v29, vcc_lo
	s_mov_b32 s22, exec_lo
	v_cmpx_lt_u64_e64 v[8:9], v[28:29]
	s_cbranch_execz .LBB2_6614
; %bb.6606:                             ;   in Loop: Header=BB2_6555 Depth=2
	s_mov_b32 s23, 0
	s_mov_b32 s63, 0
                                        ; implicit-def: $sgpr61
                                        ; implicit-def: $sgpr62
	s_inst_prefetch 0x1
	s_branch .LBB2_6608
	.p2align	6
.LBB2_6607:                             ;   in Loop: Header=BB2_6608 Depth=3
	s_or_b32 exec_lo, exec_lo, s73
	s_and_b32 s72, exec_lo, s74
	s_or_b32 s23, s72, s23
	s_andn2_b32 s61, s61, exec_lo
	s_and_b32 s72, s62, exec_lo
	s_or_b32 s61, s61, s72
	s_andn2_b32 exec_lo, exec_lo, s23
	s_cbranch_execz .LBB2_6612
.LBB2_6608:                             ;   Parent Loop BB2_47 Depth=1
                                        ;     Parent Loop BB2_6555 Depth=2
                                        ; =>    This Inner Loop Header: Depth=3
	s_add_i32 s63, s63, 1
	s_cmpk_lg_i32 s63, 0x2710
	s_cselect_b32 s72, -1, 0
	s_and_b32 vcc_lo, exec_lo, s72
	s_cbranch_vccz .LBB2_6610
; %bb.6609:                             ;   in Loop: Header=BB2_6608 Depth=3
	s_mov_b32 s74, -1
	s_or_b32 s62, s62, exec_lo
	s_and_saveexec_b32 s73, s72
	s_cbranch_execz .LBB2_6607
	s_branch .LBB2_6611
	.p2align	6
.LBB2_6610:                             ;   in Loop: Header=BB2_6608 Depth=3
	s_trap 2
	ds_read_b64 v[8:9], v0
	s_andn2_b32 s72, s72, exec_lo
	s_mov_b32 s63, 0
	s_waitcnt lgkmcnt(0)
	s_waitcnt_vscnt null, 0x0
	flat_load_dword v8, v[8:9] glc dlc
	s_waitcnt vmcnt(0) lgkmcnt(0)
	buffer_gl1_inv
	buffer_gl0_inv
	v_cmp_eq_u32_e32 vcc_lo, 0, v8
	s_and_b32 s73, vcc_lo, exec_lo
	s_or_b32 s72, s72, s73
	s_mov_b32 s74, -1
	s_or_b32 s62, s62, exec_lo
	s_and_saveexec_b32 s73, s72
	s_cbranch_execz .LBB2_6607
.LBB2_6611:                             ;   in Loop: Header=BB2_6608 Depth=3
	s_sleep 1
	s_trap 2
	ds_read_b64 v[8:9], v0
	s_waitcnt lgkmcnt(0)
	buffer_gl0_inv
	s_andn2_b32 s62, s62, exec_lo
	v_cmp_ge_u64_e32 vcc_lo, v[8:9], v[28:29]
	s_orn2_b32 s74, vcc_lo, exec_lo
	s_branch .LBB2_6607
.LBB2_6612:                             ;   in Loop: Header=BB2_6555 Depth=2
	s_inst_prefetch 0x2
	s_or_b32 exec_lo, exec_lo, s23
	s_and_saveexec_b32 s23, s61
	s_xor_b32 s23, exec_lo, s23
	s_cbranch_execz .LBB2_6614
; %bb.6613:                             ;   in Loop: Header=BB2_6555 Depth=2
	ds_write_b32 v0, v100
	s_trap 2
.LBB2_6614:                             ;   in Loop: Header=BB2_6555 Depth=2
	s_or_b32 exec_lo, exec_lo, s22
	;;#ASMSTART
	s_wakeup
	;;#ASMEND
.LBB2_6615:                             ;   in Loop: Header=BB2_6555 Depth=2
	s_or_b32 exec_lo, exec_lo, s21
.LBB2_6616:                             ;   in Loop: Header=BB2_6555 Depth=2
	s_andn2_saveexec_b32 s19, s19
	s_cbranch_execz .LBB2_6618
; %bb.6617:                             ;   in Loop: Header=BB2_6555 Depth=2
	;;#ASMSTART
	s_waitcnt lgkmcnt(0) vmcnt(0)
	;;#ASMEND
	s_barrier
.LBB2_6618:                             ;   in Loop: Header=BB2_6555 Depth=2
	s_or_b32 exec_lo, exec_lo, s19
.LBB2_6619:                             ;   in Loop: Header=BB2_6555 Depth=2
	s_or_b32 exec_lo, exec_lo, s16
	v_and_b32_e32 v8, 32, v84
	s_mov_b32 s16, exec_lo
	v_cmpx_ne_u32_e32 0, v8
	s_cbranch_execz .LBB2_6554
; %bb.6620:                             ;   in Loop: Header=BB2_6555 Depth=2
	v_add_co_u32 v50, vcc_lo, v50, 2
	v_add_co_ci_u32_e64 v51, null, 0, v51, vcc_lo
	s_waitcnt vmcnt(0) lgkmcnt(0)
	s_waitcnt_vscnt null, 0x0
	flat_store_dwordx2 v[22:23], v[50:51]
	s_branch .LBB2_6554
.LBB2_6621:
	s_or_b32 exec_lo, exec_lo, s27
.LBB2_6622:
	s_or_b32 exec_lo, exec_lo, s26
	v_and_b32_e32 v0, 0x800, v84
	s_mov_b32 s5, exec_lo
	v_cmpx_eq_u32_e32 0, v0
	s_cbranch_execz .LBB2_6655
; %bb.6623:
	v_and_b32_e32 v0, 48, v84
	s_mov_b32 s4, exec_lo
	v_cmpx_ne_u32_e32 0, v0
	s_cbranch_execz .LBB2_6625
; %bb.6624:
	flat_store_dwordx2 v[20:21], v[50:51] offset:104
.LBB2_6625:
	s_or_b32 exec_lo, exec_lo, s4
	v_and_b32_e32 v0, 0x88, v84
	s_mov_b32 s6, exec_lo
	v_cmpx_eq_u32_e32 0x88, v0
	s_cbranch_execz .LBB2_6635
; %bb.6626:
	v_add_nc_u32_e32 v0, 6, v50
	s_mov_b32 s7, 0
	v_and_b32_e32 v0, 7, v0
	v_mad_u64_u32 v[2:3], null, v0, 24, v[6:7]
	v_and_b32_e32 v0, 64, v84
	v_cmp_eq_u32_e64 s4, 0, v0
	flat_load_dwordx2 v[4:5], v[2:3] offset:8 glc dlc
	s_waitcnt vmcnt(0) lgkmcnt(0)
	v_cmp_ne_u64_e32 vcc_lo, -1, v[4:5]
	s_and_b32 s4, vcc_lo, s4
	s_and_b32 exec_lo, exec_lo, s4
	s_cbranch_execz .LBB2_6635
; %bb.6627:
	s_mov_b32 s11, 0
                                        ; implicit-def: $sgpr4
                                        ; implicit-def: $sgpr10
	s_inst_prefetch 0x1
	s_branch .LBB2_6630
	.p2align	6
.LBB2_6628:                             ;   in Loop: Header=BB2_6630 Depth=1
	flat_load_dwordx2 v[4:5], v[2:3] offset:8 glc dlc
	s_waitcnt vmcnt(0)
	s_andn2_b32 s10, s10, exec_lo
	s_waitcnt lgkmcnt(0)
	v_cmp_eq_u64_e32 vcc_lo, -1, v[4:5]
	s_orn2_b32 s13, vcc_lo, exec_lo
.LBB2_6629:                             ;   in Loop: Header=BB2_6630 Depth=1
	s_or_b32 exec_lo, exec_lo, s14
	s_and_b32 s12, exec_lo, s13
	s_or_b32 s7, s12, s7
	s_andn2_b32 s4, s4, exec_lo
	s_and_b32 s12, s10, exec_lo
	s_or_b32 s4, s4, s12
	s_andn2_b32 exec_lo, exec_lo, s7
	s_cbranch_execz .LBB2_6633
.LBB2_6630:                             ; =>This Inner Loop Header: Depth=1
	s_cmpk_lt_i32 s11, 0x270f
	s_cselect_b32 s12, -1, 0
	s_and_b32 vcc_lo, exec_lo, s12
	s_cbranch_vccnz .LBB2_6632
; %bb.6631:                             ;   in Loop: Header=BB2_6630 Depth=1
	s_trap 2
	ds_read_b64 v[4:5], v0
	s_andn2_b32 s12, s12, exec_lo
	s_mov_b32 s11, 0
	s_waitcnt lgkmcnt(0)
	s_waitcnt_vscnt null, 0x0
	flat_load_dword v0, v[4:5] glc dlc
	s_waitcnt vmcnt(0) lgkmcnt(0)
	buffer_gl1_inv
	buffer_gl0_inv
	v_cmp_eq_u32_e32 vcc_lo, 0, v0
	s_and_b32 s13, vcc_lo, exec_lo
	s_or_b32 s12, s12, s13
	s_mov_b32 s13, -1
	s_or_b32 s10, s10, exec_lo
	s_and_saveexec_b32 s14, s12
	s_cbranch_execz .LBB2_6629
	s_branch .LBB2_6628
	.p2align	6
.LBB2_6632:                             ;   in Loop: Header=BB2_6630 Depth=1
	s_add_i32 s11, s11, 1
                                        ; implicit-def: $vgpr0
	s_mov_b32 s13, -1
	s_or_b32 s10, s10, exec_lo
	s_and_saveexec_b32 s14, s12
	s_cbranch_execz .LBB2_6629
	s_branch .LBB2_6628
.LBB2_6633:
	s_inst_prefetch 0x2
	s_or_b32 exec_lo, exec_lo, s7
	s_and_saveexec_b32 s7, s4
	s_xor_b32 s7, exec_lo, s7
	s_cbranch_execz .LBB2_6635
; %bb.6634:
	s_waitcnt_vscnt null, 0x0
	ds_write_b32 v0, v0
	s_trap 2
.LBB2_6635:
	s_or_b32 exec_lo, exec_lo, s6
	v_and_b32_e32 v0, 0x2000, v84
	s_mov_b32 s4, exec_lo
	v_cmpx_ne_u32_e32 0, v0
	s_cbranch_execz .LBB2_6637
; %bb.6636:
	s_trap 2
	ds_read_b64 v[2:3], v0
	s_waitcnt lgkmcnt(0)
	flat_store_dwordx2 v[18:19], v[2:3] offset:16
.LBB2_6637:
	s_or_b32 exec_lo, exec_lo, s4
	v_cmp_ne_u32_e32 vcc_lo, 32, v1
	s_and_b32 exec_lo, exec_lo, vcc_lo
	s_cbranch_execz .LBB2_6655
; %bb.6638:
	s_waitcnt vmcnt(0)
	v_cmp_ne_u32_sdwa s4, v1, v30 src0_sel:DWORD src1_sel:WORD_0
	s_and_saveexec_b32 s6, s4
	s_xor_b32 s4, exec_lo, s6
	s_cbranch_execz .LBB2_6653
; %bb.6639:
	v_and_b32_e32 v0, 31, v31
	s_mov_b32 s6, exec_lo
	v_cmpx_eq_u32_e32 0, v0
	s_cbranch_execz .LBB2_6652
; %bb.6640:
	s_mov_b32 s10, exec_lo
	s_mov_b32 s7, exec_lo
	v_mbcnt_lo_u32_b32 v0, s10, 0
	s_waitcnt lgkmcnt(0)
	s_waitcnt_vscnt null, 0x0
	buffer_gl1_inv
	buffer_gl0_inv
	v_cmpx_eq_u32_e32 0, v0
	s_cbranch_execz .LBB2_6642
; %bb.6641:
	s_bcnt1_i32_b32 s10, s10
	v_mov_b32_e32 v3, 0
	v_mov_b32_e32 v2, s10
	ds_add_u64 v0, v[2:3]
	s_trap 2
.LBB2_6642:
	s_or_b32 exec_lo, exec_lo, s7
	s_trap 2
	ds_read_b64 v[2:3], v0
	s_waitcnt lgkmcnt(0)
	buffer_gl0_inv
	v_lshrrev_b32_e32 v0, 5, v1
	s_mov_b32 s7, exec_lo
	v_add_co_u32 v0, vcc_lo, v28, v0
	v_add_co_ci_u32_e64 v1, null, 0, v29, vcc_lo
	v_cmpx_lt_u64_e64 v[2:3], v[0:1]
	s_cbranch_execz .LBB2_6651
; %bb.6643:
	s_mov_b32 s10, 0
	s_mov_b32 s13, 0
                                        ; implicit-def: $sgpr11
                                        ; implicit-def: $sgpr12
	s_inst_prefetch 0x1
	s_branch .LBB2_6645
	.p2align	6
.LBB2_6644:                             ;   in Loop: Header=BB2_6645 Depth=1
	s_or_b32 exec_lo, exec_lo, s15
	s_and_b32 s14, exec_lo, s16
	s_or_b32 s10, s14, s10
	s_andn2_b32 s11, s11, exec_lo
	s_and_b32 s14, s12, exec_lo
	s_or_b32 s11, s11, s14
	s_andn2_b32 exec_lo, exec_lo, s10
	s_cbranch_execz .LBB2_6649
.LBB2_6645:                             ; =>This Inner Loop Header: Depth=1
	s_add_i32 s13, s13, 1
	s_cmpk_lg_i32 s13, 0x2710
	s_cselect_b32 s14, -1, 0
	s_and_b32 vcc_lo, exec_lo, s14
	s_cbranch_vccz .LBB2_6647
; %bb.6646:                             ;   in Loop: Header=BB2_6645 Depth=1
	s_mov_b32 s16, -1
	s_or_b32 s12, s12, exec_lo
	s_and_saveexec_b32 s15, s14
	s_cbranch_execz .LBB2_6644
	s_branch .LBB2_6648
.LBB2_6647:                             ;   in Loop: Header=BB2_6645 Depth=1
	s_trap 2
	ds_read_b64 v[2:3], v0
	s_andn2_b32 s14, s14, exec_lo
	s_mov_b32 s13, 0
	s_waitcnt lgkmcnt(0)
	flat_load_dword v2, v[2:3] glc dlc
	s_waitcnt vmcnt(0) lgkmcnt(0)
	buffer_gl1_inv
	buffer_gl0_inv
	v_cmp_eq_u32_e32 vcc_lo, 0, v2
	s_and_b32 s15, vcc_lo, exec_lo
	s_or_b32 s14, s14, s15
	s_mov_b32 s16, -1
	s_or_b32 s12, s12, exec_lo
	s_and_saveexec_b32 s15, s14
	s_cbranch_execz .LBB2_6644
.LBB2_6648:                             ;   in Loop: Header=BB2_6645 Depth=1
	s_sleep 1
	s_trap 2
	ds_read_b64 v[2:3], v0
	s_waitcnt lgkmcnt(0)
	buffer_gl0_inv
	s_andn2_b32 s12, s12, exec_lo
	v_cmp_ge_u64_e32 vcc_lo, v[2:3], v[0:1]
	s_orn2_b32 s16, vcc_lo, exec_lo
	s_branch .LBB2_6644
.LBB2_6649:
	s_inst_prefetch 0x2
	s_or_b32 exec_lo, exec_lo, s10
	s_and_saveexec_b32 s10, s11
	s_xor_b32 s10, exec_lo, s10
	s_cbranch_execz .LBB2_6651
; %bb.6650:
	v_mov_b32_e32 v0, 1
	ds_write_b32 v0, v0
	s_trap 2
.LBB2_6651:
	s_or_b32 exec_lo, exec_lo, s7
	;;#ASMSTART
	s_wakeup
	;;#ASMEND
.LBB2_6652:
	s_or_b32 exec_lo, exec_lo, s6
.LBB2_6653:
	s_andn2_saveexec_b32 s4, s4
	s_cbranch_execz .LBB2_6655
; %bb.6654:
	s_waitcnt lgkmcnt(0)
	s_waitcnt_vscnt null, 0x0
	buffer_gl1_inv
	buffer_gl0_inv
	s_barrier
.LBB2_6655:
	s_or_b32 exec_lo, exec_lo, s5
.LBB2_6656:
	s_andn2_saveexec_b32 s25, s24
	s_cbranch_execz .LBB2_6658
; %bb.6657:
	s_getpc_b64 s[4:5]
	s_add_u32 s4, s4, __PRETTY_FUNCTION__._ZN10PrimitivesI11rccl_float810FuncMinMaxIS0_E12FanSymmetricILi1EELi0E11ProtoSimpleILi2ELi2ELi0ELi1ELi0ELi0EELi0ELb0ELi0ELi0ELi0EEC2EiiPKiS9_PKvPvmhhhP15ncclDevWorkCollP14ncclDevWorkP2pii@rel32@lo+4
	s_addc_u32 s5, s5, __PRETTY_FUNCTION__._ZN10PrimitivesI11rccl_float810FuncMinMaxIS0_E12FanSymmetricILi1EELi0E11ProtoSimpleILi2ELi2ELi0ELi1ELi0ELi0EELi0ELb0ELi0ELi0ELi0EEC2EiiPKiS9_PKvPvmhhhP15ncclDevWorkCollP14ncclDevWorkP2pii@rel32@hi+12
	v_mov_b32_e32 v0, s4
	v_mov_b32_e32 v1, s5
	s_getpc_b64 s[6:7]
	s_add_u32 s6, s6, __assert_fail@rel32@lo+4
	s_addc_u32 s7, s7, __assert_fail@rel32@hi+12
	s_swappc_b64 s[30:31], s[6:7]
	; divergent unreachable
.LBB2_6658:
	s_or_b32 exec_lo, exec_lo, s25
	s_clause 0x24
	buffer_load_dword v108, off, s[0:3], s33
	buffer_load_dword v107, off, s[0:3], s33 offset:4
	buffer_load_dword v106, off, s[0:3], s33 offset:8
	;; [unrolled: 1-line block ×36, first 2 shown]
	v_readlane_b32 s30, v109, 0
	v_readlane_b32 s31, v109, 1
	s_mov_b32 s32, s33
	s_or_saveexec_b32 s4, -1
	buffer_load_dword v109, off, s[0:3], s33 offset:148 ; 4-byte Folded Reload
	s_mov_b32 exec_lo, s4
	s_mov_b32 s33, s88
	s_waitcnt vmcnt(0) lgkmcnt(0)
	s_setpc_b64 s[30:31]
.Lfunc_end2:
	.size	_ZN12_GLOBAL__N_17runRingI11rccl_float810FuncMinMaxIS1_E11ProtoSimpleILi2ELi2ELi0ELi1ELi0ELi0EELi0ELi0ELi1ELi0EEEviiP15ncclDevWorkColl, .Lfunc_end2-_ZN12_GLOBAL__N_17runRingI11rccl_float810FuncMinMaxIS1_E11ProtoSimpleILi2ELi2ELi0ELi1ELi0ELi0EELi0ELi0ELi1ELi0EEEviiP15ncclDevWorkColl
                                        ; -- End function
	.set .L_ZN12_GLOBAL__N_17runRingI11rccl_float810FuncMinMaxIS1_E11ProtoSimpleILi2ELi2ELi0ELi1ELi0ELi0EELi0ELi0ELi1ELi0EEEviiP15ncclDevWorkColl.num_vgpr, max(120, .L__assert_fail.num_vgpr)
	.set .L_ZN12_GLOBAL__N_17runRingI11rccl_float810FuncMinMaxIS1_E11ProtoSimpleILi2ELi2ELi0ELi1ELi0ELi0EELi0ELi0ELi1ELi0EEEviiP15ncclDevWorkColl.num_agpr, max(0, .L__assert_fail.num_agpr)
	.set .L_ZN12_GLOBAL__N_17runRingI11rccl_float810FuncMinMaxIS1_E11ProtoSimpleILi2ELi2ELi0ELi1ELi0ELi0EELi0ELi0ELi1ELi0EEEviiP15ncclDevWorkColl.numbered_sgpr, max(89, .L__assert_fail.numbered_sgpr)
	.set .L_ZN12_GLOBAL__N_17runRingI11rccl_float810FuncMinMaxIS1_E11ProtoSimpleILi2ELi2ELi0ELi1ELi0ELi0EELi0ELi0ELi1ELi0EEEviiP15ncclDevWorkColl.num_named_barrier, max(0, .L__assert_fail.num_named_barrier)
	.set .L_ZN12_GLOBAL__N_17runRingI11rccl_float810FuncMinMaxIS1_E11ProtoSimpleILi2ELi2ELi0ELi1ELi0ELi0EELi0ELi0ELi1ELi0EEEviiP15ncclDevWorkColl.private_seg_size, 160+max(.L__assert_fail.private_seg_size)
	.set .L_ZN12_GLOBAL__N_17runRingI11rccl_float810FuncMinMaxIS1_E11ProtoSimpleILi2ELi2ELi0ELi1ELi0ELi0EELi0ELi0ELi1ELi0EEEviiP15ncclDevWorkColl.uses_vcc, or(1, .L__assert_fail.uses_vcc)
	.set .L_ZN12_GLOBAL__N_17runRingI11rccl_float810FuncMinMaxIS1_E11ProtoSimpleILi2ELi2ELi0ELi1ELi0ELi0EELi0ELi0ELi1ELi0EEEviiP15ncclDevWorkColl.uses_flat_scratch, or(1, .L__assert_fail.uses_flat_scratch)
	.set .L_ZN12_GLOBAL__N_17runRingI11rccl_float810FuncMinMaxIS1_E11ProtoSimpleILi2ELi2ELi0ELi1ELi0ELi0EELi0ELi0ELi1ELi0EEEviiP15ncclDevWorkColl.has_dyn_sized_stack, or(0, .L__assert_fail.has_dyn_sized_stack)
	.set .L_ZN12_GLOBAL__N_17runRingI11rccl_float810FuncMinMaxIS1_E11ProtoSimpleILi2ELi2ELi0ELi1ELi0ELi0EELi0ELi0ELi1ELi0EEEviiP15ncclDevWorkColl.has_recursion, or(1, .L__assert_fail.has_recursion)
	.set .L_ZN12_GLOBAL__N_17runRingI11rccl_float810FuncMinMaxIS1_E11ProtoSimpleILi2ELi2ELi0ELi1ELi0ELi0EELi0ELi0ELi1ELi0EEEviiP15ncclDevWorkColl.has_indirect_call, or(0, .L__assert_fail.has_indirect_call)
	.section	.AMDGPU.csdata,"",@progbits
; Function info:
; codeLenInByte = 202824
; TotalNumSgprs: 91
; NumVgprs: 120
; ScratchSize: 224
; MemoryBound: 1
	.text
	.p2align	2                               ; -- Begin function _Z53ncclDevFunc_AllReduce_RING_SIMPLE_MinMax_f8e4m3_0_0_1v
	.type	_Z53ncclDevFunc_AllReduce_RING_SIMPLE_MinMax_f8e4m3_0_0_1v,@function
_Z53ncclDevFunc_AllReduce_RING_SIMPLE_MinMax_f8e4m3_0_0_1v: ; @_Z53ncclDevFunc_AllReduce_RING_SIMPLE_MinMax_f8e4m3_0_0_1v
; %bb.0:
	s_waitcnt vmcnt(0) expcnt(0) lgkmcnt(0)
	s_mov_b32 s94, s33
	s_mov_b32 s33, s32
	s_or_saveexec_b32 s4, -1
	buffer_store_dword v43, off, s[0:3], s33 offset:16 ; 4-byte Folded Spill
	s_mov_b32 exec_lo, s4
	s_addk_i32 s32, 0x400
	buffer_store_dword v40, off, s[0:3], s33 offset:12 ; 4-byte Folded Spill
	buffer_store_dword v41, off, s[0:3], s33 offset:8 ; 4-byte Folded Spill
	;; [unrolled: 1-line block ×3, first 2 shown]
	buffer_store_dword v109, off, s[0:3], s33 ; 4-byte Folded Spill
	v_writelane_b32 v43, s34, 0
	v_writelane_b32 v43, s35, 1
	v_writelane_b32 v43, s30, 2
	v_writelane_b32 v43, s31, 3
	s_trap 2
	ds_read_b32 v0, v0
	v_mov_b32_e32 v40, v31
	s_mov_b32 s89, s12
	s_mov_b64 s[90:91], s[8:9]
	s_mov_b32 s4, exec_lo
	v_and_b32_e32 v41, 0x3ff, v40
	s_waitcnt lgkmcnt(0)
	v_cmpx_lt_i32_e64 v41, v0
	s_cbranch_execz .LBB3_5
; %bb.1:
	s_load_dword s5, s[90:91], 0x0
	v_mov_b32_e32 v1, 0
	v_mov_b32_e32 v3, v41
                                        ; implicit-def: $vgpr4
	s_waitcnt lgkmcnt(0)
	s_cmp_lt_u32 s89, s5
	s_cselect_b32 s5, 12, 18
	s_add_u32 s6, s90, s5
	s_addc_u32 s7, s91, 0
	s_mov_b32 s5, 0
	global_load_ushort v1, v1, s[6:7]
	s_trap 2
	ds_read_b32 v2, v0
	s_mov_b32 s6, 0
	s_waitcnt vmcnt(0) lgkmcnt(0)
	v_mul_lo_u32 v2, v2, v1
	s_branch .LBB3_3
	.p2align	6
.LBB3_2:                                ;   in Loop: Header=BB3_3 Depth=1
	s_or_b32 exec_lo, exec_lo, s7
	v_add_nc_u32_e32 v3, v3, v1
	v_add_nc_u32_e32 v4, v4, v2
	v_cmp_ge_i32_e32 vcc_lo, v3, v0
	s_or_b32 s6, vcc_lo, s6
	s_andn2_b32 exec_lo, exec_lo, s6
	s_cbranch_execz .LBB3_5
.LBB3_3:                                ; =>This Inner Loop Header: Depth=1
	ds_read_b32 v5, v4
	s_mov_b32 s7, exec_lo
	s_waitcnt lgkmcnt(0)
	v_and_b32_e32 v5, 0x1000000, v5
	v_cmpx_ne_u32_e32 0, v5
	s_cbranch_execz .LBB3_2
; %bb.4:                                ;   in Loop: Header=BB3_3 Depth=1
	ds_read_b64 v[5:6], v4 offset:104
	s_waitcnt lgkmcnt(0)
	flat_load_ubyte v5, v[5:6]
	v_mov_b32_e32 v6, s5
	s_waitcnt vmcnt(0) lgkmcnt(0)
	v_and_b32_e32 v5, 0xffff, v5
	ds_write_b64 v4, v[5:6] offset:104
	s_branch .LBB3_2
.LBB3_5:
	s_or_b32 exec_lo, exec_lo, s4
	s_waitcnt lgkmcnt(0)
	s_waitcnt_vscnt null, 0x0
	s_barrier
	buffer_gl0_inv
	s_trap 2
	ds_read_b32 v0, v0
	s_waitcnt lgkmcnt(0)
	v_cmp_gt_i32_e32 vcc_lo, 1, v0
	s_cbranch_vccnz .LBB3_13
; %bb.6:
	v_mov_b32_e32 v42, 5
	s_mov_b32 s92, 0
	s_inst_prefetch 0x1
	s_branch .LBB3_8
	.p2align	6
.LBB3_7:                                ;   in Loop: Header=BB3_8 Depth=1
	s_or_b32 exec_lo, exec_lo, s93
	s_trap 2
	ds_read_b32 v0, v0
	s_add_i32 s92, s92, 1
	s_waitcnt lgkmcnt(0)
	v_cmp_lt_i32_e32 vcc_lo, s92, v0
	s_cbranch_vccz .LBB3_13
.LBB3_8:                                ; =>This Inner Loop Header: Depth=1
	s_trap 2
	ds_read_b32 v0, v0
	s_cmp_eq_u32 s92, 0
	s_cbranch_scc1 .LBB3_11
; %bb.9:                                ;   in Loop: Header=BB3_8 Depth=1
	s_trap 2
	s_waitcnt lgkmcnt(0)
	ds_read_b32 v1, v0
	s_waitcnt lgkmcnt(0)
	v_xor_b32_e32 v1, v1, v0
	v_and_b32_e32 v1, 0xff0000, v1
	v_cmp_eq_u32_e32 vcc_lo, 0, v1
	s_cbranch_vccnz .LBB3_11
; %bb.10:                               ;   in Loop: Header=BB3_8 Depth=1
	s_barrier
	buffer_gl0_inv
	ds_read_b32 v0, v0
.LBB3_11:                               ;   in Loop: Header=BB3_8 Depth=1
	s_waitcnt lgkmcnt(0)
	v_lshlrev_b32_sdwa v1, v42, v0 dst_sel:DWORD dst_unused:UNUSED_PAD src0_sel:DWORD src1_sel:BYTE_2
	s_mov_b32 s93, exec_lo
	v_cmpx_lt_u32_e64 v41, v1
	s_cbranch_execz .LBB3_7
; %bb.12:                               ;   in Loop: Header=BB3_8 Depth=1
	s_mov_b64 s[4:5], src_shared_base
	v_mov_b32_e32 v31, v40
	v_mov_b32_e32 v0, v41
	;; [unrolled: 1-line block ×3, first 2 shown]
	s_getpc_b64 s[6:7]
	s_add_u32 s6, s6, _ZN12_GLOBAL__N_17runRingI11rccl_float810FuncMinMaxIS1_E11ProtoSimpleILi2ELi2ELi0ELi1ELi0ELi0EELi0ELi0ELi1ELi0EEEviiP15ncclDevWorkColl@rel32@lo+4
	s_addc_u32 s7, s7, _ZN12_GLOBAL__N_17runRingI11rccl_float810FuncMinMaxIS1_E11ProtoSimpleILi2ELi2ELi0ELi1ELi0ELi0EELi0ELi0ELi1ELi0EEEviiP15ncclDevWorkColl@rel32@hi+12
	s_mov_b64 s[8:9], s[90:91]
	s_mov_b32 s12, s89
	s_swappc_b64 s[30:31], s[6:7]
	s_branch .LBB3_7
.LBB3_13:
	s_inst_prefetch 0x2
	s_clause 0x3
	buffer_load_dword v109, off, s[0:3], s33
	buffer_load_dword v42, off, s[0:3], s33 offset:4
	buffer_load_dword v41, off, s[0:3], s33 offset:8
	;; [unrolled: 1-line block ×3, first 2 shown]
	v_readlane_b32 s30, v43, 2
	v_readlane_b32 s31, v43, 3
	;; [unrolled: 1-line block ×4, first 2 shown]
	s_mov_b32 s32, s33
	s_or_saveexec_b32 s4, -1
	buffer_load_dword v43, off, s[0:3], s33 offset:16 ; 4-byte Folded Reload
	s_mov_b32 exec_lo, s4
	s_mov_b32 s33, s94
	s_waitcnt vmcnt(0)
	s_setpc_b64 s[30:31]
.Lfunc_end3:
	.size	_Z53ncclDevFunc_AllReduce_RING_SIMPLE_MinMax_f8e4m3_0_0_1v, .Lfunc_end3-_Z53ncclDevFunc_AllReduce_RING_SIMPLE_MinMax_f8e4m3_0_0_1v
                                        ; -- End function
	.set .L_Z53ncclDevFunc_AllReduce_RING_SIMPLE_MinMax_f8e4m3_0_0_1v.num_vgpr, max(110, .L_ZN12_GLOBAL__N_17runRingI11rccl_float810FuncMinMaxIS1_E11ProtoSimpleILi2ELi2ELi0ELi1ELi0ELi0EELi0ELi0ELi1ELi0EEEviiP15ncclDevWorkColl.num_vgpr)
	.set .L_Z53ncclDevFunc_AllReduce_RING_SIMPLE_MinMax_f8e4m3_0_0_1v.num_agpr, max(0, .L_ZN12_GLOBAL__N_17runRingI11rccl_float810FuncMinMaxIS1_E11ProtoSimpleILi2ELi2ELi0ELi1ELi0ELi0EELi0ELi0ELi1ELi0EEEviiP15ncclDevWorkColl.num_agpr)
	.set .L_Z53ncclDevFunc_AllReduce_RING_SIMPLE_MinMax_f8e4m3_0_0_1v.numbered_sgpr, max(95, .L_ZN12_GLOBAL__N_17runRingI11rccl_float810FuncMinMaxIS1_E11ProtoSimpleILi2ELi2ELi0ELi1ELi0ELi0EELi0ELi0ELi1ELi0EEEviiP15ncclDevWorkColl.numbered_sgpr)
	.set .L_Z53ncclDevFunc_AllReduce_RING_SIMPLE_MinMax_f8e4m3_0_0_1v.num_named_barrier, max(0, .L_ZN12_GLOBAL__N_17runRingI11rccl_float810FuncMinMaxIS1_E11ProtoSimpleILi2ELi2ELi0ELi1ELi0ELi0EELi0ELi0ELi1ELi0EEEviiP15ncclDevWorkColl.num_named_barrier)
	.set .L_Z53ncclDevFunc_AllReduce_RING_SIMPLE_MinMax_f8e4m3_0_0_1v.private_seg_size, 32+max(.L_ZN12_GLOBAL__N_17runRingI11rccl_float810FuncMinMaxIS1_E11ProtoSimpleILi2ELi2ELi0ELi1ELi0ELi0EELi0ELi0ELi1ELi0EEEviiP15ncclDevWorkColl.private_seg_size)
	.set .L_Z53ncclDevFunc_AllReduce_RING_SIMPLE_MinMax_f8e4m3_0_0_1v.uses_vcc, or(1, .L_ZN12_GLOBAL__N_17runRingI11rccl_float810FuncMinMaxIS1_E11ProtoSimpleILi2ELi2ELi0ELi1ELi0ELi0EELi0ELi0ELi1ELi0EEEviiP15ncclDevWorkColl.uses_vcc)
	.set .L_Z53ncclDevFunc_AllReduce_RING_SIMPLE_MinMax_f8e4m3_0_0_1v.uses_flat_scratch, or(0, .L_ZN12_GLOBAL__N_17runRingI11rccl_float810FuncMinMaxIS1_E11ProtoSimpleILi2ELi2ELi0ELi1ELi0ELi0EELi0ELi0ELi1ELi0EEEviiP15ncclDevWorkColl.uses_flat_scratch)
	.set .L_Z53ncclDevFunc_AllReduce_RING_SIMPLE_MinMax_f8e4m3_0_0_1v.has_dyn_sized_stack, or(0, .L_ZN12_GLOBAL__N_17runRingI11rccl_float810FuncMinMaxIS1_E11ProtoSimpleILi2ELi2ELi0ELi1ELi0ELi0EELi0ELi0ELi1ELi0EEEviiP15ncclDevWorkColl.has_dyn_sized_stack)
	.set .L_Z53ncclDevFunc_AllReduce_RING_SIMPLE_MinMax_f8e4m3_0_0_1v.has_recursion, or(1, .L_ZN12_GLOBAL__N_17runRingI11rccl_float810FuncMinMaxIS1_E11ProtoSimpleILi2ELi2ELi0ELi1ELi0ELi0EELi0ELi0ELi1ELi0EEEviiP15ncclDevWorkColl.has_recursion)
	.set .L_Z53ncclDevFunc_AllReduce_RING_SIMPLE_MinMax_f8e4m3_0_0_1v.has_indirect_call, or(0, .L_ZN12_GLOBAL__N_17runRingI11rccl_float810FuncMinMaxIS1_E11ProtoSimpleILi2ELi2ELi0ELi1ELi0ELi0EELi0ELi0ELi1ELi0EEEviiP15ncclDevWorkColl.has_indirect_call)
	.section	.AMDGPU.csdata,"",@progbits
; Function info:
; codeLenInByte = 744
; TotalNumSgprs: 97
; NumVgprs: 120
; ScratchSize: 256
; MemoryBound: 0
	.text
	.p2align	2                               ; -- Begin function _ZN12_GLOBAL__N_17runRingI11rccl_float810FuncMinMaxIS1_E11ProtoSimpleILi2ELi2ELi0ELi2ELi0ELi0EELi0ELi0ELi2ELi0EEEviiP15ncclDevWorkColl
	.type	_ZN12_GLOBAL__N_17runRingI11rccl_float810FuncMinMaxIS1_E11ProtoSimpleILi2ELi2ELi0ELi2ELi0ELi0EELi0ELi0ELi2ELi0EEEviiP15ncclDevWorkColl,@function
_ZN12_GLOBAL__N_17runRingI11rccl_float810FuncMinMaxIS1_E11ProtoSimpleILi2ELi2ELi0ELi2ELi0ELi0EELi0ELi0ELi2ELi0EEEviiP15ncclDevWorkColl: ; @_ZN12_GLOBAL__N_17runRingI11rccl_float810FuncMinMaxIS1_E11ProtoSimpleILi2ELi2ELi0ELi2ELi0ELi0EELi0ELi0ELi2ELi0EEEviiP15ncclDevWorkColl
; %bb.0:
	s_waitcnt vmcnt(0) expcnt(0) lgkmcnt(0)
	s_mov_b32 s88, s33
	s_mov_b32 s33, s32
	s_or_saveexec_b32 s4, -1
	buffer_store_dword v127, off, s[0:3], s33 offset:188 ; 4-byte Folded Spill
	s_mov_b32 exec_lo, s4
	s_addk_i32 s32, 0x1a00
	buffer_store_dword v40, off, s[0:3], s33 offset:184 ; 4-byte Folded Spill
	buffer_store_dword v41, off, s[0:3], s33 offset:180 ; 4-byte Folded Spill
	;; [unrolled: 1-line block ×46, first 2 shown]
	buffer_store_dword v126, off, s[0:3], s33 ; 4-byte Folded Spill
	v_writelane_b32 v127, s30, 0
	v_writelane_b32 v127, s31, 1
	s_trap 2
	flat_load_dword v9, v[2:3]
	ds_read_b32 v6, v0
                                        ; implicit-def: $vgpr14_vgpr15
                                        ; implicit-def: $vgpr24_vgpr25
                                        ; implicit-def: $vgpr4_vgpr5
	s_waitcnt lgkmcnt(0)
	v_readfirstlane_b32 s25, v6
	s_waitcnt vmcnt(0)
	v_cmp_ne_u32_sdwa s4, v6, v9 src0_sel:DWORD src1_sel:BYTE_0
	s_and_saveexec_b32 s5, s4
	s_xor_b32 s4, exec_lo, s5
	s_cbranch_execz .LBB4_6
; %bb.1:
	v_not_b32_sdwa v8, v9 dst_sel:DWORD dst_unused:UNUSED_PAD src0_sel:BYTE_0
	v_cmp_ne_u32_sdwa s5, v6, v9 src0_sel:DWORD src1_sel:BYTE_1
                                        ; implicit-def: $vgpr14_vgpr15
                                        ; implicit-def: $vgpr24_vgpr25
                                        ; implicit-def: $vgpr4_vgpr5
	s_and_saveexec_b32 s6, s5
	s_xor_b32 s5, exec_lo, s6
	s_cbranch_execz .LBB4_3
; %bb.2:
	s_clause 0x1
	flat_load_dwordx4 v[9:12], v[2:3] offset:72
	flat_load_dwordx2 v[4:5], v[2:3] offset:96
	v_add_nc_u32_e32 v6, v6, v8
                                        ; implicit-def: $vgpr8
	v_ashrrev_i32_e32 v7, 31, v6
	s_waitcnt vmcnt(1) lgkmcnt(1)
	v_mul_lo_u32 v7, v11, v7
	v_mad_u64_u32 v[24:25], null, v11, v6, v[9:10]
	v_mul_lo_u32 v6, v12, v6
	s_waitcnt vmcnt(0) lgkmcnt(0)
	v_lshrrev_b64 v[14:15], 12, v[4:5]
	v_mov_b32_e32 v4, v11
	v_mov_b32_e32 v5, v12
                                        ; implicit-def: $vgpr9
	v_add3_u32 v25, v6, v25, v7
.LBB4_3:
	s_andn2_saveexec_b32 s5, s5
	s_cbranch_execz .LBB4_5
; %bb.4:
	s_clause 0x1
	flat_load_dwordx4 v[10:13], v[2:3] offset:72
	flat_load_dwordx4 v[4:7], v[2:3] offset:88
	s_waitcnt vmcnt(0) lgkmcnt(0)
	v_add_nc_u32_sdwa v6, v9, v8 dst_sel:DWORD dst_unused:UNUSED_PAD src0_sel:BYTE_1 src1_sel:DWORD
	v_ashrrev_i32_e32 v8, 31, v6
	v_mul_lo_u32 v8, v12, v8
	v_mad_u64_u32 v[24:25], null, v12, v6, v[10:11]
	v_mul_lo_u32 v6, v13, v6
	v_lshrrev_b32_e32 v14, 1, v7
	v_add3_u32 v25, v6, v25, v8
.LBB4_5:
	s_or_b32 exec_lo, exec_lo, s5
.LBB4_6:
	s_andn2_saveexec_b32 s4, s4
	s_cbranch_execz .LBB4_8
; %bb.7:
	s_clause 0x1
	flat_load_dwordx2 v[6:7], v[2:3] offset:96
	flat_load_dwordx2 v[4:5], v[2:3] offset:72
	v_mov_b32_e32 v24, 0
	v_mov_b32_e32 v25, 0
	s_waitcnt vmcnt(1) lgkmcnt(1)
	v_lshlrev_b64 v[14:15], 9, v[6:7]
.LBB4_8:
	s_or_b32 exec_lo, exec_lo, s4
	s_trap 2
	ds_read_b64 v[6:7], v0
	s_mov_b32 s5, exec_lo
	s_waitcnt lgkmcnt(0)
	v_cmp_ne_u32_e32 vcc_lo, -1, v6
	v_cndmask_b32_e64 v19, 0, 1, vcc_lo
	v_cmp_ne_u32_e32 vcc_lo, -1, v7
	v_add_co_ci_u32_e64 v8, null, 0, v19, vcc_lo
	v_lshlrev_b32_e32 v6, 1, v8
	v_cmpx_le_u32_e64 v6, v1
	s_xor_b32 s24, exec_lo, s5
	s_cbranch_execnz .LBB4_9
; %bb.9827:
	s_getpc_b64 s[34:35]
.Lpost_getpc7:
	s_add_u32 s34, s34, (.LBB4_9820-.Lpost_getpc7)&4294967295
	s_addc_u32 s35, s35, (.LBB4_9820-.Lpost_getpc7)>>32
	s_setpc_b64 s[34:35]
.LBB4_9:
	s_clause 0x3
	flat_load_dwordx4 v[10:13], v[2:3] offset:16
	flat_load_dwordx2 v[15:16], v[2:3] offset:104
	flat_load_ushort v7, v[2:3] offset:8
	flat_load_dword v6, v[2:3] offset:4
	s_trap 2
	s_load_dword s4, s[8:9], 0x0
	v_mov_b32_e32 v9, 0
	v_mov_b32_e32 v100, 4
	s_waitcnt lgkmcnt(0)
	s_cmp_lt_u32 s12, s4
	s_cselect_b32 s4, 12, 18
	s_add_u32 s4, s8, s4
	s_addc_u32 s5, s9, 0
	global_load_ushort v30, v9, s[4:5]
	ds_read_b32 v9, v0
	s_mov_b32 s5, exec_lo
	s_waitcnt lgkmcnt(0)
	v_readfirstlane_b32 s15, v9
	v_cmpx_ge_u32_e64 v0, v19
	s_cbranch_execz .LBB4_19
; %bb.10:
	v_cmp_ge_u32_e64 s4, v0, v8
                                        ; implicit-def: $vgpr100
	s_and_saveexec_b32 s6, s4
	s_xor_b32 s4, exec_lo, s6
	s_cbranch_execz .LBB4_16
; %bb.11:
	v_cndmask_b32_e64 v9, 0, 1, vcc_lo
	s_mov_b32 s6, exec_lo
	v_sub_nc_u32_e32 v9, v1, v9
	v_cmpx_ge_u32_e64 v0, v9
	s_xor_b32 s6, exec_lo, s6
; %bb.12:
                                        ; implicit-def: $vgpr8
; %bb.13:
	s_or_saveexec_b32 s6, s6
	v_mov_b32_e32 v100, 16
	s_xor_b32 exec_lo, exec_lo, s6
; %bb.14:
	v_sub_nc_u32_e32 v8, v1, v8
	v_cmp_lt_i32_e32 vcc_lo, v0, v8
	v_cndmask_b32_e64 v100, 32, 0, vcc_lo
; %bb.15:
	s_or_b32 exec_lo, exec_lo, s6
.LBB4_16:
	s_andn2_saveexec_b32 s4, s4
; %bb.17:
	v_mov_b32_e32 v100, 8
; %bb.18:
	s_or_b32 exec_lo, exec_lo, s4
.LBB4_19:
	s_or_b32 exec_lo, exec_lo, s5
	v_and_b32_e32 v8, 36, v100
	v_cmp_ne_u32_e32 vcc_lo, 0, v8
	v_mov_b32_e32 v8, -1
	s_and_saveexec_b32 s4, vcc_lo
	s_cbranch_execz .LBB4_21
; %bb.20:
	s_trap 2
	ds_read_b32 v8, v0
.LBB4_21:
	s_or_b32 exec_lo, exec_lo, s4
	v_and_b32_e32 v9, 24, v100
	s_mov_b32 s5, exec_lo
	v_cmpx_ne_u32_e32 0, v9
	s_cbranch_execz .LBB4_23
; %bb.22:
	s_trap 2
	s_waitcnt lgkmcnt(0)
	ds_read_b32 v8, v0
.LBB4_23:
	s_or_b32 exec_lo, exec_lo, s5
	s_waitcnt vmcnt(1)
	v_lshrrev_b64 v[17:18], 31, v[6:7]
	v_mov_b32_e32 v28, 0
	v_mov_b32_e32 v6, 0
	;; [unrolled: 1-line block ×4, first 2 shown]
                                        ; implicit-def: $vgpr26_vgpr27
                                        ; implicit-def: $vgpr101
                                        ; implicit-def: $vgpr64_vgpr65
                                        ; implicit-def: $vgpr34_vgpr35
                                        ; implicit-def: $vgpr48_vgpr49
                                        ; implicit-def: $vgpr32_vgpr33
	v_and_b32_e32 v20, 3, v17
	s_and_saveexec_b32 s4, vcc_lo
	s_cbranch_execz .LBB4_33
; %bb.24:
	s_trap 2
	ds_read_b64 v[6:7], v0
	s_waitcnt lgkmcnt(1)
	v_ashrrev_i32_e32 v9, 31, v8
	s_mov_b32 s5, exec_lo
                                        ; implicit-def: $vgpr26_vgpr27
	v_lshlrev_b64 v[17:18], 3, v[8:9]
	v_and_b32_e32 v9, 0xffff, v20
	s_waitcnt lgkmcnt(0)
	v_add_co_u32 v6, vcc_lo, v6, v17
	v_add_co_ci_u32_e64 v7, null, v7, v18, vcc_lo
	flat_load_dwordx2 v[6:7], v[6:7]
	s_waitcnt vmcnt(0) lgkmcnt(0)
	v_mad_u64_u32 v[17:18], null, 0xa8, v9, v[6:7]
	flat_load_dword v6, v[17:18] offset:640
	s_waitcnt vmcnt(0) lgkmcnt(0)
	v_cmpx_eq_u32_e32 1, v6
	s_cbranch_execz .LBB4_26
; %bb.25:
	flat_load_dwordx2 v[26:27], v[17:18] offset:648
	v_or_b32_e32 v100, 0x2000, v100
	s_waitcnt vmcnt(0) lgkmcnt(0)
	flat_load_dwordx2 v[6:7], v[26:27]
	s_trap 2
	s_waitcnt vmcnt(0) lgkmcnt(0)
	ds_write_b64 v0, v[6:7]
	flat_load_dwordx2 v[6:7], v[26:27] offset:8
	s_waitcnt vmcnt(0) lgkmcnt(0)
	ds_write_b64 v0, v[6:7]
	flat_load_dwordx2 v[6:7], v[26:27] offset:16
	s_waitcnt vmcnt(0) lgkmcnt(0)
	ds_write_b64 v0, v[6:7]
.LBB4_26:
	s_or_b32 exec_lo, exec_lo, s5
	flat_load_dwordx2 v[6:7], v[17:18] offset:608
	v_and_b32_e32 v9, 32, v100
	s_mov_b32 s5, exec_lo
                                        ; implicit-def: $vgpr32_vgpr33
	s_waitcnt vmcnt(0) lgkmcnt(0)
	v_add_co_u32 v6, vcc_lo, v6, 3
	v_add_co_ci_u32_e64 v65, null, 0, v7, vcc_lo
	v_and_b32_e32 v64, -4, v6
	v_cmpx_ne_u32_e32 0, v9
	s_cbranch_execz .LBB4_28
; %bb.27:
	flat_load_dwordx2 v[32:33], v[17:18] offset:560
	s_waitcnt vmcnt(0) lgkmcnt(0)
	s_waitcnt_vscnt null, 0x0
	flat_store_dwordx2 v[32:33], v[64:65]
.LBB4_28:
	s_or_b32 exec_lo, exec_lo, s5
	v_add_co_u32 v28, vcc_lo, 0x1f8, v17
	v_mov_b32_e32 v6, 0
	v_and_b32_e32 v9, 4, v100
	v_add_co_ci_u32_e64 v29, null, 0, v18, vcc_lo
	v_mov_b32_e32 v7, 0
	s_mov_b32 s5, exec_lo
                                        ; implicit-def: $vgpr101
                                        ; implicit-def: $vgpr34_vgpr35
                                        ; implicit-def: $vgpr48_vgpr49
	v_cmpx_ne_u32_e32 0, v9
	s_cbranch_execz .LBB4_32
; %bb.29:
	v_and_b32_e32 v6, 0x800, v100
	s_mov_b32 s6, exec_lo
	v_cmpx_eq_u32_e32 0, v6
	s_cbranch_execz .LBB4_31
; %bb.30:
	s_trap 2
	ds_write_b64 v0, v[28:29]
.LBB4_31:
	s_or_b32 exec_lo, exec_lo, s6
	flat_load_dwordx2 v[32:33], v[17:18] offset:552
	v_or_b32_e32 v9, 0x100, v100
	s_waitcnt vmcnt(0) lgkmcnt(0)
	flat_load_dwordx2 v[48:49], v[32:33] glc dlc
	s_clause 0x2
	flat_load_dwordx2 v[6:7], v[17:18] offset:600
	flat_load_dword v101, v[17:18] offset:576
	flat_load_dwordx2 v[34:35], v[17:18] offset:520
	s_waitcnt vmcnt(2) lgkmcnt(2)
	v_cmp_eq_u64_e32 vcc_lo, 0, v[6:7]
	v_cndmask_b32_e32 v100, v9, v100, vcc_lo
.LBB4_32:
	s_or_b32 exec_lo, exec_lo, s5
.LBB4_33:
	s_or_b32 exec_lo, exec_lo, s4
	v_and_b32_e32 v9, 24, v100
	s_mov_b32 s4, exec_lo
                                        ; implicit-def: $vgpr36_vgpr37
	v_cmpx_ne_u32_e32 0, v9
	s_cbranch_execz .LBB4_41
; %bb.34:
	s_trap 2
	ds_read_b64 v[6:7], v0
	s_waitcnt lgkmcnt(1)
	v_ashrrev_i32_e32 v9, 31, v8
	v_or_b32_e32 v17, 0x100, v100
	s_mov_b32 s5, exec_lo
                                        ; implicit-def: $vgpr36_vgpr37
	v_lshlrev_b64 v[8:9], 3, v[8:9]
	s_waitcnt lgkmcnt(0)
	v_add_co_u32 v6, vcc_lo, v6, v8
	v_add_co_ci_u32_e64 v7, null, v7, v9, vcc_lo
	v_and_b32_e32 v8, 0xffff, v20
	flat_load_dwordx2 v[6:7], v[6:7]
	s_waitcnt vmcnt(0) lgkmcnt(0)
	v_mad_u64_u32 v[28:29], null, 0xa8, v8, v[6:7]
	flat_load_dwordx4 v[6:9], v[28:29] offset:96
	s_waitcnt vmcnt(0) lgkmcnt(0)
	v_cmp_eq_u64_e32 vcc_lo, 0, v[6:7]
	v_cndmask_b32_e32 v100, v17, v100, vcc_lo
	v_and_b32_e32 v17, 16, v100
	v_cmpx_ne_u32_e32 0, v17
	s_cbranch_execz .LBB4_36
; %bb.35:
	s_clause 0x2
	flat_load_dwordx2 v[32:33], v[28:29] offset:48
	flat_load_dwordx2 v[36:37], v[28:29] offset:120
	;; [unrolled: 1-line block ×3, first 2 shown]
.LBB4_36:
	s_or_b32 exec_lo, exec_lo, s5
	v_add_co_u32 v8, vcc_lo, v8, 3
	v_and_b32_e32 v17, 8, v100
	v_add_co_ci_u32_e64 v65, null, 0, v9, vcc_lo
	v_and_b32_e32 v64, -4, v8
	s_mov_b32 s5, exec_lo
	v_cmpx_ne_u32_e32 0, v17
	s_cbranch_execz .LBB4_40
; %bb.37:
	v_and_b32_e32 v8, 0x800, v100
	s_mov_b32 s6, exec_lo
	v_cmpx_eq_u32_e32 0, v8
	s_cbranch_execz .LBB4_39
; %bb.38:
	s_trap 2
	ds_write_b64 v0, v[28:29]
.LBB4_39:
	s_or_b32 exec_lo, exec_lo, s6
	s_waitcnt vmcnt(2) lgkmcnt(2)
	flat_load_dwordx2 v[32:33], v[28:29] offset:56
	s_waitcnt vmcnt(0) lgkmcnt(0)
	flat_load_dwordx2 v[48:49], v[32:33] glc dlc
	s_clause 0x1
	flat_load_dword v101, v[28:29] offset:72
	flat_load_dwordx2 v[34:35], v[28:29] offset:16
.LBB4_40:
	s_or_b32 exec_lo, exec_lo, s5
.LBB4_41:
	s_or_b32 exec_lo, exec_lo, s4
	v_cmp_eq_u32_e64 s4, 0, v0
	s_and_saveexec_b32 s5, s4
	s_cbranch_execz .LBB4_43
; %bb.42:
	s_waitcnt lgkmcnt(0)
	flat_load_dwordx2 v[8:9], v[2:3] offset:32
	ds_write2_b64 v0, v[12:13], v[10:11] offset1:1
	s_trap 2
	s_waitcnt vmcnt(0) lgkmcnt(1)
	ds_write_b64 v0, v[8:9]
	ds_write_b64 v0, v[15:16]
.LBB4_43:
	s_or_b32 exec_lo, exec_lo, s5
	v_mov_b32_e32 v38, 0
	v_mov_b32_e32 v39, 0
	s_mov_b32 s26, exec_lo
	v_cmpx_lt_i64_e32 0, v[4:5]
	s_cbranch_execnz .LBB4_44
; %bb.9829:
	s_getpc_b64 s[34:35]
.Lpost_getpc8:
	s_add_u32 s34, s34, (.LBB4_9786-.Lpost_getpc8)&4294967295
	s_addc_u32 s35, s35, (.LBB4_9786-.Lpost_getpc8)>>32
	s_setpc_b64 s[34:35]
.LBB4_44:
	flat_load_dword v3, v[2:3] offset:4
	v_lshrrev_b32_e32 v103, 5, v1
	s_ashr_i32 s28, s25, 31
	s_add_u32 s40, s25, -1
	v_and_b32_e32 v114, 0x1fe0, v1
	s_addc_u32 s41, s28, -1
	s_add_i32 s42, s25, s25
	s_not_b32 s11, s25
	s_cmp_gt_i32 s25, 0
	v_lshlrev_b32_e32 v44, 9, v103
	s_cselect_b32 s16, s11, -1
	s_ashr_i32 s17, s15, 31
	v_subrev_nc_u32_e32 v46, 32, v114
	s_add_i32 s43, s16, s42
	s_lshr_b32 s16, s17, 25
	v_add_nc_u32_e32 v56, 0xfffffe00, v44
	s_add_i32 s15, s15, s16
	s_waitcnt lgkmcnt(1)
	v_and_b32_e32 v8, 31, v31
	v_and_b32_e32 v112, 31, v0
	s_ashr_i32 s45, s15, 7
	v_and_b32_e32 v54, 0x3ffffe00, v14
	s_ashr_i32 s44, s43, 31
	v_ashrrev_i32_e32 v57, 31, v46
	s_cmp_gt_i32 s25, 2
	v_ashrrev_i32_e32 v59, 31, v56
	v_mov_b32_e32 v2, 0
	v_lshrrev_b32_e32 v113, 5, v0
	v_cmp_eq_u32_e64 s11, 0, v8
	v_lshlrev_b32_e32 v8, 4, v112
	s_cselect_b32 s46, -1, 0
	s_add_i32 s17, s25, 1
	v_add_co_u32 v60, s16, v46, 32
	v_mad_i64_i32 v[52:53], null, v54, s25, 0
	v_add_co_ci_u32_e64 v61, null, 0, v57, s16
	v_add_co_u32 v62, s16, 0x200, v56
	v_cmp_ge_u32_e32 vcc_lo, v0, v1
	v_mov_b32_e32 v50, 0
	s_waitcnt vmcnt(2)
	v_cmp_eq_u64_e64 s7, 0, v[36:37]
	v_cmp_ne_u64_e64 s10, 0, v[36:37]
	v_mov_b32_e32 v38, 0
	v_add_co_ci_u32_e64 v63, null, 0, v59, s16
	v_ashrrev_i32_e32 v102, 31, v101
	v_cmp_eq_u32_e64 s5, 32, v1
	v_cmp_ne_u32_e64 s6, 32, v1
	s_waitcnt vmcnt(1)
	v_cmp_ne_u32_sdwa s29, v1, v30 src0_sel:DWORD src1_sel:WORD_0
	v_mov_b32_e32 v51, 0
	v_mov_b32_e32 v115, 1
	;; [unrolled: 1-line block ×11, first 2 shown]
	v_cmp_eq_u32_e64 s12, 0, v112
	v_cmp_lt_u32_e64 s13, v112, v19
	v_lshlrev_b32_e32 v43, 11, v103
	v_cmp_le_u32_e64 s14, v112, v19
	v_lshlrev_b32_e32 v45, 10, v103
	v_lshl_or_b32 v47, v113, 10, v8
	v_lshl_or_b32 v58, v113, 11, v8
	s_mov_b32 s27, 0
	s_trap 2
	s_waitcnt vmcnt(0) lgkmcnt(0)
	v_and_b32_e32 v3, 1, v3
	v_cmp_eq_u32_e64 s15, 1, v3
	s_xor_b32 s47, s15, -1
	s_cmp_ge_i32 s17, s25
	s_cselect_b32 s16, s25, 0
	s_add_i32 s56, s25, -2
	s_sub_i32 s58, s17, s16
	s_xor_b32 s57, vcc_lo, -1
	s_ashr_i32 s20, s28, 31
	s_ashr_i32 s59, s58, 31
	s_sub_i32 s60, 0, s25
	s_branch .LBB4_47
.LBB4_45:                               ;   in Loop: Header=BB4_47 Depth=1
	s_or_b32 exec_lo, exec_lo, s18
.LBB4_46:                               ;   in Loop: Header=BB4_47 Depth=1
	s_or_b32 exec_lo, exec_lo, s17
	v_add_co_u32 v50, vcc_lo, v50, v52
	v_add_co_ci_u32_e64 v51, null, v51, v53, vcc_lo
	v_cmp_ge_i64_e32 vcc_lo, v[50:51], v[4:5]
	s_or_b32 s27, vcc_lo, s27
	s_andn2_b32 exec_lo, exec_lo, s27
	s_cbranch_execnz .LBB4_47
; %bb.9831:
	s_getpc_b64 s[34:35]
.Lpost_getpc9:
	s_add_u32 s34, s34, (.LBB4_9785-.Lpost_getpc9)&4294967295
	s_addc_u32 s35, s35, (.LBB4_9785-.Lpost_getpc9)>>32
	s_setpc_b64 s[34:35]
.LBB4_47:                               ; =>This Loop Header: Depth=1
                                        ;     Child Loop BB4_57 Depth 2
                                        ;       Child Loop BB4_65 Depth 3
                                        ;       Child Loop BB4_89 Depth 3
	;; [unrolled: 1-line block ×9, first 2 shown]
                                        ;     Child Loop BB4_197 Depth 2
                                        ;       Child Loop BB4_203 Depth 3
                                        ;       Child Loop BB4_227 Depth 3
	;; [unrolled: 1-line block ×3, first 2 shown]
                                        ;     Child Loop BB4_269 Depth 2
                                        ;       Child Loop BB4_272 Depth 3
                                        ;         Child Loop BB4_280 Depth 4
                                        ;         Child Loop BB4_308 Depth 4
	;; [unrolled: 1-line block ×9, first 2 shown]
                                        ;       Child Loop BB4_3276 Depth 3
                                        ;         Child Loop BB4_3282 Depth 4
                                        ;         Child Loop BB4_3310 Depth 4
	;; [unrolled: 1-line block ×3, first 2 shown]
                                        ;     Child Loop BB4_3351 Depth 2
                                        ;       Child Loop BB4_3359 Depth 3
                                        ;       Child Loop BB4_3387 Depth 3
	;; [unrolled: 1-line block ×5, first 2 shown]
                                        ;         Child Loop BB4_5423 Depth 4
                                        ;       Child Loop BB4_5561 Depth 3
                                        ;       Child Loop BB4_6267 Depth 3
                                        ;         Child Loop BB4_6304 Depth 4
                                        ;       Child Loop BB4_6327 Depth 3
                                        ;       Child Loop BB4_7740 Depth 3
	;; [unrolled: 1-line block ×6, first 2 shown]
                                        ;     Child Loop BB4_9248 Depth 2
                                        ;       Child Loop BB4_9254 Depth 3
                                        ;       Child Loop BB4_9282 Depth 3
                                        ;       Child Loop BB4_9305 Depth 3
                                        ;     Child Loop BB4_9323 Depth 2
                                        ;       Child Loop BB4_9326 Depth 3
                                        ;         Child Loop BB4_9334 Depth 4
                                        ;         Child Loop BB4_9362 Depth 4
	;; [unrolled: 1-line block ×5, first 2 shown]
                                        ;           Child Loop BB4_9414 Depth 5
                                        ;         Child Loop BB4_9421 Depth 4
                                        ;         Child Loop BB4_9426 Depth 4
                                        ;           Child Loop BB4_9427 Depth 5
                                        ;         Child Loop BB4_9439 Depth 4
                                        ;         Child Loop BB4_9444 Depth 4
	;; [unrolled: 1-line block ×6, first 2 shown]
                                        ;       Child Loop BB4_9503 Depth 3
                                        ;         Child Loop BB4_9509 Depth 4
                                        ;         Child Loop BB4_9537 Depth 4
	;; [unrolled: 1-line block ×3, first 2 shown]
                                        ;     Child Loop BB4_9581 Depth 2
                                        ;       Child Loop BB4_9589 Depth 3
                                        ;       Child Loop BB4_9613 Depth 3
	;; [unrolled: 1-line block ×9, first 2 shown]
                                        ;     Child Loop BB4_9719 Depth 2
                                        ;       Child Loop BB4_9725 Depth 3
                                        ;       Child Loop BB4_9749 Depth 3
	;; [unrolled: 1-line block ×3, first 2 shown]
	v_sub_co_u32 v66, vcc_lo, v4, v50
	v_sub_co_ci_u32_e64 v67, null, v5, v51, vcc_lo
	s_mov_b32 s17, exec_lo
	v_cmpx_lt_i64_e64 v[66:67], v[52:53]
	s_cbranch_execz .LBB4_53
; %bb.48:                               ;   in Loop: Header=BB4_47 Depth=1
	v_add_co_u32 v10, vcc_lo, s40, v66
	v_add_co_ci_u32_e64 v11, null, s41, v67, vcc_lo
                                        ; implicit-def: $vgpr8_vgpr9
	s_mov_b32 s16, exec_lo
	v_or_b32_e32 v3, s28, v11
	v_cmpx_ne_u64_e32 0, v[2:3]
	s_xor_b32 s22, exec_lo, s16
	s_cbranch_execz .LBB4_50
; %bb.49:                               ;   in Loop: Header=BB4_47 Depth=1
	s_add_u32 s18, s25, s20
	s_mov_b32 s21, s20
	s_addc_u32 s19, s28, s20
	v_ashrrev_i32_e32 v14, 31, v11
	s_xor_b64 s[18:19], s[18:19], s[20:21]
	v_cvt_f32_u32_e32 v3, s18
	v_cvt_f32_u32_e32 v8, s19
	s_sub_u32 s16, 0, s18
	s_subb_u32 s61, 0, s19
	v_add_co_u32 v9, vcc_lo, v10, v14
	v_fmac_f32_e32 v3, 0x4f800000, v8
	v_xor_b32_e32 v15, v9, v14
	v_rcp_f32_e32 v3, v3
	v_mul_f32_e32 v3, 0x5f7ffffc, v3
	v_mul_f32_e32 v8, 0x2f800000, v3
	v_trunc_f32_e32 v8, v8
	v_fmac_f32_e32 v3, 0xcf800000, v8
	v_cvt_u32_f32_e32 v8, v8
	v_cvt_u32_f32_e32 v3, v3
	v_readfirstlane_b32 s21, v8
	v_readfirstlane_b32 s23, v3
	s_mul_i32 s62, s16, s21
	v_add_co_ci_u32_e64 v3, null, v11, v14, vcc_lo
	s_mul_hi_u32 s72, s16, s23
	s_mul_i32 s63, s61, s23
	s_add_i32 s62, s72, s62
	s_mul_i32 s73, s16, s23
	s_add_i32 s62, s62, s63
	s_mul_hi_u32 s72, s23, s73
	s_mul_i32 s75, s23, s62
	s_mul_hi_u32 s74, s21, s73
	s_mul_i32 s63, s21, s73
	s_mul_hi_u32 s73, s23, s62
	s_add_u32 s72, s72, s75
	s_addc_u32 s73, 0, s73
	s_mul_hi_u32 s76, s21, s62
	s_add_u32 s63, s72, s63
	s_mul_i32 s62, s21, s62
	s_addc_u32 s63, s73, s74
	s_addc_u32 s72, s76, 0
	s_add_u32 s62, s63, s62
	s_addc_u32 s63, 0, s72
	s_add_u32 s23, s23, s62
	s_cselect_b32 s62, -1, 0
	s_mul_hi_u32 s72, s16, s23
	s_cmp_lg_u32 s62, 0
	s_mul_i32 s62, s16, s23
	s_addc_u32 s21, s21, s63
	s_mul_i32 s61, s61, s23
	s_mul_i32 s16, s16, s21
	s_mul_hi_u32 s63, s23, s62
	s_add_i32 s16, s72, s16
	s_mul_hi_u32 s72, s21, s62
	s_add_i32 s16, s16, s61
	s_mul_i32 s61, s21, s62
	s_mul_i32 s74, s23, s16
	s_mul_hi_u32 s73, s23, s16
	s_add_u32 s63, s63, s74
	s_addc_u32 s73, 0, s73
	s_mul_hi_u32 s62, s21, s16
	s_add_u32 s61, s63, s61
	s_mul_i32 s16, s21, s16
	s_addc_u32 s61, s73, s72
	s_addc_u32 s62, s62, 0
	s_add_u32 s16, s61, s16
	s_addc_u32 s61, 0, s62
	s_add_u32 s16, s23, s16
	s_cselect_b32 s23, -1, 0
	v_xor_b32_e32 v3, v3, v14
	s_cmp_lg_u32 s23, 0
	v_mul_hi_u32 v16, v15, s16
	s_addc_u32 s21, s21, s61
	v_mad_u64_u32 v[8:9], null, v15, s21, 0
	v_mad_u64_u32 v[10:11], null, v3, s16, 0
	;; [unrolled: 1-line block ×3, first 2 shown]
	v_add_co_u32 v8, vcc_lo, v16, v8
	v_add_co_ci_u32_e64 v9, null, 0, v9, vcc_lo
	v_add_co_u32 v8, vcc_lo, v8, v10
	v_add_co_ci_u32_e32 v8, vcc_lo, v9, v11, vcc_lo
	v_add_co_ci_u32_e32 v9, vcc_lo, 0, v13, vcc_lo
	v_add_co_u32 v10, vcc_lo, v8, v12
	v_add_co_ci_u32_e64 v11, null, 0, v9, vcc_lo
	v_mul_lo_u32 v12, s19, v10
	v_mad_u64_u32 v[8:9], null, s18, v10, 0
	v_mul_lo_u32 v13, s18, v11
	v_sub_co_u32 v8, vcc_lo, v15, v8
	v_add3_u32 v9, v9, v13, v12
	v_add_co_u32 v13, s16, v10, 2
	v_add_co_ci_u32_e64 v15, null, 0, v11, s16
	v_sub_nc_u32_e32 v12, v3, v9
	v_sub_co_u32 v16, s16, v8, s18
	v_sub_co_ci_u32_e64 v3, null, v3, v9, vcc_lo
	v_subrev_co_ci_u32_e64 v12, null, s19, v12, vcc_lo
	v_cmp_le_u32_e32 vcc_lo, s18, v16
	v_subrev_co_ci_u32_e64 v12, null, 0, v12, s16
	v_cndmask_b32_e64 v9, 0, -1, vcc_lo
	v_cmp_le_u32_e32 vcc_lo, s19, v12
	v_cndmask_b32_e64 v16, 0, -1, vcc_lo
	v_cmp_le_u32_e32 vcc_lo, s18, v8
	;; [unrolled: 2-line block ×3, first 2 shown]
	v_cndmask_b32_e64 v17, 0, -1, vcc_lo
	v_cmp_eq_u32_e32 vcc_lo, s19, v12
	v_cndmask_b32_e32 v9, v16, v9, vcc_lo
	v_add_co_u32 v12, vcc_lo, v10, 1
	v_add_co_ci_u32_e64 v16, null, 0, v11, vcc_lo
	v_cmp_eq_u32_e32 vcc_lo, s19, v3
	v_cndmask_b32_e32 v3, v17, v8, vcc_lo
	v_cmp_ne_u32_e32 vcc_lo, 0, v9
	v_xor_b32_e32 v9, s20, v14
	v_cmp_ne_u32_e64 s16, 0, v3
	v_cndmask_b32_e32 v3, v12, v13, vcc_lo
	v_cndmask_b32_e32 v8, v16, v15, vcc_lo
	v_cndmask_b32_e64 v3, v10, v3, s16
	v_cndmask_b32_e64 v8, v11, v8, s16
	v_xor_b32_e32 v3, v3, v9
	v_xor_b32_e32 v10, v8, v9
	v_sub_co_u32 v8, vcc_lo, v3, v9
	v_sub_co_ci_u32_e64 v9, null, v10, v9, vcc_lo
                                        ; implicit-def: $vgpr10
.LBB4_50:                               ;   in Loop: Header=BB4_47 Depth=1
	s_andn2_saveexec_b32 s16, s22
	s_cbranch_execz .LBB4_52
; %bb.51:                               ;   in Loop: Header=BB4_47 Depth=1
	v_cvt_f32_u32_e32 v3, s25
	v_rcp_iflag_f32_e32 v3, v3
	v_mul_f32_e32 v3, 0x4f7ffffe, v3
	v_cvt_u32_f32_e32 v3, v3
	v_mul_lo_u32 v8, s60, v3
	v_mul_hi_u32 v8, v3, v8
	v_add_nc_u32_e32 v3, v3, v8
	v_mul_hi_u32 v3, v10, v3
	v_mul_lo_u32 v8, v3, s25
	v_add_nc_u32_e32 v9, 1, v3
	v_sub_nc_u32_e32 v8, v10, v8
	v_subrev_nc_u32_e32 v10, s25, v8
	v_cmp_le_u32_e32 vcc_lo, s25, v8
	v_cndmask_b32_e32 v8, v8, v10, vcc_lo
	v_cndmask_b32_e32 v3, v3, v9, vcc_lo
	v_cmp_le_u32_e32 vcc_lo, s25, v8
	v_add_nc_u32_e32 v9, 1, v3
	v_cndmask_b32_e32 v8, v3, v9, vcc_lo
	v_mov_b32_e32 v9, v2
.LBB4_52:                               ;   in Loop: Header=BB4_47 Depth=1
	s_or_b32 exec_lo, exec_lo, s16
	v_add_co_u32 v3, vcc_lo, v8, 15
	v_add_co_ci_u32_e64 v55, null, 0, v9, vcc_lo
	v_and_b32_e32 v54, -16, v3
.LBB4_53:                               ;   in Loop: Header=BB4_47 Depth=1
	s_or_b32 exec_lo, exec_lo, s17
	v_mul_lo_u32 v3, v55, s43
	v_mul_lo_u32 v8, v54, s44
	v_mad_u64_u32 v[10:11], null, v54, s43, 0
	v_mov_b32_e32 v21, 0
	v_add3_u32 v11, v11, v8, v3
	v_sub_co_u32 v8, vcc_lo, v66, v10
	v_sub_co_ci_u32_e64 v9, null, v67, v11, vcc_lo
	v_cmp_lt_i64_e32 vcc_lo, v[54:55], v[8:9]
	v_cndmask_b32_e32 v8, v8, v54, vcc_lo
	v_add_co_u32 v72, vcc_lo, v50, v24
	v_add_co_ci_u32_e64 v73, null, v51, v25, vcc_lo
	v_max_i32_e32 v20, 0, v8
	v_cmp_lt_i32_e32 vcc_lo, 0, v8
	v_add_nc_u32_e32 v3, 31, v20
	s_and_b32 s16, s57, vcc_lo
	v_lshrrev_b32_e32 v3, 1, v3
	v_and_b32_e32 v9, 0x3ffffff0, v3
	v_mov_b32_e32 v3, 0
	v_max_i32_e32 v8, s45, v9
	s_and_saveexec_b32 s18, s16
	s_cbranch_execz .LBB4_193
; %bb.54:                               ;   in Loop: Header=BB4_47 Depth=1
	v_mov_b32_e32 v21, 0
	s_mov_b32 s22, 1
	s_mov_b32 s21, -1
	s_mov_b32 s19, 0
	s_branch .LBB4_57
.LBB4_55:                               ;   in Loop: Header=BB4_57 Depth=2
	s_or_b32 exec_lo, exec_lo, s17
	v_add_co_u32 v64, vcc_lo, v64, 2
	v_add_co_ci_u32_e64 v65, null, 0, v65, vcc_lo
	s_waitcnt vmcnt(0) lgkmcnt(0)
	s_waitcnt_vscnt null, 0x0
	flat_store_dwordx2 v[32:33], v[64:65]
.LBB4_56:                               ;   in Loop: Header=BB4_57 Depth=2
	s_or_b32 exec_lo, exec_lo, s16
	v_add_nc_u32_e32 v21, v8, v21
	s_xor_b32 s16, s21, -1
	v_mov_b32_e32 v3, s22
	s_mov_b32 s21, 0
	s_mov_b32 s22, 2
	v_cmp_ge_i32_e32 vcc_lo, v21, v20
	s_or_b32 s16, s16, vcc_lo
	s_and_b32 s16, exec_lo, s16
	s_or_b32 s19, s16, s19
	s_andn2_b32 exec_lo, exec_lo, s19
	s_cbranch_execz .LBB4_192
.LBB4_57:                               ;   Parent Loop BB4_47 Depth=1
                                        ; =>  This Loop Header: Depth=2
                                        ;       Child Loop BB4_65 Depth 3
                                        ;       Child Loop BB4_89 Depth 3
	;; [unrolled: 1-line block ×9, first 2 shown]
	s_and_saveexec_b32 s16, s4
	s_cbranch_execz .LBB4_59
; %bb.58:                               ;   in Loop: Header=BB4_57 Depth=2
	s_trap 2
	ds_read_b64 v[12:13], v0
	s_waitcnt lgkmcnt(0)
	v_add_co_u32 v3, vcc_lo, v12, v72
	v_add_co_ci_u32_e64 v9, null, v13, v73, vcc_lo
	v_ashrrev_i32_e32 v13, 31, v21
	v_add_co_u32 v3, vcc_lo, v3, v10
	v_add_co_ci_u32_e64 v9, null, v9, v11, vcc_lo
	v_add_co_u32 v12, vcc_lo, v3, v21
	v_add_co_ci_u32_e64 v13, null, v9, v13, vcc_lo
	v_mov_b32_e32 v3, v2
	ds_write_b64 v0, v[12:13]
	ds_write_b64 v0, v[2:3]
.LBB4_59:                               ;   in Loop: Header=BB4_57 Depth=2
	s_or_b32 exec_lo, exec_lo, s16
	v_sub_nc_u32_e32 v3, v20, v21
	v_and_b32_e32 v9, 8, v100
	s_mov_b32 s17, exec_lo
	v_min_i32_e32 v8, v8, v3
	v_cmpx_ne_u32_e32 0, v9
	s_cbranch_execz .LBB4_81
; %bb.60:                               ;   in Loop: Header=BB4_57 Depth=2
	s_waitcnt vmcnt(0) lgkmcnt(1)
	v_add_co_u32 v14, vcc_lo, v48, 8
	v_add_co_ci_u32_e64 v15, null, 0, v49, vcc_lo
	v_add_co_u32 v12, vcc_lo, v64, 2
	v_add_co_ci_u32_e64 v13, null, 0, v65, vcc_lo
	s_mov_b32 s23, exec_lo
	v_cmpx_lt_u64_e64 v[14:15], v[12:13]
	s_cbranch_execz .LBB4_72
; %bb.61:                               ;   in Loop: Header=BB4_57 Depth=2
	v_and_b32_e32 v3, 64, v100
	s_mov_b32 s61, 0
	s_mov_b32 s73, 0
                                        ; implicit-def: $sgpr62
                                        ; implicit-def: $sgpr63
                                        ; implicit-def: $sgpr72
	v_cmp_eq_u32_e32 vcc_lo, 0, v3
	s_branch .LBB4_65
.LBB4_62:                               ;   in Loop: Header=BB4_65 Depth=3
	s_waitcnt vmcnt(0) lgkmcnt(0)
	v_add_co_u32 v14, s16, v48, 8
	v_add_co_ci_u32_e64 v15, null, 0, v49, s16
	s_or_b32 s76, s76, exec_lo
	v_cmp_ge_u64_e64 s16, v[14:15], v[12:13]
	s_orn2_b32 s75, s16, exec_lo
.LBB4_63:                               ;   in Loop: Header=BB4_65 Depth=3
	s_or_b32 exec_lo, exec_lo, s78
	s_andn2_b32 s16, s72, exec_lo
	s_and_b32 s72, s76, exec_lo
	s_andn2_b32 s63, s63, exec_lo
	s_and_b32 s75, s75, exec_lo
	s_or_b32 s72, s16, s72
	s_or_b32 s63, s63, s75
.LBB4_64:                               ;   in Loop: Header=BB4_65 Depth=3
	s_or_b32 exec_lo, exec_lo, s74
	s_and_b32 s16, exec_lo, s63
	s_or_b32 s61, s16, s61
	s_andn2_b32 s16, s62, exec_lo
	s_and_b32 s62, s72, exec_lo
	s_or_b32 s62, s16, s62
	s_andn2_b32 exec_lo, exec_lo, s61
	s_cbranch_execz .LBB4_69
.LBB4_65:                               ;   Parent Loop BB4_47 Depth=1
                                        ;     Parent Loop BB4_57 Depth=2
                                        ; =>    This Inner Loop Header: Depth=3
	s_sleep 1
	s_waitcnt vmcnt(0) lgkmcnt(0)
	flat_load_dwordx2 v[48:49], v[32:33] glc dlc
	s_or_b32 s72, s72, exec_lo
	s_or_b32 s63, s63, exec_lo
                                        ; implicit-def: $vgpr3
	s_and_saveexec_b32 s74, vcc_lo
	s_cbranch_execz .LBB4_64
; %bb.66:                               ;   in Loop: Header=BB4_65 Depth=3
	s_cmpk_lt_i32 s73, 0x270f
	s_mov_b32 s75, -1
	s_cselect_b32 s77, -1, 0
	s_cmpk_gt_i32 s73, 0x270e
	s_cbranch_scc0 .LBB4_68
; %bb.67:                               ;   in Loop: Header=BB4_65 Depth=3
	s_trap 2
	ds_read_b64 v[14:15], v0
	s_andn2_b32 s73, s77, exec_lo
	s_mov_b32 s76, 0
	s_waitcnt vmcnt(0) lgkmcnt(0)
	s_waitcnt_vscnt null, 0x0
	flat_load_dword v3, v[14:15] glc dlc
	s_waitcnt vmcnt(0) lgkmcnt(0)
	buffer_gl1_inv
	buffer_gl0_inv
	v_cmp_eq_u32_e64 s16, 0, v3
	s_and_b32 s16, s16, exec_lo
	s_or_b32 s77, s73, s16
	s_mov_b32 s73, 0
	s_and_saveexec_b32 s78, s77
	s_cbranch_execz .LBB4_63
	s_branch .LBB4_62
.LBB4_68:                               ;   in Loop: Header=BB4_65 Depth=3
	s_add_i32 s73, s73, 1
	s_mov_b32 s76, -1
                                        ; implicit-def: $vgpr3
	s_and_saveexec_b32 s78, s77
	s_cbranch_execz .LBB4_63
	s_branch .LBB4_62
.LBB4_69:                               ;   in Loop: Header=BB4_57 Depth=2
	s_or_b32 exec_lo, exec_lo, s61
	s_xor_b32 s16, s62, -1
	s_and_saveexec_b32 s61, s16
	s_xor_b32 s16, exec_lo, s61
	s_cbranch_execz .LBB4_71
; %bb.70:                               ;   in Loop: Header=BB4_57 Depth=2
	v_or_b32_e32 v100, 64, v100
	s_waitcnt vmcnt(0) lgkmcnt(0)
	s_waitcnt_vscnt null, 0x0
	ds_write_b32 v0, v3
	s_trap 2
.LBB4_71:                               ;   in Loop: Header=BB4_57 Depth=2
	s_or_b32 exec_lo, exec_lo, s16
.LBB4_72:                               ;   in Loop: Header=BB4_57 Depth=2
	s_or_b32 exec_lo, exec_lo, s23
	v_and_b32_e32 v3, 0x100, v100
	s_mov_b32 s16, -1
	;;#ASMSTART
	s_wakeup
	;;#ASMEND
                                        ; implicit-def: $vgpr14_vgpr15
	v_cmp_ne_u32_e32 vcc_lo, 0, v3
	v_and_b32_e32 v3, 7, v64
	s_and_saveexec_b32 s23, vcc_lo
	s_cbranch_execz .LBB4_76
; %bb.73:                               ;   in Loop: Header=BB4_57 Depth=2
	v_mad_u64_u32 v[16:17], null, v3, 24, v[6:7]
	v_ashrrev_i32_e32 v9, 31, v8
	flat_load_dword v14, v[16:17]
	flat_store_dwordx2 v[16:17], v[8:9] offset:8
	s_waitcnt vmcnt(0) lgkmcnt(1)
	v_cmp_eq_u32_e64 s16, 1, v14
	v_cmp_ne_u32_e32 vcc_lo, 1, v14
                                        ; implicit-def: $vgpr14_vgpr15
	s_and_saveexec_b32 s61, s16
	s_cbranch_execz .LBB4_75
; %bb.74:                               ;   in Loop: Header=BB4_57 Depth=2
	flat_load_dword v14, v[16:17] offset:4 glc dlc
	s_waitcnt vmcnt(0) lgkmcnt(0)
	v_ashrrev_i32_e32 v15, 31, v14
.LBB4_75:                               ;   in Loop: Header=BB4_57 Depth=2
	s_or_b32 exec_lo, exec_lo, s61
	s_orn2_b32 s16, vcc_lo, exec_lo
.LBB4_76:                               ;   in Loop: Header=BB4_57 Depth=2
	s_or_b32 exec_lo, exec_lo, s23
	s_and_saveexec_b32 s23, s16
; %bb.77:                               ;   in Loop: Header=BB4_57 Depth=2
	v_mad_i64_i32 v[14:15], null, v3, v101, 0
; %bb.78:                               ;   in Loop: Header=BB4_57 Depth=2
	s_or_b32 exec_lo, exec_lo, s23
	v_add_co_u32 v14, vcc_lo, v34, v14
	v_and_b32_e32 v3, 0x2000, v100
	v_add_co_ci_u32_e64 v15, null, v35, v15, vcc_lo
	s_mov_b32 s16, exec_lo
	ds_write_b64 v0, v[14:15] offset:784
	v_cmpx_ne_u32_e32 0, v3
	s_cbranch_execz .LBB4_80
; %bb.79:                               ;   in Loop: Header=BB4_57 Depth=2
	ds_read_b64 v[14:15], v0 offset:872
	s_waitcnt lgkmcnt(0)
	v_add_co_u32 v14, vcc_lo, v14, 1
	v_add_co_ci_u32_e64 v15, null, 0, v15, vcc_lo
	ds_write_b64 v0, v[14:15] offset:872
.LBB4_80:                               ;   in Loop: Header=BB4_57 Depth=2
	s_or_b32 exec_lo, exec_lo, s16
	v_mov_b32_e32 v65, v13
	v_mov_b32_e32 v64, v12
.LBB4_81:                               ;   in Loop: Header=BB4_57 Depth=2
	s_or_b32 exec_lo, exec_lo, s17
	s_and_saveexec_b32 s16, s6
	s_cbranch_execz .LBB4_100
; %bb.82:                               ;   in Loop: Header=BB4_57 Depth=2
	s_and_saveexec_b32 s17, s29
	s_xor_b32 s17, exec_lo, s17
	s_cbranch_execz .LBB4_97
; %bb.83:                               ;   in Loop: Header=BB4_57 Depth=2
	s_and_saveexec_b32 s23, s11
	s_cbranch_execz .LBB4_96
; %bb.84:                               ;   in Loop: Header=BB4_57 Depth=2
	s_mov_b32 s62, exec_lo
	s_mov_b32 s61, exec_lo
	v_mbcnt_lo_u32_b32 v3, s62, 0
	s_waitcnt vmcnt(0) lgkmcnt(0)
	s_waitcnt_vscnt null, 0x0
	buffer_gl1_inv
	buffer_gl0_inv
	v_cmpx_eq_u32_e32 0, v3
	s_cbranch_execz .LBB4_86
; %bb.85:                               ;   in Loop: Header=BB4_57 Depth=2
	s_bcnt1_i32_b32 s62, s62
	v_mov_b32_e32 v13, v2
	v_mov_b32_e32 v12, s62
	ds_add_u64 v0, v[12:13]
	s_trap 2
.LBB4_86:                               ;   in Loop: Header=BB4_57 Depth=2
	s_or_b32 exec_lo, exec_lo, s61
	s_trap 2
	ds_read_b64 v[12:13], v0
	s_waitcnt lgkmcnt(0)
	buffer_gl0_inv
	v_add_co_u32 v38, vcc_lo, v38, v103
	v_add_co_ci_u32_e64 v39, null, 0, v39, vcc_lo
	s_mov_b32 s61, exec_lo
	v_cmpx_lt_u64_e64 v[12:13], v[38:39]
	s_cbranch_execz .LBB4_95
; %bb.87:                               ;   in Loop: Header=BB4_57 Depth=2
	s_mov_b32 s62, 0
	s_mov_b32 s73, 0
                                        ; implicit-def: $sgpr63
                                        ; implicit-def: $sgpr72
	s_inst_prefetch 0x1
	s_branch .LBB4_89
	.p2align	6
.LBB4_88:                               ;   in Loop: Header=BB4_89 Depth=3
	s_or_b32 exec_lo, exec_lo, s75
	s_and_b32 s74, exec_lo, s76
	s_or_b32 s62, s74, s62
	s_andn2_b32 s63, s63, exec_lo
	s_and_b32 s74, s72, exec_lo
	s_or_b32 s63, s63, s74
	s_andn2_b32 exec_lo, exec_lo, s62
	s_cbranch_execz .LBB4_93
.LBB4_89:                               ;   Parent Loop BB4_47 Depth=1
                                        ;     Parent Loop BB4_57 Depth=2
                                        ; =>    This Inner Loop Header: Depth=3
	s_add_i32 s73, s73, 1
	s_cmpk_lg_i32 s73, 0x2710
	s_cselect_b32 s74, -1, 0
	s_and_b32 vcc_lo, exec_lo, s74
	s_cbranch_vccz .LBB4_91
; %bb.90:                               ;   in Loop: Header=BB4_89 Depth=3
	s_mov_b32 s76, -1
	s_or_b32 s72, s72, exec_lo
	s_and_saveexec_b32 s75, s74
	s_cbranch_execz .LBB4_88
	s_branch .LBB4_92
	.p2align	6
.LBB4_91:                               ;   in Loop: Header=BB4_89 Depth=3
	s_trap 2
	ds_read_b64 v[12:13], v0
	s_andn2_b32 s74, s74, exec_lo
	s_mov_b32 s73, 0
	s_waitcnt lgkmcnt(0)
	flat_load_dword v3, v[12:13] glc dlc
	s_waitcnt vmcnt(0) lgkmcnt(0)
	buffer_gl1_inv
	buffer_gl0_inv
	v_cmp_eq_u32_e32 vcc_lo, 0, v3
	s_and_b32 s75, vcc_lo, exec_lo
	s_or_b32 s74, s74, s75
	s_mov_b32 s76, -1
	s_or_b32 s72, s72, exec_lo
	s_and_saveexec_b32 s75, s74
	s_cbranch_execz .LBB4_88
.LBB4_92:                               ;   in Loop: Header=BB4_89 Depth=3
	s_sleep 1
	s_trap 2
	ds_read_b64 v[12:13], v0
	s_waitcnt lgkmcnt(0)
	buffer_gl0_inv
	s_andn2_b32 s72, s72, exec_lo
	v_cmp_ge_u64_e32 vcc_lo, v[12:13], v[38:39]
	s_orn2_b32 s76, vcc_lo, exec_lo
	s_branch .LBB4_88
.LBB4_93:                               ;   in Loop: Header=BB4_57 Depth=2
	s_inst_prefetch 0x2
	s_or_b32 exec_lo, exec_lo, s62
	s_and_saveexec_b32 s62, s63
	s_xor_b32 s62, exec_lo, s62
	s_cbranch_execz .LBB4_95
; %bb.94:                               ;   in Loop: Header=BB4_57 Depth=2
	ds_write_b32 v0, v115
	s_trap 2
.LBB4_95:                               ;   in Loop: Header=BB4_57 Depth=2
	s_or_b32 exec_lo, exec_lo, s61
	;;#ASMSTART
	s_wakeup
	;;#ASMEND
.LBB4_96:                               ;   in Loop: Header=BB4_57 Depth=2
	s_or_b32 exec_lo, exec_lo, s23
.LBB4_97:                               ;   in Loop: Header=BB4_57 Depth=2
	s_andn2_saveexec_b32 s17, s17
	s_cbranch_execz .LBB4_99
; %bb.98:                               ;   in Loop: Header=BB4_57 Depth=2
	s_waitcnt vmcnt(0) lgkmcnt(0)
	s_waitcnt_vscnt null, 0x0
	buffer_gl1_inv
	buffer_gl0_inv
	s_barrier
.LBB4_99:                               ;   in Loop: Header=BB4_57 Depth=2
	s_or_b32 exec_lo, exec_lo, s17
.LBB4_100:                              ;   in Loop: Header=BB4_57 Depth=2
	s_or_b32 exec_lo, exec_lo, s16
	s_trap 2
	ds_read_b32 v3, v0
	v_and_b32_e32 v9, 0x4000, v100
	s_xor_b32 s16, s5, -1
	v_cmp_ne_u32_e32 vcc_lo, 0, v9
	s_and_b32 s17, s16, vcc_lo
	s_and_saveexec_b32 s16, s17
	s_cbranch_execz .LBB4_119
; %bb.101:                              ;   in Loop: Header=BB4_57 Depth=2
	s_and_saveexec_b32 s17, s29
	s_xor_b32 s17, exec_lo, s17
	s_cbranch_execz .LBB4_116
; %bb.102:                              ;   in Loop: Header=BB4_57 Depth=2
	s_and_saveexec_b32 s23, s11
	s_cbranch_execz .LBB4_115
; %bb.103:                              ;   in Loop: Header=BB4_57 Depth=2
	s_mov_b32 s62, exec_lo
	s_mov_b32 s61, exec_lo
	v_mbcnt_lo_u32_b32 v9, s62, 0
	s_waitcnt vmcnt(0) lgkmcnt(0)
	s_waitcnt_vscnt null, 0x0
	buffer_gl1_inv
	buffer_gl0_inv
	v_cmpx_eq_u32_e32 0, v9
	s_cbranch_execz .LBB4_105
; %bb.104:                              ;   in Loop: Header=BB4_57 Depth=2
	s_bcnt1_i32_b32 s62, s62
	v_mov_b32_e32 v13, v2
	v_mov_b32_e32 v12, s62
	ds_add_u64 v0, v[12:13]
	s_trap 2
.LBB4_105:                              ;   in Loop: Header=BB4_57 Depth=2
	s_or_b32 exec_lo, exec_lo, s61
	s_trap 2
	ds_read_b64 v[12:13], v0
	s_waitcnt lgkmcnt(0)
	buffer_gl0_inv
	v_add_co_u32 v38, vcc_lo, v38, v103
	v_add_co_ci_u32_e64 v39, null, 0, v39, vcc_lo
	s_mov_b32 s61, exec_lo
	v_cmpx_lt_u64_e64 v[12:13], v[38:39]
	s_cbranch_execz .LBB4_114
; %bb.106:                              ;   in Loop: Header=BB4_57 Depth=2
	s_mov_b32 s62, 0
	s_mov_b32 s73, 0
                                        ; implicit-def: $sgpr63
                                        ; implicit-def: $sgpr72
	s_inst_prefetch 0x1
	s_branch .LBB4_108
	.p2align	6
.LBB4_107:                              ;   in Loop: Header=BB4_108 Depth=3
	s_or_b32 exec_lo, exec_lo, s75
	s_and_b32 s74, exec_lo, s76
	s_or_b32 s62, s74, s62
	s_andn2_b32 s63, s63, exec_lo
	s_and_b32 s74, s72, exec_lo
	s_or_b32 s63, s63, s74
	s_andn2_b32 exec_lo, exec_lo, s62
	s_cbranch_execz .LBB4_112
.LBB4_108:                              ;   Parent Loop BB4_47 Depth=1
                                        ;     Parent Loop BB4_57 Depth=2
                                        ; =>    This Inner Loop Header: Depth=3
	s_add_i32 s73, s73, 1
	s_cmpk_lg_i32 s73, 0x2710
	s_cselect_b32 s74, -1, 0
	s_and_b32 vcc_lo, exec_lo, s74
	s_cbranch_vccz .LBB4_110
; %bb.109:                              ;   in Loop: Header=BB4_108 Depth=3
	s_mov_b32 s76, -1
	s_or_b32 s72, s72, exec_lo
	s_and_saveexec_b32 s75, s74
	s_cbranch_execz .LBB4_107
	s_branch .LBB4_111
	.p2align	6
.LBB4_110:                              ;   in Loop: Header=BB4_108 Depth=3
	s_trap 2
	ds_read_b64 v[12:13], v0
	s_andn2_b32 s74, s74, exec_lo
	s_mov_b32 s73, 0
	s_waitcnt lgkmcnt(0)
	flat_load_dword v9, v[12:13] glc dlc
	s_waitcnt vmcnt(0) lgkmcnt(0)
	buffer_gl1_inv
	buffer_gl0_inv
	v_cmp_eq_u32_e32 vcc_lo, 0, v9
	s_and_b32 s75, vcc_lo, exec_lo
	s_or_b32 s74, s74, s75
	s_mov_b32 s76, -1
	s_or_b32 s72, s72, exec_lo
	s_and_saveexec_b32 s75, s74
	s_cbranch_execz .LBB4_107
.LBB4_111:                              ;   in Loop: Header=BB4_108 Depth=3
	s_sleep 1
	s_trap 2
	ds_read_b64 v[12:13], v0
	s_waitcnt lgkmcnt(0)
	buffer_gl0_inv
	s_andn2_b32 s72, s72, exec_lo
	v_cmp_ge_u64_e32 vcc_lo, v[12:13], v[38:39]
	s_orn2_b32 s76, vcc_lo, exec_lo
	s_branch .LBB4_107
.LBB4_112:                              ;   in Loop: Header=BB4_57 Depth=2
	s_inst_prefetch 0x2
	s_or_b32 exec_lo, exec_lo, s62
	s_and_saveexec_b32 s62, s63
	s_xor_b32 s62, exec_lo, s62
	s_cbranch_execz .LBB4_114
; %bb.113:                              ;   in Loop: Header=BB4_57 Depth=2
	ds_write_b32 v0, v115
	s_trap 2
.LBB4_114:                              ;   in Loop: Header=BB4_57 Depth=2
	s_or_b32 exec_lo, exec_lo, s61
	;;#ASMSTART
	s_wakeup
	;;#ASMEND
.LBB4_115:                              ;   in Loop: Header=BB4_57 Depth=2
	s_or_b32 exec_lo, exec_lo, s23
.LBB4_116:                              ;   in Loop: Header=BB4_57 Depth=2
	s_andn2_saveexec_b32 s17, s17
	s_cbranch_execz .LBB4_118
; %bb.117:                              ;   in Loop: Header=BB4_57 Depth=2
	s_waitcnt vmcnt(0) lgkmcnt(0)
	s_waitcnt_vscnt null, 0x0
	buffer_gl1_inv
	buffer_gl0_inv
	s_barrier
.LBB4_118:                              ;   in Loop: Header=BB4_57 Depth=2
	s_or_b32 exec_lo, exec_lo, s17
.LBB4_119:                              ;   in Loop: Header=BB4_57 Depth=2
	s_or_b32 exec_lo, exec_lo, s16
	s_trap 2
	ds_read_b64 v[12:13], v0
	s_waitcnt lgkmcnt(0)
	v_cmp_eq_u64_e32 vcc_lo, 0, v[12:13]
	s_cbranch_vccnz .LBB4_127
; %bb.120:                              ;   in Loop: Header=BB4_57 Depth=2
	s_trap 2
	ds_read_b64 v[14:15], v0
	s_waitcnt lgkmcnt(0)
	v_cmp_eq_u64_e32 vcc_lo, 0, v[14:15]
	s_cbranch_vccnz .LBB4_127
; %bb.121:                              ;   in Loop: Header=BB4_57 Depth=2
	s_mov_b32 s16, -1
	s_and_saveexec_b32 s17, s12
	s_cbranch_execz .LBB4_123
; %bb.122:                              ;   in Loop: Header=BB4_57 Depth=2
	ds_read_b32 v9, v0 offset:720
	s_waitcnt lgkmcnt(0)
	v_and_b32_e32 v9, 15, v9
	v_cmp_eq_u32_e32 vcc_lo, 0, v9
	s_orn2_b32 s16, vcc_lo, exec_lo
.LBB4_123:                              ;   in Loop: Header=BB4_57 Depth=2
	s_or_b32 exec_lo, exec_lo, s17
	s_and_saveexec_b32 s17, s13
	s_cbranch_execz .LBB4_125
; %bb.124:                              ;   in Loop: Header=BB4_57 Depth=2
	ds_read_b32 v9, v0 offset:784
	s_waitcnt lgkmcnt(0)
	v_and_b32_e32 v9, 15, v9
	v_cmp_eq_u32_e32 vcc_lo, 0, v9
	s_and_b32 s23, s16, vcc_lo
	s_andn2_b32 s16, s16, exec_lo
	s_and_b32 s23, s23, exec_lo
	s_or_b32 s16, s16, s23
.LBB4_125:                              ;   in Loop: Header=BB4_57 Depth=2
	s_or_b32 exec_lo, exec_lo, s17
	v_cmp_eq_u32_e32 vcc_lo, 0, v3
	s_xor_b32 s16, s16, -1
	v_mov_b32_e32 v17, v0
	v_cndmask_b32_e64 v9, 0, 1, s16
	s_mov_b32 s16, -1
	v_cndmask_b32_e32 v3, 0, v8, vcc_lo
	v_cmp_ne_u32_e32 vcc_lo, 0, v9
	v_mov_b32_e32 v9, 0
	v_mov_b32_e32 v16, v3
	s_cbranch_vccz .LBB4_132
; %bb.126:                              ;   in Loop: Header=BB4_57 Depth=2
	s_and_saveexec_b32 s17, s16
	s_cbranch_execnz .LBB4_143
	s_branch .LBB4_151
.LBB4_127:                              ;   in Loop: Header=BB4_57 Depth=2
	s_mov_b32 s16, 0
	s_and_saveexec_b32 s17, s6
	s_cbranch_execnz .LBB4_152
.LBB4_128:                              ;   in Loop: Header=BB4_57 Depth=2
	s_or_b32 exec_lo, exec_lo, s17
                                        ; implicit-def: $vgpr3
	s_and_saveexec_b32 s17, s15
	s_xor_b32 s17, exec_lo, s17
	s_cbranch_execz .LBB4_170
.LBB4_129:                              ;   in Loop: Header=BB4_57 Depth=2
	v_and_b32_e32 v3, 16, v100
	v_cmp_ne_u32_e32 vcc_lo, 0, v3
	v_and_b32_e32 v3, 16, v100
	s_and_b32 s23, vcc_lo, s16
	s_and_saveexec_b32 s16, s23
	s_cbranch_execz .LBB4_131
; %bb.130:                              ;   in Loop: Header=BB4_57 Depth=2
	v_mov_b32_e32 v3, 1
	s_waitcnt vmcnt(0) lgkmcnt(0)
	s_waitcnt_vscnt null, 0x0
	buffer_gl1_inv
	buffer_gl0_inv
.LBB4_131:                              ;   in Loop: Header=BB4_57 Depth=2
	s_or_b32 exec_lo, exec_lo, s16
	s_andn2_saveexec_b32 s16, s17
	s_cbranch_execz .LBB4_189
	s_branch .LBB4_171
.LBB4_132:                              ;   in Loop: Header=BB4_57 Depth=2
	v_ashrrev_i32_e32 v9, 31, v3
	s_mov_b32 s17, exec_lo
	v_lshrrev_b32_e32 v9, 21, v9
	v_add_nc_u32_e32 v9, v3, v9
	v_ashrrev_i32_e32 v9, 11, v9
	v_sub_nc_u32_e32 v22, v9, v113
	v_cmpx_lt_i32_e32 0, v22
	s_cbranch_execz .LBB4_136
; %bb.133:                              ;   in Loop: Header=BB4_57 Depth=2
	v_mov_b32_e32 v17, v15
	v_mov_b32_e32 v19, v13
	v_mov_b32_e32 v16, v14
	v_mov_b32_e32 v18, v12
	s_mov_b32 s23, 0
	s_inst_prefetch 0x1
	.p2align	6
.LBB4_134:                              ;   Parent Loop BB4_47 Depth=1
                                        ;     Parent Loop BB4_57 Depth=2
                                        ; =>    This Inner Loop Header: Depth=3
	v_add_co_u32 v96, vcc_lo, v58, v18
	v_add_co_ci_u32_e64 v97, null, 0, v19, vcc_lo
	v_sub_nc_u32_e32 v22, v22, v103
	v_add_co_u32 v74, vcc_lo, v58, v16
	s_clause 0x3
	global_load_dwordx4 v[68:71], v[96:97], off slc
	global_load_dwordx4 v[80:83], v[96:97], off offset:512 slc
	global_load_dwordx4 v[84:87], v[96:97], off offset:1024 slc
	;; [unrolled: 1-line block ×3, first 2 shown]
	v_add_co_ci_u32_e64 v75, null, 0, v17, vcc_lo
	v_add_co_u32 v18, vcc_lo, v18, v43
	v_add_co_ci_u32_e64 v19, null, 0, v19, vcc_lo
	v_add_co_u32 v16, vcc_lo, v16, v43
	v_cmp_gt_i32_e64 s16, 1, v22
	v_add_co_ci_u32_e64 v17, null, 0, v17, vcc_lo
	s_waitcnt vmcnt(3)
	global_store_dwordx4 v[74:75], v[68:71], off glc slc
	s_waitcnt vmcnt(2)
	global_store_dwordx4 v[74:75], v[80:83], off offset:512 glc slc
	s_waitcnt vmcnt(1)
	global_store_dwordx4 v[74:75], v[84:87], off offset:1024 glc slc
	;; [unrolled: 2-line block ×3, first 2 shown]
	s_or_b32 s23, s16, s23
	s_andn2_b32 exec_lo, exec_lo, s23
	s_cbranch_execnz .LBB4_134
; %bb.135:                              ;   in Loop: Header=BB4_57 Depth=2
	s_inst_prefetch 0x2
	s_or_b32 exec_lo, exec_lo, s23
.LBB4_136:                              ;   in Loop: Header=BB4_57 Depth=2
	s_or_b32 exec_lo, exec_lo, s17
	v_lshlrev_b32_e32 v18, 11, v9
	v_mov_b32_e32 v9, 0
	s_mov_b32 s16, 0
	s_mov_b32 s23, exec_lo
                                        ; implicit-def: $vgpr16
                                        ; implicit-def: $vgpr17
	v_cmpx_ne_u32_e64 v3, v18
	s_cbranch_execz .LBB4_142
; %bb.137:                              ;   in Loop: Header=BB4_57 Depth=2
	v_lshlrev_b32_e32 v9, 5, v22
	v_sub_nc_u32_e32 v19, v3, v18
	s_mov_b32 s61, exec_lo
	v_sub_nc_u32_e32 v9, v112, v9
	v_ashrrev_i32_e32 v17, 31, v19
	v_ashrrev_i32_e32 v16, 31, v9
	v_lshrrev_b32_e32 v17, 23, v17
	v_lshrrev_b32_e32 v16, 27, v16
	v_add_nc_u32_e32 v23, v19, v17
	v_add_nc_u32_e32 v16, v9, v16
	v_ashrrev_i32_e32 v69, 9, v23
	v_and_b32_e32 v22, 0xffffffe0, v16
	v_ashrrev_i32_e32 v68, 5, v16
	v_sub_nc_u32_e32 v17, v9, v22
	v_and_b32_e32 v9, 0xfffffe00, v23
	v_lshlrev_b32_e32 v22, 4, v17
	v_sub_nc_u32_e32 v16, v19, v9
	v_lshl_add_u32 v23, v68, 9, v22
	v_cmp_lt_i32_e32 vcc_lo, 15, v16
	v_sub_nc_u32_e32 v22, v19, v23
	v_add_co_ci_u32_e64 v69, null, 0, v69, vcc_lo
	v_sub_nc_u32_e32 v19, v69, v68
	v_cmpx_lt_i32_e32 15, v22
	s_cbranch_execz .LBB4_141
; %bb.138:                              ;   in Loop: Header=BB4_57 Depth=2
	v_add_nc_u32_e32 v23, v23, v18
	s_mov_b32 s62, 0
	v_ashrrev_i32_e32 v68, 31, v23
	.p2align	6
.LBB4_139:                              ;   Parent Loop BB4_47 Depth=1
                                        ;     Parent Loop BB4_57 Depth=2
                                        ; =>    This Inner Loop Header: Depth=3
	v_add_co_u32 v69, s16, v12, v23
	v_add_co_ci_u32_e64 v70, null, v13, v68, s16
	v_sub_nc_u32_e32 v22, v22, v44
	v_sub_nc_u32_e32 v19, v19, v103
	global_load_dwordx4 v[80:83], v[69:70], off slc
	v_add_co_u32 v69, s16, v14, v23
	v_add_co_ci_u32_e64 v70, null, v15, v68, s16
	v_cmp_gt_i32_e64 s16, 16, v22
	v_add_co_u32 v23, s17, v23, v44
	v_add_co_ci_u32_e64 v68, null, 0, v68, s17
	s_or_b32 s62, s16, s62
	s_waitcnt vmcnt(0)
	global_store_dwordx4 v[69:70], v[80:83], off glc slc
	s_andn2_b32 exec_lo, exec_lo, s62
	s_cbranch_execnz .LBB4_139
; %bb.140:                              ;   in Loop: Header=BB4_57 Depth=2
	s_or_b32 exec_lo, exec_lo, s62
.LBB4_141:                              ;   in Loop: Header=BB4_57 Depth=2
	s_or_b32 exec_lo, exec_lo, s61
	v_and_b32_e32 v22, 15, v3
	v_cmp_lt_i32_e64 s16, 0, v19
	v_sub_nc_u32_e32 v23, v16, v22
	v_cndmask_b32_e64 v68, 0, v103, s16
	v_cndmask_b32_e32 v16, v16, v22, vcc_lo
	v_cndmask_b32_e32 v22, 0, v23, vcc_lo
	v_sub_nc_u32_e32 v19, v68, v19
	v_cmp_ne_u32_e32 vcc_lo, 0, v16
	v_add3_u32 v9, v9, v18, v22
	v_lshl_add_u32 v17, v19, 5, v17
	s_and_b32 s16, vcc_lo, exec_lo
.LBB4_142:                              ;   in Loop: Header=BB4_57 Depth=2
	s_or_b32 exec_lo, exec_lo, s23
	s_and_saveexec_b32 s17, s16
	s_cbranch_execz .LBB4_151
.LBB4_143:                              ;   in Loop: Header=BB4_57 Depth=2
	v_ashrrev_i32_e32 v18, 31, v17
	v_ashrrev_i32_e32 v19, 31, v16
	s_mov_b32 s16, exec_lo
	v_lshrrev_b32_e32 v18, 27, v18
	v_lshrrev_b32_e32 v19, 23, v19
	v_add_nc_u32_e32 v23, v17, v18
	v_add_nc_u32_e32 v19, v16, v19
	v_ashrrev_i32_e32 v18, 5, v23
	v_ashrrev_i32_e32 v22, 9, v19
	v_sub_nc_u32_e32 v19, v22, v18
	v_cmpx_lt_i32_e32 0, v19
	s_cbranch_execz .LBB4_147
; %bb.144:                              ;   in Loop: Header=BB4_57 Depth=2
	v_and_b32_e32 v23, 0xffffffe0, v23
	v_lshlrev_b32_e32 v68, 9, v18
	s_mov_b32 s23, 0
	v_sub_nc_u32_e32 v23, v17, v23
	v_add3_u32 v23, v9, v23, v68
	v_ashrrev_i32_e32 v68, 31, v23
.LBB4_145:                              ;   Parent Loop BB4_47 Depth=1
                                        ;     Parent Loop BB4_57 Depth=2
                                        ; =>    This Inner Loop Header: Depth=3
	v_add_co_u32 v69, vcc_lo, v23, v12
	v_add_co_ci_u32_e64 v70, null, v68, v13, vcc_lo
	v_sub_nc_u32_e32 v19, v19, v103
	s_clause 0xf
	flat_load_ubyte v71, v[69:70] slc
	flat_load_ubyte v80, v[69:70] offset:32 slc
	flat_load_ubyte v81, v[69:70] offset:64 slc
	flat_load_ubyte v82, v[69:70] offset:96 slc
	flat_load_ubyte v83, v[69:70] offset:128 slc
	flat_load_ubyte v84, v[69:70] offset:160 slc
	flat_load_ubyte v85, v[69:70] offset:192 slc
	flat_load_ubyte v86, v[69:70] offset:224 slc
	flat_load_ubyte v87, v[69:70] offset:256 slc
	flat_load_ubyte v96, v[69:70] offset:288 slc
	flat_load_ubyte v97, v[69:70] offset:320 slc
	flat_load_ubyte v98, v[69:70] offset:352 slc
	flat_load_ubyte v99, v[69:70] offset:384 slc
	flat_load_ubyte v74, v[69:70] offset:416 slc
	flat_load_ubyte v75, v[69:70] offset:448 slc
	flat_load_ubyte v76, v[69:70] offset:480 slc
	v_add_co_u32 v69, vcc_lo, v23, v14
	v_add_co_ci_u32_e64 v70, null, v68, v15, vcc_lo
	v_add_co_u32 v12, vcc_lo, v12, v44
	v_add_co_ci_u32_e64 v13, null, 0, v13, vcc_lo
	;; [unrolled: 2-line block ×3, first 2 shown]
	v_cmp_gt_i32_e32 vcc_lo, 1, v19
	s_waitcnt vmcnt(15) lgkmcnt(15)
	flat_store_byte v[69:70], v71 glc slc
	s_waitcnt vmcnt(14) lgkmcnt(15)
	flat_store_byte v[69:70], v80 offset:32 glc slc
	s_waitcnt vmcnt(13) lgkmcnt(15)
	flat_store_byte v[69:70], v81 offset:64 glc slc
	;; [unrolled: 2-line block ×15, first 2 shown]
	s_or_b32 s23, vcc_lo, s23
	s_andn2_b32 exec_lo, exec_lo, s23
	s_cbranch_execnz .LBB4_145
; %bb.146:                              ;   in Loop: Header=BB4_57 Depth=2
	s_or_b32 exec_lo, exec_lo, s23
.LBB4_147:                              ;   in Loop: Header=BB4_57 Depth=2
	s_or_b32 exec_lo, exec_lo, s16
	v_lshlrev_b32_e32 v12, 9, v22
	v_cmp_ne_u32_e32 vcc_lo, v16, v12
	s_and_b32 exec_lo, exec_lo, vcc_lo
	s_cbranch_execz .LBB4_151
; %bb.148:                              ;   in Loop: Header=BB4_57 Depth=2
	v_lshlrev_b32_e32 v13, 5, v18
	v_lshlrev_b32_e32 v14, 5, v19
	v_sub_nc_u32_e32 v13, v17, v13
	v_sub_nc_u32_e32 v13, v13, v14
	v_add_nc_u32_e32 v15, v12, v13
	v_sub_nc_u32_e32 v14, v16, v15
	v_cmp_lt_i32_e32 vcc_lo, 0, v14
	s_and_b32 exec_lo, exec_lo, vcc_lo
	s_cbranch_execz .LBB4_151
; %bb.149:                              ;   in Loop: Header=BB4_57 Depth=2
	s_trap 2
	ds_read_b64 v[12:13], v0
	v_add_nc_u32_e32 v9, v15, v9
	s_mov_b32 s23, 0
	v_ashrrev_i32_e32 v15, 31, v9
	.p2align	6
.LBB4_150:                              ;   Parent Loop BB4_47 Depth=1
                                        ;     Parent Loop BB4_57 Depth=2
                                        ; =>    This Inner Loop Header: Depth=3
	s_waitcnt lgkmcnt(0)
	v_add_co_u32 v16, vcc_lo, v12, v9
	v_add_co_ci_u32_e64 v17, null, v13, v15, vcc_lo
	v_sub_nc_u32_e32 v14, v14, v114
	v_add_co_u32 v9, s16, v9, v114
	flat_load_ubyte v18, v[16:17] slc
	v_add_co_ci_u32_e64 v15, null, 0, v15, s16
	v_cmp_gt_i32_e32 vcc_lo, 1, v14
	s_or_b32 s23, vcc_lo, s23
	s_waitcnt vmcnt(0) lgkmcnt(0)
	flat_store_byte v[16:17], v18 glc slc
	s_andn2_b32 exec_lo, exec_lo, s23
	s_cbranch_execnz .LBB4_150
.LBB4_151:                              ;   in Loop: Header=BB4_57 Depth=2
	s_or_b32 exec_lo, exec_lo, s17
	v_cmp_lt_i32_e64 s16, 0, v3
	s_and_saveexec_b32 s17, s6
	s_cbranch_execz .LBB4_128
.LBB4_152:                              ;   in Loop: Header=BB4_57 Depth=2
	s_and_saveexec_b32 s23, s29
	s_xor_b32 s23, exec_lo, s23
	s_cbranch_execz .LBB4_167
; %bb.153:                              ;   in Loop: Header=BB4_57 Depth=2
	s_and_saveexec_b32 s61, s11
	s_cbranch_execz .LBB4_166
; %bb.154:                              ;   in Loop: Header=BB4_57 Depth=2
	s_mov_b32 s63, exec_lo
	s_mov_b32 s62, exec_lo
	v_mbcnt_lo_u32_b32 v3, s63, 0
	s_waitcnt vmcnt(0) lgkmcnt(0)
	s_waitcnt_vscnt null, 0x0
	buffer_gl1_inv
	buffer_gl0_inv
	v_cmpx_eq_u32_e32 0, v3
	s_cbranch_execz .LBB4_156
; %bb.155:                              ;   in Loop: Header=BB4_57 Depth=2
	s_bcnt1_i32_b32 s63, s63
	v_mov_b32_e32 v13, v2
	v_mov_b32_e32 v12, s63
	ds_add_u64 v0, v[12:13]
	s_trap 2
.LBB4_156:                              ;   in Loop: Header=BB4_57 Depth=2
	s_or_b32 exec_lo, exec_lo, s62
	s_trap 2
	ds_read_b64 v[12:13], v0
	s_waitcnt lgkmcnt(0)
	buffer_gl0_inv
	v_add_co_u32 v38, vcc_lo, v38, v103
	v_add_co_ci_u32_e64 v39, null, 0, v39, vcc_lo
	s_mov_b32 s62, exec_lo
	v_cmpx_lt_u64_e64 v[12:13], v[38:39]
	s_cbranch_execz .LBB4_165
; %bb.157:                              ;   in Loop: Header=BB4_57 Depth=2
	s_mov_b32 s63, 0
	s_mov_b32 s74, 0
                                        ; implicit-def: $sgpr72
                                        ; implicit-def: $sgpr73
	s_inst_prefetch 0x1
	s_branch .LBB4_159
	.p2align	6
.LBB4_158:                              ;   in Loop: Header=BB4_159 Depth=3
	s_or_b32 exec_lo, exec_lo, s76
	s_and_b32 s75, exec_lo, s77
	s_or_b32 s63, s75, s63
	s_andn2_b32 s72, s72, exec_lo
	s_and_b32 s75, s73, exec_lo
	s_or_b32 s72, s72, s75
	s_andn2_b32 exec_lo, exec_lo, s63
	s_cbranch_execz .LBB4_163
.LBB4_159:                              ;   Parent Loop BB4_47 Depth=1
                                        ;     Parent Loop BB4_57 Depth=2
                                        ; =>    This Inner Loop Header: Depth=3
	s_add_i32 s74, s74, 1
	s_cmpk_lg_i32 s74, 0x2710
	s_cselect_b32 s75, -1, 0
	s_and_b32 vcc_lo, exec_lo, s75
	s_cbranch_vccz .LBB4_161
; %bb.160:                              ;   in Loop: Header=BB4_159 Depth=3
	s_mov_b32 s77, -1
	s_or_b32 s73, s73, exec_lo
	s_and_saveexec_b32 s76, s75
	s_cbranch_execz .LBB4_158
	s_branch .LBB4_162
	.p2align	6
.LBB4_161:                              ;   in Loop: Header=BB4_159 Depth=3
	s_trap 2
	ds_read_b64 v[12:13], v0
	s_andn2_b32 s75, s75, exec_lo
	s_mov_b32 s74, 0
	s_waitcnt lgkmcnt(0)
	flat_load_dword v3, v[12:13] glc dlc
	s_waitcnt vmcnt(0) lgkmcnt(0)
	buffer_gl1_inv
	buffer_gl0_inv
	v_cmp_eq_u32_e32 vcc_lo, 0, v3
	s_and_b32 s76, vcc_lo, exec_lo
	s_or_b32 s75, s75, s76
	s_mov_b32 s77, -1
	s_or_b32 s73, s73, exec_lo
	s_and_saveexec_b32 s76, s75
	s_cbranch_execz .LBB4_158
.LBB4_162:                              ;   in Loop: Header=BB4_159 Depth=3
	s_sleep 1
	s_trap 2
	ds_read_b64 v[12:13], v0
	s_waitcnt lgkmcnt(0)
	buffer_gl0_inv
	s_andn2_b32 s73, s73, exec_lo
	v_cmp_ge_u64_e32 vcc_lo, v[12:13], v[38:39]
	s_orn2_b32 s77, vcc_lo, exec_lo
	s_branch .LBB4_158
.LBB4_163:                              ;   in Loop: Header=BB4_57 Depth=2
	s_inst_prefetch 0x2
	s_or_b32 exec_lo, exec_lo, s63
	s_and_saveexec_b32 s63, s72
	s_xor_b32 s63, exec_lo, s63
	s_cbranch_execz .LBB4_165
; %bb.164:                              ;   in Loop: Header=BB4_57 Depth=2
	ds_write_b32 v0, v115
	s_trap 2
.LBB4_165:                              ;   in Loop: Header=BB4_57 Depth=2
	s_or_b32 exec_lo, exec_lo, s62
	;;#ASMSTART
	s_wakeup
	;;#ASMEND
.LBB4_166:                              ;   in Loop: Header=BB4_57 Depth=2
	s_or_b32 exec_lo, exec_lo, s61
.LBB4_167:                              ;   in Loop: Header=BB4_57 Depth=2
	s_andn2_saveexec_b32 s23, s23
	s_cbranch_execz .LBB4_169
; %bb.168:                              ;   in Loop: Header=BB4_57 Depth=2
	s_waitcnt vmcnt(0) lgkmcnt(0)
	s_waitcnt_vscnt null, 0x0
	buffer_gl1_inv
	buffer_gl0_inv
	s_barrier
.LBB4_169:                              ;   in Loop: Header=BB4_57 Depth=2
	s_or_b32 exec_lo, exec_lo, s23
	s_or_b32 exec_lo, exec_lo, s17
                                        ; implicit-def: $vgpr3
	s_and_saveexec_b32 s17, s15
	s_xor_b32 s17, exec_lo, s17
	s_cbranch_execnz .LBB4_129
.LBB4_170:                              ;   in Loop: Header=BB4_57 Depth=2
	s_andn2_saveexec_b32 s16, s17
	s_cbranch_execz .LBB4_189
.LBB4_171:                              ;   in Loop: Header=BB4_57 Depth=2
	s_and_saveexec_b32 s17, s29
	s_xor_b32 s17, exec_lo, s17
	s_cbranch_execz .LBB4_186
; %bb.172:                              ;   in Loop: Header=BB4_57 Depth=2
	s_and_saveexec_b32 s23, s11
	s_cbranch_execz .LBB4_185
; %bb.173:                              ;   in Loop: Header=BB4_57 Depth=2
	s_mov_b32 s62, exec_lo
	s_mov_b32 s61, exec_lo
	v_mbcnt_lo_u32_b32 v3, s62, 0
	;;#ASMSTART
	s_waitcnt lgkmcnt(0) vmcnt(0)
	;;#ASMEND
	v_cmpx_eq_u32_e32 0, v3
	s_cbranch_execz .LBB4_175
; %bb.174:                              ;   in Loop: Header=BB4_57 Depth=2
	s_bcnt1_i32_b32 s62, s62
	v_mov_b32_e32 v13, v2
	v_mov_b32_e32 v12, s62
	s_waitcnt vmcnt(0) lgkmcnt(0)
	s_waitcnt_vscnt null, 0x0
	ds_add_u64 v0, v[12:13]
	s_trap 2
.LBB4_175:                              ;   in Loop: Header=BB4_57 Depth=2
	s_or_b32 exec_lo, exec_lo, s61
	s_trap 2
	ds_read_b64 v[12:13], v0
	s_waitcnt vmcnt(0) lgkmcnt(0)
	buffer_gl0_inv
	v_add_co_u32 v38, vcc_lo, v38, v103
	v_add_co_ci_u32_e64 v39, null, 0, v39, vcc_lo
	s_mov_b32 s61, exec_lo
	v_cmpx_lt_u64_e64 v[12:13], v[38:39]
	s_cbranch_execz .LBB4_184
; %bb.176:                              ;   in Loop: Header=BB4_57 Depth=2
	s_mov_b32 s62, 0
	s_mov_b32 s73, 0
                                        ; implicit-def: $sgpr63
                                        ; implicit-def: $sgpr72
	s_inst_prefetch 0x1
	s_branch .LBB4_178
	.p2align	6
.LBB4_177:                              ;   in Loop: Header=BB4_178 Depth=3
	s_or_b32 exec_lo, exec_lo, s75
	s_and_b32 s74, exec_lo, s76
	s_or_b32 s62, s74, s62
	s_andn2_b32 s63, s63, exec_lo
	s_and_b32 s74, s72, exec_lo
	s_or_b32 s63, s63, s74
	s_andn2_b32 exec_lo, exec_lo, s62
	s_cbranch_execz .LBB4_182
.LBB4_178:                              ;   Parent Loop BB4_47 Depth=1
                                        ;     Parent Loop BB4_57 Depth=2
                                        ; =>    This Inner Loop Header: Depth=3
	s_add_i32 s73, s73, 1
	s_cmpk_lg_i32 s73, 0x2710
	s_cselect_b32 s74, -1, 0
	s_and_b32 vcc_lo, exec_lo, s74
	s_cbranch_vccz .LBB4_180
; %bb.179:                              ;   in Loop: Header=BB4_178 Depth=3
	s_mov_b32 s76, -1
	s_or_b32 s72, s72, exec_lo
	s_and_saveexec_b32 s75, s74
	s_cbranch_execz .LBB4_177
	s_branch .LBB4_181
	.p2align	6
.LBB4_180:                              ;   in Loop: Header=BB4_178 Depth=3
	s_trap 2
	ds_read_b64 v[12:13], v0
	s_andn2_b32 s74, s74, exec_lo
	s_mov_b32 s73, 0
	s_waitcnt lgkmcnt(0)
	s_waitcnt_vscnt null, 0x0
	flat_load_dword v3, v[12:13] glc dlc
	s_waitcnt vmcnt(0) lgkmcnt(0)
	buffer_gl1_inv
	buffer_gl0_inv
	v_cmp_eq_u32_e32 vcc_lo, 0, v3
	s_and_b32 s75, vcc_lo, exec_lo
	s_or_b32 s74, s74, s75
	s_mov_b32 s76, -1
	s_or_b32 s72, s72, exec_lo
	s_and_saveexec_b32 s75, s74
	s_cbranch_execz .LBB4_177
.LBB4_181:                              ;   in Loop: Header=BB4_178 Depth=3
	s_sleep 1
	s_trap 2
	ds_read_b64 v[12:13], v0
	s_waitcnt lgkmcnt(0)
	buffer_gl0_inv
	s_andn2_b32 s72, s72, exec_lo
	v_cmp_ge_u64_e32 vcc_lo, v[12:13], v[38:39]
	s_orn2_b32 s76, vcc_lo, exec_lo
	s_branch .LBB4_177
.LBB4_182:                              ;   in Loop: Header=BB4_57 Depth=2
	s_inst_prefetch 0x2
	s_or_b32 exec_lo, exec_lo, s62
	s_and_saveexec_b32 s62, s63
	s_xor_b32 s62, exec_lo, s62
	s_cbranch_execz .LBB4_184
; %bb.183:                              ;   in Loop: Header=BB4_57 Depth=2
	ds_write_b32 v0, v115
	s_trap 2
.LBB4_184:                              ;   in Loop: Header=BB4_57 Depth=2
	s_or_b32 exec_lo, exec_lo, s61
	;;#ASMSTART
	s_wakeup
	;;#ASMEND
.LBB4_185:                              ;   in Loop: Header=BB4_57 Depth=2
	s_or_b32 exec_lo, exec_lo, s23
.LBB4_186:                              ;   in Loop: Header=BB4_57 Depth=2
	s_andn2_saveexec_b32 s17, s17
	s_cbranch_execz .LBB4_188
; %bb.187:                              ;   in Loop: Header=BB4_57 Depth=2
	;;#ASMSTART
	s_waitcnt lgkmcnt(0) vmcnt(0)
	;;#ASMEND
	s_barrier
.LBB4_188:                              ;   in Loop: Header=BB4_57 Depth=2
	s_or_b32 exec_lo, exec_lo, s17
	v_and_b32_e32 v3, 16, v100
.LBB4_189:                              ;   in Loop: Header=BB4_57 Depth=2
	s_or_b32 exec_lo, exec_lo, s16
	s_mov_b32 s16, exec_lo
	v_cmpx_ne_u32_e32 0, v3
	s_cbranch_execz .LBB4_56
; %bb.190:                              ;   in Loop: Header=BB4_57 Depth=2
	s_and_saveexec_b32 s17, s10
	s_cbranch_execz .LBB4_55
; %bb.191:                              ;   in Loop: Header=BB4_57 Depth=2
	s_waitcnt vmcnt(0) lgkmcnt(0)
	s_waitcnt_vscnt null, 0x0
	flat_store_dword v[36:37], v115
	s_branch .LBB4_55
.LBB4_192:                              ;   in Loop: Header=BB4_47 Depth=1
	s_or_b32 exec_lo, exec_lo, s19
.LBB4_193:                              ;   in Loop: Header=BB4_47 Depth=1
	s_or_b32 exec_lo, exec_lo, s18
	s_mov_b32 s17, exec_lo
	v_cmpx_gt_i32_e32 2, v3
	s_cbranch_execz .LBB4_265
; %bb.194:                              ;   in Loop: Header=BB4_47 Depth=1
	v_cmp_eq_u32_e64 s19, 0, v3
	s_mov_b32 s18, 0
	s_branch .LBB4_197
.LBB4_195:                              ;   in Loop: Header=BB4_197 Depth=2
	s_or_b32 exec_lo, exec_lo, s19
	v_add_co_u32 v64, vcc_lo, v64, 2
	v_add_co_ci_u32_e64 v65, null, 0, v65, vcc_lo
	s_waitcnt vmcnt(0) lgkmcnt(0)
	s_waitcnt_vscnt null, 0x0
	flat_store_dwordx2 v[32:33], v[64:65]
.LBB4_196:                              ;   in Loop: Header=BB4_197 Depth=2
	s_or_b32 exec_lo, exec_lo, s16
	v_add_nc_u32_e32 v21, v8, v21
	s_mov_b32 s19, 0
	s_andn2_b32 exec_lo, exec_lo, s18
	s_cbranch_execz .LBB4_264
.LBB4_197:                              ;   Parent Loop BB4_47 Depth=1
                                        ; =>  This Loop Header: Depth=2
                                        ;       Child Loop BB4_203 Depth 3
                                        ;       Child Loop BB4_227 Depth 3
	;; [unrolled: 1-line block ×3, first 2 shown]
	v_sub_nc_u32_e32 v3, v20, v21
	v_and_b32_e32 v9, 8, v100
	s_mov_b32 s21, exec_lo
	v_min_i32_e32 v8, v8, v3
	v_cmpx_ne_u32_e32 0, v9
	s_cbranch_execz .LBB4_219
; %bb.198:                              ;   in Loop: Header=BB4_197 Depth=2
	s_waitcnt vmcnt(0) lgkmcnt(1)
	v_add_co_u32 v12, vcc_lo, v48, 8
	v_add_co_ci_u32_e64 v13, null, 0, v49, vcc_lo
	v_add_co_u32 v10, vcc_lo, v64, 2
	v_add_co_ci_u32_e64 v11, null, 0, v65, vcc_lo
	s_mov_b32 s22, exec_lo
	v_cmpx_lt_u64_e64 v[12:13], v[10:11]
	s_cbranch_execz .LBB4_210
; %bb.199:                              ;   in Loop: Header=BB4_197 Depth=2
	v_and_b32_e32 v3, 64, v100
	s_mov_b32 s23, 0
	s_mov_b32 s72, 0
                                        ; implicit-def: $sgpr61
                                        ; implicit-def: $sgpr62
                                        ; implicit-def: $sgpr63
	v_cmp_eq_u32_e32 vcc_lo, 0, v3
	s_branch .LBB4_203
.LBB4_200:                              ;   in Loop: Header=BB4_203 Depth=3
	s_waitcnt vmcnt(0) lgkmcnt(0)
	v_add_co_u32 v12, s16, v48, 8
	v_add_co_ci_u32_e64 v13, null, 0, v49, s16
	s_or_b32 s75, s75, exec_lo
	v_cmp_ge_u64_e64 s16, v[12:13], v[10:11]
	s_orn2_b32 s74, s16, exec_lo
.LBB4_201:                              ;   in Loop: Header=BB4_203 Depth=3
	s_or_b32 exec_lo, exec_lo, s77
	s_andn2_b32 s16, s63, exec_lo
	s_and_b32 s63, s75, exec_lo
	s_andn2_b32 s62, s62, exec_lo
	s_and_b32 s74, s74, exec_lo
	s_or_b32 s63, s16, s63
	s_or_b32 s62, s62, s74
.LBB4_202:                              ;   in Loop: Header=BB4_203 Depth=3
	s_or_b32 exec_lo, exec_lo, s73
	s_and_b32 s16, exec_lo, s62
	s_or_b32 s23, s16, s23
	s_andn2_b32 s16, s61, exec_lo
	s_and_b32 s61, s63, exec_lo
	s_or_b32 s61, s16, s61
	s_andn2_b32 exec_lo, exec_lo, s23
	s_cbranch_execz .LBB4_207
.LBB4_203:                              ;   Parent Loop BB4_47 Depth=1
                                        ;     Parent Loop BB4_197 Depth=2
                                        ; =>    This Inner Loop Header: Depth=3
	s_sleep 1
	s_waitcnt vmcnt(0) lgkmcnt(0)
	flat_load_dwordx2 v[48:49], v[32:33] glc dlc
	s_or_b32 s63, s63, exec_lo
	s_or_b32 s62, s62, exec_lo
                                        ; implicit-def: $vgpr3
	s_and_saveexec_b32 s73, vcc_lo
	s_cbranch_execz .LBB4_202
; %bb.204:                              ;   in Loop: Header=BB4_203 Depth=3
	s_cmpk_lt_i32 s72, 0x270f
	s_mov_b32 s74, -1
	s_cselect_b32 s76, -1, 0
	s_cmpk_gt_i32 s72, 0x270e
	s_cbranch_scc0 .LBB4_206
; %bb.205:                              ;   in Loop: Header=BB4_203 Depth=3
	s_trap 2
	ds_read_b64 v[12:13], v0
	s_andn2_b32 s72, s76, exec_lo
	s_mov_b32 s75, 0
	s_waitcnt vmcnt(0) lgkmcnt(0)
	s_waitcnt_vscnt null, 0x0
	flat_load_dword v3, v[12:13] glc dlc
	s_waitcnt vmcnt(0) lgkmcnt(0)
	buffer_gl1_inv
	buffer_gl0_inv
	v_cmp_eq_u32_e64 s16, 0, v3
	s_and_b32 s16, s16, exec_lo
	s_or_b32 s76, s72, s16
	s_mov_b32 s72, 0
	s_and_saveexec_b32 s77, s76
	s_cbranch_execz .LBB4_201
	s_branch .LBB4_200
.LBB4_206:                              ;   in Loop: Header=BB4_203 Depth=3
	s_add_i32 s72, s72, 1
	s_mov_b32 s75, -1
                                        ; implicit-def: $vgpr3
	s_and_saveexec_b32 s77, s76
	s_cbranch_execz .LBB4_201
	s_branch .LBB4_200
.LBB4_207:                              ;   in Loop: Header=BB4_197 Depth=2
	s_or_b32 exec_lo, exec_lo, s23
	s_xor_b32 s16, s61, -1
	s_and_saveexec_b32 s23, s16
	s_xor_b32 s16, exec_lo, s23
	s_cbranch_execz .LBB4_209
; %bb.208:                              ;   in Loop: Header=BB4_197 Depth=2
	v_or_b32_e32 v100, 64, v100
	s_waitcnt vmcnt(0) lgkmcnt(0)
	s_waitcnt_vscnt null, 0x0
	ds_write_b32 v0, v3
	s_trap 2
.LBB4_209:                              ;   in Loop: Header=BB4_197 Depth=2
	s_or_b32 exec_lo, exec_lo, s16
.LBB4_210:                              ;   in Loop: Header=BB4_197 Depth=2
	s_or_b32 exec_lo, exec_lo, s22
	v_and_b32_e32 v3, 0x100, v100
	s_mov_b32 s16, -1
	;;#ASMSTART
	s_wakeup
	;;#ASMEND
                                        ; implicit-def: $vgpr12_vgpr13
	v_cmp_ne_u32_e32 vcc_lo, 0, v3
	v_and_b32_e32 v3, 7, v64
	s_and_saveexec_b32 s22, vcc_lo
	s_cbranch_execz .LBB4_214
; %bb.211:                              ;   in Loop: Header=BB4_197 Depth=2
	v_mad_u64_u32 v[14:15], null, v3, 24, v[6:7]
	v_ashrrev_i32_e32 v9, 31, v8
	flat_load_dword v12, v[14:15]
	flat_store_dwordx2 v[14:15], v[8:9] offset:8
	s_waitcnt vmcnt(0) lgkmcnt(1)
	v_cmp_eq_u32_e64 s16, 1, v12
	v_cmp_ne_u32_e32 vcc_lo, 1, v12
                                        ; implicit-def: $vgpr12_vgpr13
	s_and_saveexec_b32 s23, s16
	s_cbranch_execz .LBB4_213
; %bb.212:                              ;   in Loop: Header=BB4_197 Depth=2
	flat_load_dword v12, v[14:15] offset:4 glc dlc
	s_waitcnt vmcnt(0) lgkmcnt(0)
	v_ashrrev_i32_e32 v13, 31, v12
.LBB4_213:                              ;   in Loop: Header=BB4_197 Depth=2
	s_or_b32 exec_lo, exec_lo, s23
	s_orn2_b32 s16, vcc_lo, exec_lo
.LBB4_214:                              ;   in Loop: Header=BB4_197 Depth=2
	s_or_b32 exec_lo, exec_lo, s22
	s_and_saveexec_b32 s22, s16
; %bb.215:                              ;   in Loop: Header=BB4_197 Depth=2
	v_mad_i64_i32 v[12:13], null, v3, v101, 0
; %bb.216:                              ;   in Loop: Header=BB4_197 Depth=2
	s_or_b32 exec_lo, exec_lo, s22
	v_add_co_u32 v12, vcc_lo, v34, v12
	v_and_b32_e32 v3, 0x2000, v100
	v_add_co_ci_u32_e64 v13, null, v35, v13, vcc_lo
	s_mov_b32 s16, exec_lo
	ds_write_b64 v0, v[12:13] offset:784
	v_cmpx_ne_u32_e32 0, v3
	s_cbranch_execz .LBB4_218
; %bb.217:                              ;   in Loop: Header=BB4_197 Depth=2
	ds_read_b64 v[12:13], v0 offset:872
	s_waitcnt lgkmcnt(0)
	v_add_co_u32 v12, vcc_lo, v12, 1
	v_add_co_ci_u32_e64 v13, null, 0, v13, vcc_lo
	ds_write_b64 v0, v[12:13] offset:872
.LBB4_218:                              ;   in Loop: Header=BB4_197 Depth=2
	s_or_b32 exec_lo, exec_lo, s16
	v_mov_b32_e32 v65, v11
	v_mov_b32_e32 v64, v10
.LBB4_219:                              ;   in Loop: Header=BB4_197 Depth=2
	s_or_b32 exec_lo, exec_lo, s21
	s_xor_b32 s16, s19, -1
	s_and_b32 s16, exec_lo, s16
	s_or_b32 s18, s16, s18
	s_and_saveexec_b32 s16, s6
	s_cbranch_execz .LBB4_238
; %bb.220:                              ;   in Loop: Header=BB4_197 Depth=2
	s_and_saveexec_b32 s19, s29
	s_xor_b32 s19, exec_lo, s19
	s_cbranch_execz .LBB4_235
; %bb.221:                              ;   in Loop: Header=BB4_197 Depth=2
	s_and_saveexec_b32 s21, s11
	s_cbranch_execz .LBB4_234
; %bb.222:                              ;   in Loop: Header=BB4_197 Depth=2
	s_mov_b32 s23, exec_lo
	s_mov_b32 s22, exec_lo
	v_mbcnt_lo_u32_b32 v3, s23, 0
	s_waitcnt vmcnt(0) lgkmcnt(0)
	s_waitcnt_vscnt null, 0x0
	buffer_gl1_inv
	buffer_gl0_inv
	v_cmpx_eq_u32_e32 0, v3
	s_cbranch_execz .LBB4_224
; %bb.223:                              ;   in Loop: Header=BB4_197 Depth=2
	s_bcnt1_i32_b32 s23, s23
	v_mov_b32_e32 v10, v2
	v_mov_b32_e32 v9, s23
	ds_add_u64 v0, v[9:10]
	s_trap 2
.LBB4_224:                              ;   in Loop: Header=BB4_197 Depth=2
	s_or_b32 exec_lo, exec_lo, s22
	s_trap 2
	ds_read_b64 v[9:10], v0
	s_waitcnt lgkmcnt(0)
	buffer_gl0_inv
	v_add_co_u32 v38, vcc_lo, v38, v103
	v_add_co_ci_u32_e64 v39, null, 0, v39, vcc_lo
	s_mov_b32 s22, exec_lo
	v_cmpx_lt_u64_e64 v[9:10], v[38:39]
	s_cbranch_execz .LBB4_233
; %bb.225:                              ;   in Loop: Header=BB4_197 Depth=2
	s_mov_b32 s23, 0
	s_mov_b32 s63, 0
                                        ; implicit-def: $sgpr61
                                        ; implicit-def: $sgpr62
	s_inst_prefetch 0x1
	s_branch .LBB4_227
	.p2align	6
.LBB4_226:                              ;   in Loop: Header=BB4_227 Depth=3
	s_or_b32 exec_lo, exec_lo, s73
	s_and_b32 s72, exec_lo, s74
	s_or_b32 s23, s72, s23
	s_andn2_b32 s61, s61, exec_lo
	s_and_b32 s72, s62, exec_lo
	s_or_b32 s61, s61, s72
	s_andn2_b32 exec_lo, exec_lo, s23
	s_cbranch_execz .LBB4_231
.LBB4_227:                              ;   Parent Loop BB4_47 Depth=1
                                        ;     Parent Loop BB4_197 Depth=2
                                        ; =>    This Inner Loop Header: Depth=3
	s_add_i32 s63, s63, 1
	s_cmpk_lg_i32 s63, 0x2710
	s_cselect_b32 s72, -1, 0
	s_and_b32 vcc_lo, exec_lo, s72
	s_cbranch_vccz .LBB4_229
; %bb.228:                              ;   in Loop: Header=BB4_227 Depth=3
	s_mov_b32 s74, -1
	s_or_b32 s62, s62, exec_lo
	s_and_saveexec_b32 s73, s72
	s_cbranch_execz .LBB4_226
	s_branch .LBB4_230
	.p2align	6
.LBB4_229:                              ;   in Loop: Header=BB4_227 Depth=3
	s_trap 2
	ds_read_b64 v[9:10], v0
	s_andn2_b32 s72, s72, exec_lo
	s_mov_b32 s63, 0
	s_waitcnt lgkmcnt(0)
	flat_load_dword v3, v[9:10] glc dlc
	s_waitcnt vmcnt(0) lgkmcnt(0)
	buffer_gl1_inv
	buffer_gl0_inv
	v_cmp_eq_u32_e32 vcc_lo, 0, v3
	s_and_b32 s73, vcc_lo, exec_lo
	s_or_b32 s72, s72, s73
	s_mov_b32 s74, -1
	s_or_b32 s62, s62, exec_lo
	s_and_saveexec_b32 s73, s72
	s_cbranch_execz .LBB4_226
.LBB4_230:                              ;   in Loop: Header=BB4_227 Depth=3
	s_sleep 1
	s_trap 2
	ds_read_b64 v[9:10], v0
	s_waitcnt lgkmcnt(0)
	buffer_gl0_inv
	s_andn2_b32 s62, s62, exec_lo
	v_cmp_ge_u64_e32 vcc_lo, v[9:10], v[38:39]
	s_orn2_b32 s74, vcc_lo, exec_lo
	s_branch .LBB4_226
.LBB4_231:                              ;   in Loop: Header=BB4_197 Depth=2
	s_inst_prefetch 0x2
	s_or_b32 exec_lo, exec_lo, s23
	s_and_saveexec_b32 s23, s61
	s_xor_b32 s23, exec_lo, s23
	s_cbranch_execz .LBB4_233
; %bb.232:                              ;   in Loop: Header=BB4_197 Depth=2
	ds_write_b32 v0, v115
	s_trap 2
.LBB4_233:                              ;   in Loop: Header=BB4_197 Depth=2
	s_or_b32 exec_lo, exec_lo, s22
	;;#ASMSTART
	s_wakeup
	;;#ASMEND
.LBB4_234:                              ;   in Loop: Header=BB4_197 Depth=2
	s_or_b32 exec_lo, exec_lo, s21
.LBB4_235:                              ;   in Loop: Header=BB4_197 Depth=2
	s_andn2_saveexec_b32 s19, s19
	s_cbranch_execz .LBB4_237
; %bb.236:                              ;   in Loop: Header=BB4_197 Depth=2
	s_waitcnt vmcnt(0) lgkmcnt(0)
	s_waitcnt_vscnt null, 0x0
	buffer_gl1_inv
	buffer_gl0_inv
	s_barrier
.LBB4_237:                              ;   in Loop: Header=BB4_197 Depth=2
	s_or_b32 exec_lo, exec_lo, s19
.LBB4_238:                              ;   in Loop: Header=BB4_197 Depth=2
	s_or_b32 exec_lo, exec_lo, s16
                                        ; implicit-def: $vgpr3
	s_and_saveexec_b32 s16, s15
	s_xor_b32 s19, exec_lo, s16
	s_cbranch_execz .LBB4_242
; %bb.239:                              ;   in Loop: Header=BB4_197 Depth=2
	s_trap 2
	ds_read_b32 v3, v0
	v_cmp_lt_i32_e32 vcc_lo, 0, v8
	s_waitcnt lgkmcnt(0)
	v_readfirstlane_b32 s16, v3
	v_and_b32_e32 v3, 16, v100
	s_cmp_eq_u32 s16, 0
	v_cmp_ne_u32_e64 s16, 0, v3
	s_cselect_b32 s21, -1, 0
	v_and_b32_e32 v3, 16, v100
	s_and_b32 s21, vcc_lo, s21
	s_and_b32 s21, s16, s21
	s_and_saveexec_b32 s16, s21
	s_cbranch_execz .LBB4_241
; %bb.240:                              ;   in Loop: Header=BB4_197 Depth=2
	v_mov_b32_e32 v3, 1
	s_waitcnt vmcnt(0)
	s_waitcnt_vscnt null, 0x0
	buffer_gl1_inv
	buffer_gl0_inv
.LBB4_241:                              ;   in Loop: Header=BB4_197 Depth=2
	s_or_b32 exec_lo, exec_lo, s16
	s_andn2_saveexec_b32 s16, s19
	s_cbranch_execz .LBB4_261
	s_branch .LBB4_243
.LBB4_242:                              ;   in Loop: Header=BB4_197 Depth=2
	s_andn2_saveexec_b32 s16, s19
	s_cbranch_execz .LBB4_261
.LBB4_243:                              ;   in Loop: Header=BB4_197 Depth=2
	s_and_saveexec_b32 s19, s29
	s_xor_b32 s19, exec_lo, s19
	s_cbranch_execz .LBB4_258
; %bb.244:                              ;   in Loop: Header=BB4_197 Depth=2
	s_and_saveexec_b32 s21, s11
	s_cbranch_execz .LBB4_257
; %bb.245:                              ;   in Loop: Header=BB4_197 Depth=2
	s_mov_b32 s23, exec_lo
	s_mov_b32 s22, exec_lo
	v_mbcnt_lo_u32_b32 v3, s23, 0
	;;#ASMSTART
	s_waitcnt lgkmcnt(0) vmcnt(0)
	;;#ASMEND
	v_cmpx_eq_u32_e32 0, v3
	s_cbranch_execz .LBB4_247
; %bb.246:                              ;   in Loop: Header=BB4_197 Depth=2
	s_bcnt1_i32_b32 s23, s23
	v_mov_b32_e32 v10, v2
	v_mov_b32_e32 v9, s23
	s_waitcnt vmcnt(0) lgkmcnt(0)
	s_waitcnt_vscnt null, 0x0
	ds_add_u64 v0, v[9:10]
	s_trap 2
.LBB4_247:                              ;   in Loop: Header=BB4_197 Depth=2
	s_or_b32 exec_lo, exec_lo, s22
	s_trap 2
	ds_read_b64 v[9:10], v0
	s_waitcnt vmcnt(0) lgkmcnt(0)
	buffer_gl0_inv
	v_add_co_u32 v38, vcc_lo, v38, v103
	v_add_co_ci_u32_e64 v39, null, 0, v39, vcc_lo
	s_mov_b32 s22, exec_lo
	v_cmpx_lt_u64_e64 v[9:10], v[38:39]
	s_cbranch_execz .LBB4_256
; %bb.248:                              ;   in Loop: Header=BB4_197 Depth=2
	s_mov_b32 s23, 0
	s_mov_b32 s63, 0
                                        ; implicit-def: $sgpr61
                                        ; implicit-def: $sgpr62
	s_inst_prefetch 0x1
	s_branch .LBB4_250
	.p2align	6
.LBB4_249:                              ;   in Loop: Header=BB4_250 Depth=3
	s_or_b32 exec_lo, exec_lo, s73
	s_and_b32 s72, exec_lo, s74
	s_or_b32 s23, s72, s23
	s_andn2_b32 s61, s61, exec_lo
	s_and_b32 s72, s62, exec_lo
	s_or_b32 s61, s61, s72
	s_andn2_b32 exec_lo, exec_lo, s23
	s_cbranch_execz .LBB4_254
.LBB4_250:                              ;   Parent Loop BB4_47 Depth=1
                                        ;     Parent Loop BB4_197 Depth=2
                                        ; =>    This Inner Loop Header: Depth=3
	s_add_i32 s63, s63, 1
	s_cmpk_lg_i32 s63, 0x2710
	s_cselect_b32 s72, -1, 0
	s_and_b32 vcc_lo, exec_lo, s72
	s_cbranch_vccz .LBB4_252
; %bb.251:                              ;   in Loop: Header=BB4_250 Depth=3
	s_mov_b32 s74, -1
	s_or_b32 s62, s62, exec_lo
	s_and_saveexec_b32 s73, s72
	s_cbranch_execz .LBB4_249
	s_branch .LBB4_253
	.p2align	6
.LBB4_252:                              ;   in Loop: Header=BB4_250 Depth=3
	s_trap 2
	ds_read_b64 v[9:10], v0
	s_andn2_b32 s72, s72, exec_lo
	s_mov_b32 s63, 0
	s_waitcnt lgkmcnt(0)
	s_waitcnt_vscnt null, 0x0
	flat_load_dword v3, v[9:10] glc dlc
	s_waitcnt vmcnt(0) lgkmcnt(0)
	buffer_gl1_inv
	buffer_gl0_inv
	v_cmp_eq_u32_e32 vcc_lo, 0, v3
	s_and_b32 s73, vcc_lo, exec_lo
	s_or_b32 s72, s72, s73
	s_mov_b32 s74, -1
	s_or_b32 s62, s62, exec_lo
	s_and_saveexec_b32 s73, s72
	s_cbranch_execz .LBB4_249
.LBB4_253:                              ;   in Loop: Header=BB4_250 Depth=3
	s_sleep 1
	s_trap 2
	ds_read_b64 v[9:10], v0
	s_waitcnt lgkmcnt(0)
	buffer_gl0_inv
	s_andn2_b32 s62, s62, exec_lo
	v_cmp_ge_u64_e32 vcc_lo, v[9:10], v[38:39]
	s_orn2_b32 s74, vcc_lo, exec_lo
	s_branch .LBB4_249
.LBB4_254:                              ;   in Loop: Header=BB4_197 Depth=2
	s_inst_prefetch 0x2
	s_or_b32 exec_lo, exec_lo, s23
	s_and_saveexec_b32 s23, s61
	s_xor_b32 s23, exec_lo, s23
	s_cbranch_execz .LBB4_256
; %bb.255:                              ;   in Loop: Header=BB4_197 Depth=2
	ds_write_b32 v0, v115
	s_trap 2
.LBB4_256:                              ;   in Loop: Header=BB4_197 Depth=2
	s_or_b32 exec_lo, exec_lo, s22
	;;#ASMSTART
	s_wakeup
	;;#ASMEND
.LBB4_257:                              ;   in Loop: Header=BB4_197 Depth=2
	s_or_b32 exec_lo, exec_lo, s21
.LBB4_258:                              ;   in Loop: Header=BB4_197 Depth=2
	s_andn2_saveexec_b32 s19, s19
	s_cbranch_execz .LBB4_260
; %bb.259:                              ;   in Loop: Header=BB4_197 Depth=2
	;;#ASMSTART
	s_waitcnt lgkmcnt(0) vmcnt(0)
	;;#ASMEND
	s_barrier
.LBB4_260:                              ;   in Loop: Header=BB4_197 Depth=2
	s_or_b32 exec_lo, exec_lo, s19
	v_and_b32_e32 v3, 16, v100
.LBB4_261:                              ;   in Loop: Header=BB4_197 Depth=2
	s_or_b32 exec_lo, exec_lo, s16
	s_mov_b32 s16, exec_lo
	v_cmpx_ne_u32_e32 0, v3
	s_cbranch_execz .LBB4_196
; %bb.262:                              ;   in Loop: Header=BB4_197 Depth=2
	s_and_saveexec_b32 s19, s10
	s_cbranch_execz .LBB4_195
; %bb.263:                              ;   in Loop: Header=BB4_197 Depth=2
	s_waitcnt vmcnt(0) lgkmcnt(0)
	s_waitcnt_vscnt null, 0x0
	flat_store_dword v[36:37], v115
	s_branch .LBB4_195
.LBB4_264:                              ;   in Loop: Header=BB4_47 Depth=1
	s_or_b32 exec_lo, exec_lo, s18
.LBB4_265:                              ;   in Loop: Header=BB4_47 Depth=1
	s_or_b32 exec_lo, exec_lo, s17
	s_andn2_b32 vcc_lo, exec_lo, s46
	s_cbranch_vccnz .LBB4_3348
; %bb.266:                              ;   in Loop: Header=BB4_47 Depth=1
	s_mov_b32 s18, 2
	s_branch .LBB4_269
.LBB4_267:                              ;   in Loop: Header=BB4_269 Depth=2
	s_or_b32 exec_lo, exec_lo, s19
.LBB4_268:                              ;   in Loop: Header=BB4_269 Depth=2
	s_or_b32 exec_lo, exec_lo, s17
	s_add_i32 s18, s18, 1
	s_cmp_eq_u32 s18, s25
	s_cbranch_scc1 .LBB4_3348
.LBB4_269:                              ;   Parent Loop BB4_47 Depth=1
                                        ; =>  This Loop Header: Depth=2
                                        ;       Child Loop BB4_272 Depth 3
                                        ;         Child Loop BB4_280 Depth 4
                                        ;         Child Loop BB4_308 Depth 4
	;; [unrolled: 1-line block ×9, first 2 shown]
                                        ;       Child Loop BB4_3276 Depth 3
                                        ;         Child Loop BB4_3282 Depth 4
                                        ;         Child Loop BB4_3310 Depth 4
	;; [unrolled: 1-line block ×3, first 2 shown]
	s_sub_i32 s16, s42, s18
	v_mov_b32_e32 v99, 0
	s_cmp_ge_i32 s16, s25
	s_mov_b32 s21, 0
	s_cselect_b32 s17, s25, 0
	s_sub_i32 s16, s16, s17
	s_ashr_i32 s17, s16, 31
	v_mul_lo_u32 v3, v55, s16
	v_mad_u64_u32 v[70:71], null, v54, s16, 0
	v_mul_lo_u32 v8, v54, s17
	v_add3_u32 v71, v71, v8, v3
	v_sub_co_u32 v8, vcc_lo, v66, v70
	v_sub_co_ci_u32_e64 v9, null, v67, v71, vcc_lo
	v_cmp_lt_i64_e32 vcc_lo, v[54:55], v[8:9]
	v_cndmask_b32_e32 v8, v8, v54, vcc_lo
	v_max_i32_e32 v98, 0, v8
	v_cmp_lt_i32_e32 vcc_lo, 0, v8
	v_add_nc_u32_e32 v3, 31, v98
	s_and_b32 s16, s57, vcc_lo
	v_lshrrev_b32_e32 v3, 1, v3
	v_and_b32_e32 v9, 0x3ffffff0, v3
	v_mov_b32_e32 v3, 0
	v_max_i32_e32 v68, s45, v9
	s_and_saveexec_b32 s19, s16
	s_cbranch_execz .LBB4_3273
; %bb.270:                              ;   in Loop: Header=BB4_269 Depth=2
	v_mov_b32_e32 v99, 0
	s_mov_b32 s23, 1
	s_mov_b32 s22, -1
	s_branch .LBB4_272
.LBB4_271:                              ;   in Loop: Header=BB4_272 Depth=3
	s_or_b32 exec_lo, exec_lo, s16
	v_add_nc_u32_e32 v99, v68, v99
	s_xor_b32 s16, s22, -1
	v_mov_b32_e32 v3, s23
	s_mov_b32 s22, 0
	s_mov_b32 s23, 2
	v_cmp_ge_i32_e32 vcc_lo, v99, v98
	s_or_b32 s16, s16, vcc_lo
	s_and_b32 s16, exec_lo, s16
	s_or_b32 s21, s16, s21
	s_andn2_b32 exec_lo, exec_lo, s21
	s_cbranch_execz .LBB4_3272
.LBB4_272:                              ;   Parent Loop BB4_47 Depth=1
                                        ;     Parent Loop BB4_269 Depth=2
                                        ; =>    This Loop Header: Depth=3
                                        ;         Child Loop BB4_280 Depth 4
                                        ;         Child Loop BB4_308 Depth 4
	;; [unrolled: 1-line block ×9, first 2 shown]
	s_and_saveexec_b32 s16, s4
	s_cbranch_execz .LBB4_274
; %bb.273:                              ;   in Loop: Header=BB4_272 Depth=3
	s_trap 2
	ds_read_b64 v[8:9], v0
	s_waitcnt lgkmcnt(0)
	v_add_co_u32 v3, vcc_lo, v8, v72
	v_add_co_ci_u32_e64 v8, null, v9, v73, vcc_lo
	v_ashrrev_i32_e32 v9, 31, v99
	v_add_co_u32 v3, vcc_lo, v3, v70
	v_add_co_ci_u32_e64 v10, null, v8, v71, vcc_lo
	v_add_co_u32 v8, vcc_lo, v3, v99
	v_add_co_ci_u32_e64 v9, null, v10, v9, vcc_lo
	v_mov_b32_e32 v3, v2
	ds_write_b64 v0, v[8:9]
	ds_write_b64 v0, v[2:3]
.LBB4_274:                              ;   in Loop: Header=BB4_272 Depth=3
	s_or_b32 exec_lo, exec_lo, s16
	v_sub_nc_u32_e32 v3, v98, v99
	v_and_b32_e32 v8, 12, v100
	s_mov_b32 s17, exec_lo
	v_min_i32_e32 v68, v68, v3
	v_cmpx_ne_u32_e32 0, v8
	s_cbranch_execz .LBB4_300
; %bb.275:                              ;   in Loop: Header=BB4_272 Depth=3
	v_and_b32_e32 v3, 8, v100
	s_mov_b32 s61, exec_lo
	s_waitcnt vmcnt(0) lgkmcnt(1)
	v_add_co_u32 v10, vcc_lo, v48, v3
	v_add_co_ci_u32_e64 v11, null, 0, v49, vcc_lo
	v_add_co_u32 v8, vcc_lo, v64, 2
	v_add_co_ci_u32_e64 v9, null, 0, v65, vcc_lo
	v_cmpx_lt_u64_e64 v[10:11], v[8:9]
	s_cbranch_execz .LBB4_287
; %bb.276:                              ;   in Loop: Header=BB4_272 Depth=3
	v_and_b32_e32 v10, 64, v100
	s_mov_b32 s62, 0
	s_mov_b32 s74, 0
                                        ; implicit-def: $sgpr63
                                        ; implicit-def: $sgpr72
                                        ; implicit-def: $sgpr73
	v_cmp_eq_u32_e32 vcc_lo, 0, v10
	s_branch .LBB4_280
.LBB4_277:                              ;   in Loop: Header=BB4_280 Depth=4
	s_waitcnt vmcnt(0) lgkmcnt(0)
	v_add_co_u32 v11, s16, v48, v3
	v_add_co_ci_u32_e64 v12, null, 0, v49, s16
	s_or_b32 s77, s77, exec_lo
	v_cmp_ge_u64_e64 s16, v[11:12], v[8:9]
	s_orn2_b32 s76, s16, exec_lo
.LBB4_278:                              ;   in Loop: Header=BB4_280 Depth=4
	s_or_b32 exec_lo, exec_lo, s79
	s_andn2_b32 s16, s73, exec_lo
	s_and_b32 s73, s77, exec_lo
	s_andn2_b32 s72, s72, exec_lo
	s_and_b32 s76, s76, exec_lo
	s_or_b32 s73, s16, s73
	s_or_b32 s72, s72, s76
.LBB4_279:                              ;   in Loop: Header=BB4_280 Depth=4
	s_or_b32 exec_lo, exec_lo, s75
	s_and_b32 s16, exec_lo, s72
	s_or_b32 s62, s16, s62
	s_andn2_b32 s16, s63, exec_lo
	s_and_b32 s63, s73, exec_lo
	s_or_b32 s63, s16, s63
	s_andn2_b32 exec_lo, exec_lo, s62
	s_cbranch_execz .LBB4_284
.LBB4_280:                              ;   Parent Loop BB4_47 Depth=1
                                        ;     Parent Loop BB4_269 Depth=2
                                        ;       Parent Loop BB4_272 Depth=3
                                        ; =>      This Inner Loop Header: Depth=4
	s_sleep 1
	s_waitcnt vmcnt(0) lgkmcnt(0)
	flat_load_dwordx2 v[48:49], v[32:33] glc dlc
	s_or_b32 s73, s73, exec_lo
	s_or_b32 s72, s72, exec_lo
                                        ; implicit-def: $vgpr10
	s_and_saveexec_b32 s75, vcc_lo
	s_cbranch_execz .LBB4_279
; %bb.281:                              ;   in Loop: Header=BB4_280 Depth=4
	s_cmpk_lt_i32 s74, 0x270f
	s_mov_b32 s76, -1
	s_cselect_b32 s78, -1, 0
	s_cmpk_gt_i32 s74, 0x270e
	s_cbranch_scc0 .LBB4_283
; %bb.282:                              ;   in Loop: Header=BB4_280 Depth=4
	s_trap 2
	ds_read_b64 v[10:11], v0
	s_andn2_b32 s74, s78, exec_lo
	s_mov_b32 s77, 0
	s_waitcnt vmcnt(0) lgkmcnt(0)
	s_waitcnt_vscnt null, 0x0
	flat_load_dword v10, v[10:11] glc dlc
	s_waitcnt vmcnt(0) lgkmcnt(0)
	buffer_gl1_inv
	buffer_gl0_inv
	v_cmp_eq_u32_e64 s16, 0, v10
	s_and_b32 s16, s16, exec_lo
	s_or_b32 s78, s74, s16
	s_mov_b32 s74, 0
	s_and_saveexec_b32 s79, s78
	s_cbranch_execz .LBB4_278
	s_branch .LBB4_277
.LBB4_283:                              ;   in Loop: Header=BB4_280 Depth=4
	s_add_i32 s74, s74, 1
	s_mov_b32 s77, -1
                                        ; implicit-def: $vgpr10
	s_and_saveexec_b32 s79, s78
	s_cbranch_execz .LBB4_278
	s_branch .LBB4_277
.LBB4_284:                              ;   in Loop: Header=BB4_272 Depth=3
	s_or_b32 exec_lo, exec_lo, s62
	s_xor_b32 s16, s63, -1
	s_and_saveexec_b32 s62, s16
	s_xor_b32 s16, exec_lo, s62
	s_cbranch_execz .LBB4_286
; %bb.285:                              ;   in Loop: Header=BB4_272 Depth=3
	v_or_b32_e32 v100, 64, v100
	s_waitcnt vmcnt(0) lgkmcnt(0)
	s_waitcnt_vscnt null, 0x0
	ds_write_b32 v0, v10
	s_trap 2
.LBB4_286:                              ;   in Loop: Header=BB4_272 Depth=3
	s_or_b32 exec_lo, exec_lo, s16
.LBB4_287:                              ;   in Loop: Header=BB4_272 Depth=3
	s_or_b32 exec_lo, exec_lo, s61
	v_and_b32_e32 v10, 0x108, v100
	;;#ASMSTART
	s_wakeup
	;;#ASMEND
	v_cmp_ne_u32_e32 vcc_lo, 0x108, v10
                                        ; implicit-def: $vgpr10_vgpr11
	s_and_saveexec_b32 s16, vcc_lo
	s_xor_b32 s16, exec_lo, s16
; %bb.288:                              ;   in Loop: Header=BB4_272 Depth=3
	v_and_b32_e32 v10, 7, v64
	v_mov_b32_e32 v11, v2
                                        ; implicit-def: $vgpr64_vgpr65
; %bb.289:                              ;   in Loop: Header=BB4_272 Depth=3
	s_andn2_saveexec_b32 s16, s16
	s_cbranch_execz .LBB4_291
; %bb.290:                              ;   in Loop: Header=BB4_272 Depth=3
	v_and_b32_e32 v10, 7, v64
	v_ashrrev_i32_e32 v69, 31, v68
	v_mov_b32_e32 v11, v2
	v_mad_u64_u32 v[12:13], null, v10, 24, v[6:7]
	flat_store_dwordx2 v[12:13], v[68:69] offset:8
.LBB4_291:                              ;   in Loop: Header=BB4_272 Depth=3
	s_or_b32 exec_lo, exec_lo, s16
	v_and_b32_e32 v12, 0x100, v100
	s_mov_b32 s16, -1
	v_cmp_ne_u32_e32 vcc_lo, 0, v12
                                        ; implicit-def: $vgpr12_vgpr13
	s_and_saveexec_b32 s61, vcc_lo
	s_cbranch_execz .LBB4_295
; %bb.292:                              ;   in Loop: Header=BB4_272 Depth=3
	v_mad_u64_u32 v[14:15], null, v10, 24, v[6:7]
	v_mov_b32_e32 v12, v15
	v_mad_u64_u32 v[12:13], null, v11, 24, v[12:13]
	v_mov_b32_e32 v15, v12
	flat_load_dword v12, v[14:15]
	s_waitcnt vmcnt(0) lgkmcnt(0)
	v_cmp_eq_u32_e64 s16, 1, v12
	v_cmp_ne_u32_e32 vcc_lo, 1, v12
                                        ; implicit-def: $vgpr12_vgpr13
	s_and_saveexec_b32 s62, s16
	s_cbranch_execz .LBB4_294
; %bb.293:                              ;   in Loop: Header=BB4_272 Depth=3
	flat_load_dword v12, v[14:15] offset:4 glc dlc
	s_waitcnt vmcnt(0) lgkmcnt(0)
	v_ashrrev_i32_e32 v13, 31, v12
.LBB4_294:                              ;   in Loop: Header=BB4_272 Depth=3
	s_or_b32 exec_lo, exec_lo, s62
	s_orn2_b32 s16, vcc_lo, exec_lo
.LBB4_295:                              ;   in Loop: Header=BB4_272 Depth=3
	s_or_b32 exec_lo, exec_lo, s61
	s_and_saveexec_b32 s61, s16
; %bb.296:                              ;   in Loop: Header=BB4_272 Depth=3
	v_mul_lo_u32 v11, v11, v101
	v_mul_lo_u32 v14, v10, v102
	v_mad_u64_u32 v[12:13], null, v10, v101, 0
	v_add3_u32 v13, v13, v14, v11
; %bb.297:                              ;   in Loop: Header=BB4_272 Depth=3
	s_or_b32 exec_lo, exec_lo, s61
	v_cmp_eq_u32_e32 vcc_lo, 0, v3
	v_and_b32_e32 v14, 0x2000, v100
	s_mov_b32 s16, exec_lo
	v_cndmask_b32_e32 v3, 0xc8, v116, vcc_lo
	v_add_co_u32 v10, vcc_lo, v34, v12
	v_add_co_ci_u32_e64 v11, null, v35, v13, vcc_lo
	v_add_nc_u32_e32 v3, v0, v3
	ds_write_b64 v3, v[10:11] offset:584
	v_cmpx_ne_u32_e32 0, v14
	s_cbranch_execz .LBB4_299
; %bb.298:                              ;   in Loop: Header=BB4_272 Depth=3
	ds_read_b64 v[10:11], v0 offset:872
	s_waitcnt lgkmcnt(0)
	v_add_co_u32 v10, vcc_lo, v10, 1
	v_add_co_ci_u32_e64 v11, null, 0, v11, vcc_lo
	ds_write_b64 v0, v[10:11] offset:872
.LBB4_299:                              ;   in Loop: Header=BB4_272 Depth=3
	s_or_b32 exec_lo, exec_lo, s16
	v_mov_b32_e32 v65, v9
	v_mov_b32_e32 v64, v8
.LBB4_300:                              ;   in Loop: Header=BB4_272 Depth=3
	s_or_b32 exec_lo, exec_lo, s17
	s_and_saveexec_b32 s16, s6
	s_cbranch_execz .LBB4_319
; %bb.301:                              ;   in Loop: Header=BB4_272 Depth=3
	s_and_saveexec_b32 s17, s29
	s_xor_b32 s17, exec_lo, s17
	s_cbranch_execz .LBB4_316
; %bb.302:                              ;   in Loop: Header=BB4_272 Depth=3
	s_and_saveexec_b32 s61, s11
	s_cbranch_execz .LBB4_315
; %bb.303:                              ;   in Loop: Header=BB4_272 Depth=3
	s_mov_b32 s63, exec_lo
	s_mov_b32 s62, exec_lo
	v_mbcnt_lo_u32_b32 v3, s63, 0
	s_waitcnt vmcnt(0) lgkmcnt(0)
	s_waitcnt_vscnt null, 0x0
	buffer_gl1_inv
	buffer_gl0_inv
	v_cmpx_eq_u32_e32 0, v3
	s_cbranch_execz .LBB4_305
; %bb.304:                              ;   in Loop: Header=BB4_272 Depth=3
	s_bcnt1_i32_b32 s63, s63
	v_mov_b32_e32 v9, v2
	v_mov_b32_e32 v8, s63
	ds_add_u64 v0, v[8:9]
	s_trap 2
.LBB4_305:                              ;   in Loop: Header=BB4_272 Depth=3
	s_or_b32 exec_lo, exec_lo, s62
	s_trap 2
	ds_read_b64 v[8:9], v0
	s_waitcnt lgkmcnt(0)
	buffer_gl0_inv
	v_add_co_u32 v38, vcc_lo, v38, v103
	v_add_co_ci_u32_e64 v39, null, 0, v39, vcc_lo
	s_mov_b32 s62, exec_lo
	v_cmpx_lt_u64_e64 v[8:9], v[38:39]
	s_cbranch_execz .LBB4_314
; %bb.306:                              ;   in Loop: Header=BB4_272 Depth=3
	s_mov_b32 s63, 0
	s_mov_b32 s74, 0
                                        ; implicit-def: $sgpr72
                                        ; implicit-def: $sgpr73
	s_inst_prefetch 0x1
	s_branch .LBB4_308
	.p2align	6
.LBB4_307:                              ;   in Loop: Header=BB4_308 Depth=4
	s_or_b32 exec_lo, exec_lo, s76
	s_and_b32 s75, exec_lo, s77
	s_or_b32 s63, s75, s63
	s_andn2_b32 s72, s72, exec_lo
	s_and_b32 s75, s73, exec_lo
	s_or_b32 s72, s72, s75
	s_andn2_b32 exec_lo, exec_lo, s63
	s_cbranch_execz .LBB4_312
.LBB4_308:                              ;   Parent Loop BB4_47 Depth=1
                                        ;     Parent Loop BB4_269 Depth=2
                                        ;       Parent Loop BB4_272 Depth=3
                                        ; =>      This Inner Loop Header: Depth=4
	s_add_i32 s74, s74, 1
	s_cmpk_lg_i32 s74, 0x2710
	s_cselect_b32 s75, -1, 0
	s_and_b32 vcc_lo, exec_lo, s75
	s_cbranch_vccz .LBB4_310
; %bb.309:                              ;   in Loop: Header=BB4_308 Depth=4
	s_mov_b32 s77, -1
	s_or_b32 s73, s73, exec_lo
	s_and_saveexec_b32 s76, s75
	s_cbranch_execz .LBB4_307
	s_branch .LBB4_311
	.p2align	6
.LBB4_310:                              ;   in Loop: Header=BB4_308 Depth=4
	s_trap 2
	ds_read_b64 v[8:9], v0
	s_andn2_b32 s75, s75, exec_lo
	s_mov_b32 s74, 0
	s_waitcnt lgkmcnt(0)
	flat_load_dword v3, v[8:9] glc dlc
	s_waitcnt vmcnt(0) lgkmcnt(0)
	buffer_gl1_inv
	buffer_gl0_inv
	v_cmp_eq_u32_e32 vcc_lo, 0, v3
	s_and_b32 s76, vcc_lo, exec_lo
	s_or_b32 s75, s75, s76
	s_mov_b32 s77, -1
	s_or_b32 s73, s73, exec_lo
	s_and_saveexec_b32 s76, s75
	s_cbranch_execz .LBB4_307
.LBB4_311:                              ;   in Loop: Header=BB4_308 Depth=4
	s_sleep 1
	s_trap 2
	ds_read_b64 v[8:9], v0
	s_waitcnt lgkmcnt(0)
	buffer_gl0_inv
	s_andn2_b32 s73, s73, exec_lo
	v_cmp_ge_u64_e32 vcc_lo, v[8:9], v[38:39]
	s_orn2_b32 s77, vcc_lo, exec_lo
	s_branch .LBB4_307
.LBB4_312:                              ;   in Loop: Header=BB4_272 Depth=3
	s_inst_prefetch 0x2
	s_or_b32 exec_lo, exec_lo, s63
	s_and_saveexec_b32 s63, s72
	s_xor_b32 s63, exec_lo, s63
	s_cbranch_execz .LBB4_314
; %bb.313:                              ;   in Loop: Header=BB4_272 Depth=3
	ds_write_b32 v0, v115
	s_trap 2
.LBB4_314:                              ;   in Loop: Header=BB4_272 Depth=3
	s_or_b32 exec_lo, exec_lo, s62
	;;#ASMSTART
	s_wakeup
	;;#ASMEND
.LBB4_315:                              ;   in Loop: Header=BB4_272 Depth=3
	s_or_b32 exec_lo, exec_lo, s61
.LBB4_316:                              ;   in Loop: Header=BB4_272 Depth=3
	s_andn2_saveexec_b32 s17, s17
	s_cbranch_execz .LBB4_318
; %bb.317:                              ;   in Loop: Header=BB4_272 Depth=3
	s_waitcnt vmcnt(0) lgkmcnt(0)
	s_waitcnt_vscnt null, 0x0
	buffer_gl1_inv
	buffer_gl0_inv
	s_barrier
.LBB4_318:                              ;   in Loop: Header=BB4_272 Depth=3
	s_or_b32 exec_lo, exec_lo, s17
.LBB4_319:                              ;   in Loop: Header=BB4_272 Depth=3
	s_or_b32 exec_lo, exec_lo, s16
	s_trap 2
	ds_read_b32 v3, v0
	v_and_b32_e32 v8, 0x4000, v100
	s_xor_b32 s16, s5, -1
	v_cmp_ne_u32_e32 vcc_lo, 0, v8
	s_and_b32 s17, s16, vcc_lo
	s_and_saveexec_b32 s16, s17
	s_cbranch_execz .LBB4_338
; %bb.320:                              ;   in Loop: Header=BB4_272 Depth=3
	s_and_saveexec_b32 s17, s29
	s_xor_b32 s17, exec_lo, s17
	s_cbranch_execz .LBB4_335
; %bb.321:                              ;   in Loop: Header=BB4_272 Depth=3
	s_and_saveexec_b32 s61, s11
	s_cbranch_execz .LBB4_334
; %bb.322:                              ;   in Loop: Header=BB4_272 Depth=3
	s_mov_b32 s63, exec_lo
	s_mov_b32 s62, exec_lo
	v_mbcnt_lo_u32_b32 v8, s63, 0
	s_waitcnt vmcnt(0) lgkmcnt(0)
	s_waitcnt_vscnt null, 0x0
	buffer_gl1_inv
	buffer_gl0_inv
	v_cmpx_eq_u32_e32 0, v8
	s_cbranch_execz .LBB4_324
; %bb.323:                              ;   in Loop: Header=BB4_272 Depth=3
	s_bcnt1_i32_b32 s63, s63
	v_mov_b32_e32 v9, v2
	v_mov_b32_e32 v8, s63
	ds_add_u64 v0, v[8:9]
	s_trap 2
.LBB4_324:                              ;   in Loop: Header=BB4_272 Depth=3
	s_or_b32 exec_lo, exec_lo, s62
	s_trap 2
	ds_read_b64 v[8:9], v0
	s_waitcnt lgkmcnt(0)
	buffer_gl0_inv
	v_add_co_u32 v38, vcc_lo, v38, v103
	v_add_co_ci_u32_e64 v39, null, 0, v39, vcc_lo
	s_mov_b32 s62, exec_lo
	v_cmpx_lt_u64_e64 v[8:9], v[38:39]
	s_cbranch_execz .LBB4_333
; %bb.325:                              ;   in Loop: Header=BB4_272 Depth=3
	s_mov_b32 s63, 0
	s_mov_b32 s74, 0
                                        ; implicit-def: $sgpr72
                                        ; implicit-def: $sgpr73
	s_inst_prefetch 0x1
	s_branch .LBB4_327
	.p2align	6
.LBB4_326:                              ;   in Loop: Header=BB4_327 Depth=4
	s_or_b32 exec_lo, exec_lo, s76
	s_and_b32 s75, exec_lo, s77
	s_or_b32 s63, s75, s63
	s_andn2_b32 s72, s72, exec_lo
	s_and_b32 s75, s73, exec_lo
	s_or_b32 s72, s72, s75
	s_andn2_b32 exec_lo, exec_lo, s63
	s_cbranch_execz .LBB4_331
.LBB4_327:                              ;   Parent Loop BB4_47 Depth=1
                                        ;     Parent Loop BB4_269 Depth=2
                                        ;       Parent Loop BB4_272 Depth=3
                                        ; =>      This Inner Loop Header: Depth=4
	s_add_i32 s74, s74, 1
	s_cmpk_lg_i32 s74, 0x2710
	s_cselect_b32 s75, -1, 0
	s_and_b32 vcc_lo, exec_lo, s75
	s_cbranch_vccz .LBB4_329
; %bb.328:                              ;   in Loop: Header=BB4_327 Depth=4
	s_mov_b32 s77, -1
	s_or_b32 s73, s73, exec_lo
	s_and_saveexec_b32 s76, s75
	s_cbranch_execz .LBB4_326
	s_branch .LBB4_330
	.p2align	6
.LBB4_329:                              ;   in Loop: Header=BB4_327 Depth=4
	s_trap 2
	ds_read_b64 v[8:9], v0
	s_andn2_b32 s75, s75, exec_lo
	s_mov_b32 s74, 0
	s_waitcnt lgkmcnt(0)
	flat_load_dword v8, v[8:9] glc dlc
	s_waitcnt vmcnt(0) lgkmcnt(0)
	buffer_gl1_inv
	buffer_gl0_inv
	v_cmp_eq_u32_e32 vcc_lo, 0, v8
	s_and_b32 s76, vcc_lo, exec_lo
	s_or_b32 s75, s75, s76
	s_mov_b32 s77, -1
	s_or_b32 s73, s73, exec_lo
	s_and_saveexec_b32 s76, s75
	s_cbranch_execz .LBB4_326
.LBB4_330:                              ;   in Loop: Header=BB4_327 Depth=4
	s_sleep 1
	s_trap 2
	ds_read_b64 v[8:9], v0
	s_waitcnt lgkmcnt(0)
	buffer_gl0_inv
	s_andn2_b32 s73, s73, exec_lo
	v_cmp_ge_u64_e32 vcc_lo, v[8:9], v[38:39]
	s_orn2_b32 s77, vcc_lo, exec_lo
	s_branch .LBB4_326
.LBB4_331:                              ;   in Loop: Header=BB4_272 Depth=3
	s_inst_prefetch 0x2
	s_or_b32 exec_lo, exec_lo, s63
	s_and_saveexec_b32 s63, s72
	s_xor_b32 s63, exec_lo, s63
	s_cbranch_execz .LBB4_333
; %bb.332:                              ;   in Loop: Header=BB4_272 Depth=3
	ds_write_b32 v0, v115
	s_trap 2
.LBB4_333:                              ;   in Loop: Header=BB4_272 Depth=3
	s_or_b32 exec_lo, exec_lo, s62
	;;#ASMSTART
	s_wakeup
	;;#ASMEND
.LBB4_334:                              ;   in Loop: Header=BB4_272 Depth=3
	s_or_b32 exec_lo, exec_lo, s61
.LBB4_335:                              ;   in Loop: Header=BB4_272 Depth=3
	s_andn2_saveexec_b32 s17, s17
	s_cbranch_execz .LBB4_337
; %bb.336:                              ;   in Loop: Header=BB4_272 Depth=3
	s_waitcnt vmcnt(0) lgkmcnt(0)
	s_waitcnt_vscnt null, 0x0
	buffer_gl1_inv
	buffer_gl0_inv
	s_barrier
.LBB4_337:                              ;   in Loop: Header=BB4_272 Depth=3
	s_or_b32 exec_lo, exec_lo, s17
.LBB4_338:                              ;   in Loop: Header=BB4_272 Depth=3
	s_or_b32 exec_lo, exec_lo, s16
	s_trap 2
	ds_read_b64 v[80:81], v0
	s_waitcnt lgkmcnt(0)
	v_cmp_eq_u64_e32 vcc_lo, 0, v[80:81]
	s_cbranch_vccnz .LBB4_346
; %bb.339:                              ;   in Loop: Header=BB4_272 Depth=3
	s_trap 2
	ds_read_b64 v[82:83], v0
	s_waitcnt lgkmcnt(0)
	v_cmp_eq_u64_e32 vcc_lo, 0, v[82:83]
	s_cbranch_vccnz .LBB4_346
; %bb.340:                              ;   in Loop: Header=BB4_272 Depth=3
	s_trap 2
	ds_read_b64 v[8:9], v0
	s_mov_b32 s16, -1
	s_waitcnt lgkmcnt(0)
	v_readfirstlane_b32 s61, v8
	s_and_saveexec_b32 s17, s14
	s_cbranch_execz .LBB4_342
; %bb.341:                              ;   in Loop: Header=BB4_272 Depth=3
	ds_read_b32 v8, v0 offset:720
	s_waitcnt lgkmcnt(0)
	v_and_b32_e32 v8, 15, v8
	v_cmp_eq_u32_e32 vcc_lo, 0, v8
	s_orn2_b32 s16, vcc_lo, exec_lo
.LBB4_342:                              ;   in Loop: Header=BB4_272 Depth=3
	s_or_b32 exec_lo, exec_lo, s17
	s_and_saveexec_b32 s17, s13
	s_cbranch_execz .LBB4_344
; %bb.343:                              ;   in Loop: Header=BB4_272 Depth=3
	ds_read_b32 v8, v0 offset:784
	s_waitcnt lgkmcnt(0)
	v_and_b32_e32 v8, 15, v8
	v_cmp_eq_u32_e32 vcc_lo, 0, v8
	s_and_b32 s62, s16, vcc_lo
	s_andn2_b32 s16, s16, exec_lo
	s_and_b32 s62, s62, exec_lo
	s_or_b32 s16, s16, s62
.LBB4_344:                              ;   in Loop: Header=BB4_272 Depth=3
	s_or_b32 exec_lo, exec_lo, s17
	v_cmp_eq_u32_e32 vcc_lo, 0, v3
	s_xor_b32 s16, s16, -1
	v_mov_b32_e32 v14, 0
	v_cndmask_b32_e64 v8, 0, 1, s16
	v_mov_b32_e32 v16, v0
	v_cndmask_b32_e32 v3, 0, v68, vcc_lo
	s_mov_b32 s16, -1
	v_cmp_ne_u32_e32 vcc_lo, 0, v8
	v_mov_b32_e32 v15, v3
	s_cbranch_vccz .LBB4_351
; %bb.345:                              ;   in Loop: Header=BB4_272 Depth=3
	s_and_saveexec_b32 s17, s16
	s_cbranch_execnz .LBB4_2474
	s_branch .LBB4_3230
.LBB4_346:                              ;   in Loop: Header=BB4_272 Depth=3
	s_mov_b32 s16, 0
	s_and_saveexec_b32 s17, s6
	s_cbranch_execnz .LBB4_3231
.LBB4_347:                              ;   in Loop: Header=BB4_272 Depth=3
	s_or_b32 exec_lo, exec_lo, s17
                                        ; implicit-def: $vgpr3
	s_and_saveexec_b32 s17, s15
	s_xor_b32 s17, exec_lo, s17
	s_cbranch_execz .LBB4_3249
.LBB4_348:                              ;   in Loop: Header=BB4_272 Depth=3
	v_and_b32_e32 v3, 16, v100
	v_cmp_ne_u32_e32 vcc_lo, 0, v3
	v_and_b32_e32 v3, 16, v100
	s_and_b32 s61, vcc_lo, s16
	s_and_saveexec_b32 s16, s61
	s_cbranch_execz .LBB4_350
; %bb.349:                              ;   in Loop: Header=BB4_272 Depth=3
	v_mov_b32_e32 v3, 1
	s_waitcnt vmcnt(0) lgkmcnt(0)
	s_waitcnt_vscnt null, 0x0
	buffer_gl1_inv
	buffer_gl0_inv
.LBB4_350:                              ;   in Loop: Header=BB4_272 Depth=3
	s_or_b32 exec_lo, exec_lo, s16
	s_andn2_saveexec_b32 s16, s17
	s_cbranch_execz .LBB4_3268
	s_branch .LBB4_3250
.LBB4_351:                              ;   in Loop: Header=BB4_272 Depth=3
	v_ashrrev_i32_e32 v8, 31, v3
	s_mov_b32 s17, exec_lo
	v_lshrrev_b32_e32 v8, 22, v8
	v_add_nc_u32_e32 v8, v3, v8
	v_ashrrev_i32_e32 v74, 10, v8
	v_sub_nc_u32_e32 v69, v74, v113
	v_cmpx_lt_i32_e32 0, v69
	s_cbranch_execz .LBB4_1763
; %bb.352:                              ;   in Loop: Header=BB4_272 Depth=3
	s_trap 2
	ds_read_b64 v[8:9], v0
	v_add_co_u32 v84, vcc_lo, v80, v47
	v_add_co_ci_u32_e64 v85, null, 0, v81, vcc_lo
	s_bitcmp1_b32 s61, 0
	s_mov_b32 s62, 0
	s_cselect_b32 s63, -1, 0
	s_waitcnt lgkmcnt(0)
	v_add_co_u32 v86, vcc_lo, v8, v47
	v_add_co_ci_u32_e64 v87, null, 0, v9, vcc_lo
	v_add_co_u32 v96, vcc_lo, v82, v47
	v_add_co_ci_u32_e64 v97, null, 0, v83, vcc_lo
	s_branch .LBB4_356
.LBB4_353:                              ;   in Loop: Header=BB4_356 Depth=4
	s_or_b32 exec_lo, exec_lo, s16
	v_lshrrev_b32_e32 v15, 20, v15
	v_min_i32_e32 v109, 15, v11
	v_cmp_gt_i32_e32 vcc_lo, 16, v11
	v_and_b32_sdwa v108, v108, v118 dst_sel:DWORD dst_unused:UNUSED_PAD src0_sel:BYTE_3 src1_sel:DWORD
	v_lshlrev_b32_e32 v109, 3, v109
	v_cndmask_b32_e32 v15, 7, v15, vcc_lo
	v_and_b32_e32 v109, 0xf8, v109
	v_and_b32_e32 v110, 7, v15
	v_or_b32_e32 v11, v11, v15
	v_or3_b32 v108, v108, v109, v110
	v_cmp_ne_u32_e32 vcc_lo, 0, v11
	v_lshlrev_b32_e32 v15, 8, v108
	v_cndmask_b32_e32 v11, 0, v15, vcc_lo
.LBB4_354:                              ;   in Loop: Header=BB4_356 Depth=4
	s_or_b32 exec_lo, exec_lo, s73
.LBB4_355:                              ;   in Loop: Header=BB4_356 Depth=4
	s_or_b32 exec_lo, exec_lo, s72
	v_or_b32_sdwa v15, v17, v79 dst_sel:WORD_1 dst_unused:UNUSED_PAD src0_sel:DWORD src1_sel:DWORD
	v_or_b32_sdwa v17, v16, v77 dst_sel:WORD_1 dst_unused:UNUSED_PAD src0_sel:DWORD src1_sel:DWORD
	;; [unrolled: 1-line block ×5, first 2 shown]
	v_or3_b32 v16, v78, v20, v15
	v_or3_b32 v15, v76, v75, v17
	;; [unrolled: 1-line block ×3, first 2 shown]
	v_or_b32_sdwa v18, v19, v91 dst_sel:WORD_1 dst_unused:UNUSED_PAD src0_sel:DWORD src1_sel:DWORD
	v_or_b32_sdwa v10, v10, v105 dst_sel:WORD_1 dst_unused:UNUSED_PAD src0_sel:DWORD src1_sel:DWORD
	;; [unrolled: 1-line block ×3, first 2 shown]
	v_sub_nc_u32_e32 v69, v69, v103
	v_or3_b32 v9, v94, v12, v9
	v_or3_b32 v18, v90, v22, v18
	;; [unrolled: 1-line block ×5, first 2 shown]
	v_add_co_u32 v84, vcc_lo, v84, v45
	v_add_co_ci_u32_e64 v85, null, 0, v85, vcc_lo
	v_add_co_u32 v86, vcc_lo, v86, v45
	global_store_dwordx4 v[96:97], v[15:18], off glc slc
	global_store_dwordx4 v[96:97], v[8:11], off offset:512 glc slc
	v_add_co_ci_u32_e64 v87, null, 0, v87, vcc_lo
	v_cmp_gt_i32_e32 vcc_lo, 1, v69
	v_add_co_u32 v96, s16, v96, v45
	v_add_co_ci_u32_e64 v97, null, 0, v97, s16
	s_or_b32 s62, vcc_lo, s62
	s_andn2_b32 exec_lo, exec_lo, s62
	s_cbranch_execz .LBB4_1762
.LBB4_356:                              ;   Parent Loop BB4_47 Depth=1
                                        ;     Parent Loop BB4_269 Depth=2
                                        ;       Parent Loop BB4_272 Depth=3
                                        ; =>      This Inner Loop Header: Depth=4
	s_clause 0x1
	global_load_dwordx4 v[20:23], v[84:85], off slc
	global_load_dwordx4 v[12:15], v[84:85], off offset:512 slc
	s_clause 0x1
	global_load_dwordx4 v[16:19], v[86:87], off slc
	global_load_dwordx4 v[8:11], v[86:87], off offset:512 slc
	s_and_b32 vcc_lo, exec_lo, s63
	s_mov_b32 s16, -1
                                        ; implicit-def: $vgpr76
	s_waitcnt vmcnt(3)
	v_cmp_gt_i16_sdwa s72, v20, v117 src0_sel:BYTE_0 src1_sel:DWORD
	s_cbranch_vccz .LBB4_370
; %bb.357:                              ;   in Loop: Header=BB4_356 Depth=4
	s_mov_b32 s16, 0
	s_and_saveexec_b32 s73, s72
	s_xor_b32 s72, exec_lo, s73
	s_cbranch_execz .LBB4_1506
; %bb.358:                              ;   in Loop: Header=BB4_356 Depth=4
	v_cmp_eq_u16_sdwa s74, v20, v118 src0_sel:BYTE_0 src1_sel:DWORD
	s_mov_b32 s16, -1
	s_and_saveexec_b32 s73, s74
; %bb.359:                              ;   in Loop: Header=BB4_356 Depth=4
	s_xor_b32 s16, exec_lo, -1
; %bb.360:                              ;   in Loop: Header=BB4_356 Depth=4
	s_or_b32 exec_lo, exec_lo, s73
	s_and_b32 s16, s16, exec_lo
	s_or_saveexec_b32 s72, s72
	v_mov_b32_e32 v75, 0x7f800001
	s_xor_b32 exec_lo, exec_lo, s72
	s_cbranch_execnz .LBB4_1507
.LBB4_361:                              ;   in Loop: Header=BB4_356 Depth=4
	s_or_b32 exec_lo, exec_lo, s72
	s_and_saveexec_b32 s72, s16
	s_cbranch_execz .LBB4_363
.LBB4_362:                              ;   in Loop: Header=BB4_356 Depth=4
	v_and_b32_e32 v75, 7, v20
	v_bfe_u32 v78, v20, 3, 4
	v_lshlrev_b32_e32 v79, 24, v20
	v_ffbh_u32_e32 v76, v75
	v_cmp_eq_u32_e32 vcc_lo, 0, v78
	v_min_u32_e32 v76, 32, v76
	v_subrev_nc_u32_e32 v77, 28, v76
	v_sub_nc_u32_e32 v76, 29, v76
	v_lshlrev_b32_e32 v77, v77, v20
	v_cndmask_b32_e32 v76, v78, v76, vcc_lo
	v_and_b32_e32 v77, 7, v77
	v_lshl_add_u32 v76, v76, 23, 0x3b800000
	v_cndmask_b32_e32 v75, v75, v77, vcc_lo
	v_and_b32_e32 v77, 0x80000000, v79
	v_lshlrev_b32_e32 v75, 20, v75
	v_or3_b32 v75, v77, v76, v75
.LBB4_363:                              ;   in Loop: Header=BB4_356 Depth=4
	s_or_b32 exec_lo, exec_lo, s72
	s_waitcnt vmcnt(1)
	v_cmp_gt_i16_sdwa s72, v16, v117 src0_sel:BYTE_0 src1_sel:DWORD
	s_mov_b32 s16, 0
	s_and_saveexec_b32 s73, s72
	s_xor_b32 s72, exec_lo, s73
	s_cbranch_execz .LBB4_1508
; %bb.364:                              ;   in Loop: Header=BB4_356 Depth=4
	v_cmp_eq_u16_sdwa s74, v16, v118 src0_sel:BYTE_0 src1_sel:DWORD
	s_mov_b32 s16, -1
	s_and_saveexec_b32 s73, s74
; %bb.365:                              ;   in Loop: Header=BB4_356 Depth=4
	s_xor_b32 s16, exec_lo, -1
; %bb.366:                              ;   in Loop: Header=BB4_356 Depth=4
	s_or_b32 exec_lo, exec_lo, s73
	s_and_b32 s16, s16, exec_lo
	s_or_saveexec_b32 s72, s72
	v_mov_b32_e32 v76, 0x7f800001
	s_xor_b32 exec_lo, exec_lo, s72
	s_cbranch_execnz .LBB4_1509
.LBB4_367:                              ;   in Loop: Header=BB4_356 Depth=4
	s_or_b32 exec_lo, exec_lo, s72
	s_and_saveexec_b32 s72, s16
	s_cbranch_execz .LBB4_369
.LBB4_368:                              ;   in Loop: Header=BB4_356 Depth=4
	v_and_b32_e32 v76, 7, v16
	v_bfe_u32 v79, v16, 3, 4
	v_lshlrev_b32_e32 v88, 24, v16
	v_ffbh_u32_e32 v77, v76
	v_cmp_eq_u32_e32 vcc_lo, 0, v79
	v_min_u32_e32 v77, 32, v77
	v_subrev_nc_u32_e32 v78, 28, v77
	v_sub_nc_u32_e32 v77, 29, v77
	v_lshlrev_b32_e32 v78, v78, v16
	v_cndmask_b32_e32 v77, v79, v77, vcc_lo
	v_and_b32_e32 v78, 7, v78
	v_lshl_add_u32 v77, v77, 23, 0x3b800000
	v_cndmask_b32_e32 v76, v76, v78, vcc_lo
	v_and_b32_e32 v78, 0x80000000, v88
	v_lshlrev_b32_e32 v76, 20, v76
	v_or3_b32 v76, v78, v77, v76
.LBB4_369:                              ;   in Loop: Header=BB4_356 Depth=4
	s_or_b32 exec_lo, exec_lo, s72
	v_max_f32_e32 v76, v76, v76
	v_max_f32_e32 v75, v75, v75
	s_mov_b32 s16, 0
	v_max_f32_e32 v76, v75, v76
.LBB4_370:                              ;   in Loop: Header=BB4_356 Depth=4
	s_and_b32 vcc_lo, exec_lo, s16
	s_cbranch_vccz .LBB4_384
; %bb.371:                              ;   in Loop: Header=BB4_356 Depth=4
	v_cmp_gt_i16_sdwa s72, v20, v117 src0_sel:BYTE_0 src1_sel:DWORD
	s_mov_b32 s16, 0
	s_and_saveexec_b32 s73, s72
	s_xor_b32 s72, exec_lo, s73
	s_cbranch_execz .LBB4_1510
; %bb.372:                              ;   in Loop: Header=BB4_356 Depth=4
	v_cmp_eq_u16_sdwa s74, v20, v118 src0_sel:BYTE_0 src1_sel:DWORD
	s_mov_b32 s16, -1
	s_and_saveexec_b32 s73, s74
; %bb.373:                              ;   in Loop: Header=BB4_356 Depth=4
	s_xor_b32 s16, exec_lo, -1
; %bb.374:                              ;   in Loop: Header=BB4_356 Depth=4
	s_or_b32 exec_lo, exec_lo, s73
	s_and_b32 s16, s16, exec_lo
	s_or_saveexec_b32 s72, s72
	v_mov_b32_e32 v75, 0x7f800001
	s_xor_b32 exec_lo, exec_lo, s72
	s_cbranch_execnz .LBB4_1511
.LBB4_375:                              ;   in Loop: Header=BB4_356 Depth=4
	s_or_b32 exec_lo, exec_lo, s72
	s_and_saveexec_b32 s72, s16
	s_cbranch_execz .LBB4_377
.LBB4_376:                              ;   in Loop: Header=BB4_356 Depth=4
	v_and_b32_e32 v75, 7, v20
	v_bfe_u32 v78, v20, 3, 4
	v_lshlrev_b32_e32 v79, 24, v20
	v_ffbh_u32_e32 v76, v75
	v_cmp_eq_u32_e32 vcc_lo, 0, v78
	v_min_u32_e32 v76, 32, v76
	v_subrev_nc_u32_e32 v77, 28, v76
	v_sub_nc_u32_e32 v76, 29, v76
	v_lshlrev_b32_e32 v77, v77, v20
	v_cndmask_b32_e32 v76, v78, v76, vcc_lo
	v_and_b32_e32 v77, 7, v77
	v_lshl_add_u32 v76, v76, 23, 0x3b800000
	v_cndmask_b32_e32 v75, v75, v77, vcc_lo
	v_and_b32_e32 v77, 0x80000000, v79
	v_lshlrev_b32_e32 v75, 20, v75
	v_or3_b32 v75, v77, v76, v75
.LBB4_377:                              ;   in Loop: Header=BB4_356 Depth=4
	s_or_b32 exec_lo, exec_lo, s72
	s_waitcnt vmcnt(1)
	v_cmp_gt_i16_sdwa s72, v16, v117 src0_sel:BYTE_0 src1_sel:DWORD
	s_mov_b32 s16, 0
	s_and_saveexec_b32 s73, s72
	s_xor_b32 s72, exec_lo, s73
	s_cbranch_execz .LBB4_1512
; %bb.378:                              ;   in Loop: Header=BB4_356 Depth=4
	v_cmp_eq_u16_sdwa s74, v16, v118 src0_sel:BYTE_0 src1_sel:DWORD
	s_mov_b32 s16, -1
	s_and_saveexec_b32 s73, s74
; %bb.379:                              ;   in Loop: Header=BB4_356 Depth=4
	s_xor_b32 s16, exec_lo, -1
; %bb.380:                              ;   in Loop: Header=BB4_356 Depth=4
	s_or_b32 exec_lo, exec_lo, s73
	s_and_b32 s16, s16, exec_lo
	s_or_saveexec_b32 s72, s72
	v_mov_b32_e32 v76, 0x7f800001
	s_xor_b32 exec_lo, exec_lo, s72
	s_cbranch_execnz .LBB4_1513
.LBB4_381:                              ;   in Loop: Header=BB4_356 Depth=4
	s_or_b32 exec_lo, exec_lo, s72
	s_and_saveexec_b32 s72, s16
	s_cbranch_execz .LBB4_383
.LBB4_382:                              ;   in Loop: Header=BB4_356 Depth=4
	v_and_b32_e32 v76, 7, v16
	v_bfe_u32 v79, v16, 3, 4
	v_lshlrev_b32_e32 v88, 24, v16
	v_ffbh_u32_e32 v77, v76
	v_cmp_eq_u32_e32 vcc_lo, 0, v79
	v_min_u32_e32 v77, 32, v77
	v_subrev_nc_u32_e32 v78, 28, v77
	v_sub_nc_u32_e32 v77, 29, v77
	v_lshlrev_b32_e32 v78, v78, v16
	v_cndmask_b32_e32 v77, v79, v77, vcc_lo
	v_and_b32_e32 v78, 7, v78
	v_lshl_add_u32 v77, v77, 23, 0x3b800000
	v_cndmask_b32_e32 v76, v76, v78, vcc_lo
	v_and_b32_e32 v78, 0x80000000, v88
	v_lshlrev_b32_e32 v76, 20, v76
	v_or3_b32 v76, v78, v77, v76
.LBB4_383:                              ;   in Loop: Header=BB4_356 Depth=4
	s_or_b32 exec_lo, exec_lo, s72
	v_max_f32_e32 v76, v76, v76
	v_max_f32_e32 v75, v75, v75
	v_min_f32_e32 v76, v75, v76
.LBB4_384:                              ;   in Loop: Header=BB4_356 Depth=4
	v_and_b32_e32 v75, 0x7f800000, v76
	v_cmp_ne_u32_e32 vcc_lo, 0x7f800000, v75
	v_mov_b32_e32 v75, 0x80
	s_and_saveexec_b32 s72, vcc_lo
	s_cbranch_execz .LBB4_392
; %bb.385:                              ;   in Loop: Header=BB4_356 Depth=4
	v_mov_b32_e32 v75, 0
	s_mov_b32 s73, exec_lo
	v_cmpx_ne_u32_e32 0, v76
	s_cbranch_execz .LBB4_391
; %bb.386:                              ;   in Loop: Header=BB4_356 Depth=4
	v_bfe_u32 v75, v76, 23, 8
	v_and_b32_e32 v77, 0x7fffff, v76
	v_sub_nc_u32_e32 v78, 0x78, v75
	v_cmp_gt_u32_e32 vcc_lo, 0x79, v75
	v_or_b32_e32 v79, 0x800000, v77
	v_cndmask_b32_e32 v78, 0, v78, vcc_lo
	v_cmp_eq_u32_e32 vcc_lo, 0, v75
	v_add_nc_u32_e32 v75, 0xffffff89, v75
	v_cndmask_b32_e64 v78, v78, 0x77, vcc_lo
	v_cndmask_b32_e32 v77, v79, v77, vcc_lo
	v_cndmask_b32_e64 v75, v75, 0xffffff8a, vcc_lo
	v_lshl_add_u32 v79, 0x100000, v78, -1
	v_lshrrev_b32_e32 v88, v78, v77
	v_lshlrev_b32_e64 v90, v78, 0x80000
	v_add_nc_u32_e32 v78, v78, v75
	v_and_b32_e32 v77, v79, v77
	v_bfe_u32 v89, v88, 20, 1
	v_cmp_eq_u32_e64 s16, v77, v90
	v_add_nc_u32_e32 v79, -1, v89
	v_cndmask_b32_e64 v77, 0, v79, s16
	v_lshrrev_b32_e32 v79, 23, v88
	s_mov_b32 s16, exec_lo
	v_add_nc_u32_e32 v77, v77, v88
	v_xor_b32_e32 v79, 1, v79
	v_and_b32_e32 v75, 0xfffff, v77
	v_add_nc_u32_e32 v77, v75, v88
                                        ; implicit-def: $vgpr75
	v_cmpx_ne_u32_e64 v78, v79
	s_xor_b32 s16, exec_lo, s16
; %bb.387:                              ;   in Loop: Header=BB4_356 Depth=4
	v_cmp_lt_u32_e32 vcc_lo, 0xffffff, v77
	v_sub_nc_u32_e32 v75, v78, v79
	v_cndmask_b32_e64 v78, 0, 1, vcc_lo
	v_add_co_ci_u32_e64 v75, null, 0, v75, vcc_lo
	v_lshrrev_b32_e32 v77, v78, v77
; %bb.388:                              ;   in Loop: Header=BB4_356 Depth=4
	s_andn2_saveexec_b32 s16, s16
; %bb.389:                              ;   in Loop: Header=BB4_356 Depth=4
	v_bfe_u32 v75, v77, 23, 1
; %bb.390:                              ;   in Loop: Header=BB4_356 Depth=4
	s_or_b32 exec_lo, exec_lo, s16
	v_lshrrev_b32_e32 v77, 20, v77
	v_min_i32_e32 v78, 15, v75
	v_cmp_gt_i32_e32 vcc_lo, 16, v75
	v_and_b32_sdwa v76, v76, v118 dst_sel:DWORD dst_unused:UNUSED_PAD src0_sel:BYTE_3 src1_sel:DWORD
	v_lshlrev_b32_e32 v78, 3, v78
	v_cndmask_b32_e32 v77, 7, v77, vcc_lo
	v_and_b32_e32 v78, 0xf8, v78
	v_and_b32_e32 v79, 7, v77
	v_or_b32_e32 v75, v75, v77
	v_or3_b32 v76, v78, v76, v79
	v_cmp_ne_u32_e32 vcc_lo, 0, v75
	v_cndmask_b32_e32 v75, 0, v76, vcc_lo
.LBB4_391:                              ;   in Loop: Header=BB4_356 Depth=4
	s_or_b32 exec_lo, exec_lo, s73
.LBB4_392:                              ;   in Loop: Header=BB4_356 Depth=4
	s_or_b32 exec_lo, exec_lo, s72
	v_cmp_gt_i16_sdwa s72, v20, v117 src0_sel:BYTE_1 src1_sel:DWORD
	s_and_b32 vcc_lo, exec_lo, s63
	s_mov_b32 s16, -1
                                        ; implicit-def: $vgpr77
	s_cbranch_vccz .LBB4_406
; %bb.393:                              ;   in Loop: Header=BB4_356 Depth=4
	s_mov_b32 s16, 0
	s_and_saveexec_b32 s73, s72
	s_xor_b32 s72, exec_lo, s73
	s_cbranch_execz .LBB4_1514
; %bb.394:                              ;   in Loop: Header=BB4_356 Depth=4
	v_cmp_eq_u16_sdwa s74, v20, v118 src0_sel:BYTE_1 src1_sel:DWORD
	s_mov_b32 s16, -1
	s_and_saveexec_b32 s73, s74
; %bb.395:                              ;   in Loop: Header=BB4_356 Depth=4
	s_xor_b32 s16, exec_lo, -1
; %bb.396:                              ;   in Loop: Header=BB4_356 Depth=4
	s_or_b32 exec_lo, exec_lo, s73
	s_and_b32 s16, s16, exec_lo
	s_or_saveexec_b32 s72, s72
	v_mov_b32_e32 v76, 0x7f800001
	s_xor_b32 exec_lo, exec_lo, s72
	s_cbranch_execnz .LBB4_1515
.LBB4_397:                              ;   in Loop: Header=BB4_356 Depth=4
	s_or_b32 exec_lo, exec_lo, s72
	s_and_saveexec_b32 s72, s16
	s_cbranch_execz .LBB4_399
.LBB4_398:                              ;   in Loop: Header=BB4_356 Depth=4
	v_and_b32_sdwa v76, v119, v20 dst_sel:DWORD dst_unused:UNUSED_PAD src0_sel:DWORD src1_sel:BYTE_1
	v_and_b32_e32 v77, 7, v76
	v_bfe_u32 v88, v76, 3, 4
	v_ffbh_u32_e32 v78, v77
	v_cmp_eq_u32_e32 vcc_lo, 0, v88
	v_min_u32_e32 v78, 32, v78
	v_subrev_nc_u32_e32 v79, 28, v78
	v_sub_nc_u32_e32 v78, 29, v78
	v_lshlrev_b32_e32 v76, v79, v76
	v_lshlrev_b32_e32 v79, 16, v20
	v_cndmask_b32_e32 v78, v88, v78, vcc_lo
	v_and_b32_e32 v76, 7, v76
	v_lshl_add_u32 v78, v78, 23, 0x3b800000
	v_cndmask_b32_e32 v76, v77, v76, vcc_lo
	v_and_b32_e32 v77, 0x80000000, v79
	v_lshlrev_b32_e32 v76, 20, v76
	v_or3_b32 v76, v77, v78, v76
.LBB4_399:                              ;   in Loop: Header=BB4_356 Depth=4
	s_or_b32 exec_lo, exec_lo, s72
	s_waitcnt vmcnt(1)
	v_cmp_gt_i16_sdwa s72, v16, v117 src0_sel:BYTE_1 src1_sel:DWORD
	s_mov_b32 s16, 0
	s_and_saveexec_b32 s73, s72
	s_xor_b32 s72, exec_lo, s73
	s_cbranch_execz .LBB4_1516
; %bb.400:                              ;   in Loop: Header=BB4_356 Depth=4
	v_cmp_eq_u16_sdwa s74, v16, v118 src0_sel:BYTE_1 src1_sel:DWORD
	s_mov_b32 s16, -1
	s_and_saveexec_b32 s73, s74
; %bb.401:                              ;   in Loop: Header=BB4_356 Depth=4
	s_xor_b32 s16, exec_lo, -1
; %bb.402:                              ;   in Loop: Header=BB4_356 Depth=4
	s_or_b32 exec_lo, exec_lo, s73
	s_and_b32 s16, s16, exec_lo
	s_or_saveexec_b32 s72, s72
	v_mov_b32_e32 v77, 0x7f800001
	s_xor_b32 exec_lo, exec_lo, s72
	s_cbranch_execnz .LBB4_1517
.LBB4_403:                              ;   in Loop: Header=BB4_356 Depth=4
	s_or_b32 exec_lo, exec_lo, s72
	s_and_saveexec_b32 s72, s16
	s_cbranch_execz .LBB4_405
.LBB4_404:                              ;   in Loop: Header=BB4_356 Depth=4
	v_and_b32_sdwa v77, v119, v16 dst_sel:DWORD dst_unused:UNUSED_PAD src0_sel:DWORD src1_sel:BYTE_1
	v_and_b32_e32 v78, 7, v77
	v_bfe_u32 v89, v77, 3, 4
	v_ffbh_u32_e32 v79, v78
	v_cmp_eq_u32_e32 vcc_lo, 0, v89
	v_min_u32_e32 v79, 32, v79
	v_subrev_nc_u32_e32 v88, 28, v79
	v_sub_nc_u32_e32 v79, 29, v79
	v_lshlrev_b32_e32 v77, v88, v77
	v_lshlrev_b32_e32 v88, 16, v16
	v_cndmask_b32_e32 v79, v89, v79, vcc_lo
	v_and_b32_e32 v77, 7, v77
	v_lshl_add_u32 v79, v79, 23, 0x3b800000
	v_cndmask_b32_e32 v77, v78, v77, vcc_lo
	v_and_b32_e32 v78, 0x80000000, v88
	v_lshlrev_b32_e32 v77, 20, v77
	v_or3_b32 v77, v78, v79, v77
.LBB4_405:                              ;   in Loop: Header=BB4_356 Depth=4
	s_or_b32 exec_lo, exec_lo, s72
	v_max_f32_e32 v77, v77, v77
	v_max_f32_e32 v76, v76, v76
	s_mov_b32 s16, 0
	v_max_f32_e32 v77, v76, v77
.LBB4_406:                              ;   in Loop: Header=BB4_356 Depth=4
	s_and_b32 vcc_lo, exec_lo, s16
	s_cbranch_vccz .LBB4_420
; %bb.407:                              ;   in Loop: Header=BB4_356 Depth=4
	v_cmp_gt_i16_sdwa s72, v20, v117 src0_sel:BYTE_1 src1_sel:DWORD
	s_mov_b32 s16, 0
	s_and_saveexec_b32 s73, s72
	s_xor_b32 s72, exec_lo, s73
	s_cbranch_execz .LBB4_1518
; %bb.408:                              ;   in Loop: Header=BB4_356 Depth=4
	v_cmp_eq_u16_sdwa s74, v20, v118 src0_sel:BYTE_1 src1_sel:DWORD
	s_mov_b32 s16, -1
	s_and_saveexec_b32 s73, s74
; %bb.409:                              ;   in Loop: Header=BB4_356 Depth=4
	s_xor_b32 s16, exec_lo, -1
; %bb.410:                              ;   in Loop: Header=BB4_356 Depth=4
	s_or_b32 exec_lo, exec_lo, s73
	s_and_b32 s16, s16, exec_lo
	s_or_saveexec_b32 s72, s72
	v_mov_b32_e32 v76, 0x7f800001
	s_xor_b32 exec_lo, exec_lo, s72
	s_cbranch_execnz .LBB4_1519
.LBB4_411:                              ;   in Loop: Header=BB4_356 Depth=4
	s_or_b32 exec_lo, exec_lo, s72
	s_and_saveexec_b32 s72, s16
	s_cbranch_execz .LBB4_413
.LBB4_412:                              ;   in Loop: Header=BB4_356 Depth=4
	v_and_b32_sdwa v76, v119, v20 dst_sel:DWORD dst_unused:UNUSED_PAD src0_sel:DWORD src1_sel:BYTE_1
	v_and_b32_e32 v77, 7, v76
	v_bfe_u32 v88, v76, 3, 4
	v_ffbh_u32_e32 v78, v77
	v_cmp_eq_u32_e32 vcc_lo, 0, v88
	v_min_u32_e32 v78, 32, v78
	v_subrev_nc_u32_e32 v79, 28, v78
	v_sub_nc_u32_e32 v78, 29, v78
	v_lshlrev_b32_e32 v76, v79, v76
	v_lshlrev_b32_e32 v79, 16, v20
	v_cndmask_b32_e32 v78, v88, v78, vcc_lo
	v_and_b32_e32 v76, 7, v76
	v_lshl_add_u32 v78, v78, 23, 0x3b800000
	v_cndmask_b32_e32 v76, v77, v76, vcc_lo
	v_and_b32_e32 v77, 0x80000000, v79
	v_lshlrev_b32_e32 v76, 20, v76
	v_or3_b32 v76, v77, v78, v76
.LBB4_413:                              ;   in Loop: Header=BB4_356 Depth=4
	s_or_b32 exec_lo, exec_lo, s72
	s_waitcnt vmcnt(1)
	v_cmp_gt_i16_sdwa s72, v16, v117 src0_sel:BYTE_1 src1_sel:DWORD
	s_mov_b32 s16, 0
	s_and_saveexec_b32 s73, s72
	s_xor_b32 s72, exec_lo, s73
	s_cbranch_execz .LBB4_1520
; %bb.414:                              ;   in Loop: Header=BB4_356 Depth=4
	v_cmp_eq_u16_sdwa s74, v16, v118 src0_sel:BYTE_1 src1_sel:DWORD
	s_mov_b32 s16, -1
	s_and_saveexec_b32 s73, s74
; %bb.415:                              ;   in Loop: Header=BB4_356 Depth=4
	s_xor_b32 s16, exec_lo, -1
; %bb.416:                              ;   in Loop: Header=BB4_356 Depth=4
	s_or_b32 exec_lo, exec_lo, s73
	s_and_b32 s16, s16, exec_lo
	s_or_saveexec_b32 s72, s72
	v_mov_b32_e32 v77, 0x7f800001
	s_xor_b32 exec_lo, exec_lo, s72
	s_cbranch_execnz .LBB4_1521
.LBB4_417:                              ;   in Loop: Header=BB4_356 Depth=4
	s_or_b32 exec_lo, exec_lo, s72
	s_and_saveexec_b32 s72, s16
	s_cbranch_execz .LBB4_419
.LBB4_418:                              ;   in Loop: Header=BB4_356 Depth=4
	v_and_b32_sdwa v77, v119, v16 dst_sel:DWORD dst_unused:UNUSED_PAD src0_sel:DWORD src1_sel:BYTE_1
	v_and_b32_e32 v78, 7, v77
	v_bfe_u32 v89, v77, 3, 4
	v_ffbh_u32_e32 v79, v78
	v_cmp_eq_u32_e32 vcc_lo, 0, v89
	v_min_u32_e32 v79, 32, v79
	v_subrev_nc_u32_e32 v88, 28, v79
	v_sub_nc_u32_e32 v79, 29, v79
	v_lshlrev_b32_e32 v77, v88, v77
	v_lshlrev_b32_e32 v88, 16, v16
	v_cndmask_b32_e32 v79, v89, v79, vcc_lo
	v_and_b32_e32 v77, 7, v77
	v_lshl_add_u32 v79, v79, 23, 0x3b800000
	v_cndmask_b32_e32 v77, v78, v77, vcc_lo
	v_and_b32_e32 v78, 0x80000000, v88
	v_lshlrev_b32_e32 v77, 20, v77
	v_or3_b32 v77, v78, v79, v77
.LBB4_419:                              ;   in Loop: Header=BB4_356 Depth=4
	s_or_b32 exec_lo, exec_lo, s72
	v_max_f32_e32 v77, v77, v77
	v_max_f32_e32 v76, v76, v76
	v_min_f32_e32 v77, v76, v77
.LBB4_420:                              ;   in Loop: Header=BB4_356 Depth=4
	v_and_b32_e32 v76, 0x7f800000, v77
	v_cmp_ne_u32_e32 vcc_lo, 0x7f800000, v76
	v_mov_b32_e32 v76, 0x8000
	s_and_saveexec_b32 s72, vcc_lo
	s_cbranch_execz .LBB4_428
; %bb.421:                              ;   in Loop: Header=BB4_356 Depth=4
	v_mov_b32_e32 v76, 0
	s_mov_b32 s73, exec_lo
	v_cmpx_ne_u32_e32 0, v77
	s_cbranch_execz .LBB4_427
; %bb.422:                              ;   in Loop: Header=BB4_356 Depth=4
	v_bfe_u32 v76, v77, 23, 8
	v_and_b32_e32 v78, 0x7fffff, v77
	v_sub_nc_u32_e32 v79, 0x78, v76
	v_cmp_gt_u32_e32 vcc_lo, 0x79, v76
	v_or_b32_e32 v88, 0x800000, v78
	v_cndmask_b32_e32 v79, 0, v79, vcc_lo
	v_cmp_eq_u32_e32 vcc_lo, 0, v76
	v_add_nc_u32_e32 v76, 0xffffff89, v76
	v_cndmask_b32_e64 v79, v79, 0x77, vcc_lo
	v_cndmask_b32_e32 v78, v88, v78, vcc_lo
	v_cndmask_b32_e64 v76, v76, 0xffffff8a, vcc_lo
	v_lshl_add_u32 v88, 0x100000, v79, -1
	v_lshrrev_b32_e32 v89, v79, v78
	v_lshlrev_b32_e64 v91, v79, 0x80000
	v_add_nc_u32_e32 v79, v79, v76
	v_and_b32_e32 v78, v88, v78
	v_bfe_u32 v90, v89, 20, 1
	v_cmp_eq_u32_e64 s16, v78, v91
	v_add_nc_u32_e32 v88, -1, v90
	v_cndmask_b32_e64 v78, 0, v88, s16
	v_lshrrev_b32_e32 v88, 23, v89
	s_mov_b32 s16, exec_lo
	v_add_nc_u32_e32 v78, v78, v89
	v_xor_b32_e32 v88, 1, v88
	v_and_b32_e32 v76, 0xfffff, v78
	v_add_nc_u32_e32 v78, v76, v89
                                        ; implicit-def: $vgpr76
	v_cmpx_ne_u32_e64 v79, v88
	s_xor_b32 s16, exec_lo, s16
; %bb.423:                              ;   in Loop: Header=BB4_356 Depth=4
	v_cmp_lt_u32_e32 vcc_lo, 0xffffff, v78
	v_sub_nc_u32_e32 v76, v79, v88
	v_cndmask_b32_e64 v79, 0, 1, vcc_lo
	v_add_co_ci_u32_e64 v76, null, 0, v76, vcc_lo
	v_lshrrev_b32_e32 v78, v79, v78
; %bb.424:                              ;   in Loop: Header=BB4_356 Depth=4
	s_andn2_saveexec_b32 s16, s16
; %bb.425:                              ;   in Loop: Header=BB4_356 Depth=4
	v_bfe_u32 v76, v78, 23, 1
; %bb.426:                              ;   in Loop: Header=BB4_356 Depth=4
	s_or_b32 exec_lo, exec_lo, s16
	v_lshrrev_b32_e32 v78, 20, v78
	v_min_i32_e32 v79, 15, v76
	v_cmp_gt_i32_e32 vcc_lo, 16, v76
	v_and_b32_sdwa v77, v77, v118 dst_sel:DWORD dst_unused:UNUSED_PAD src0_sel:BYTE_3 src1_sel:DWORD
	v_lshlrev_b32_e32 v79, 3, v79
	v_cndmask_b32_e32 v78, 7, v78, vcc_lo
	v_and_b32_e32 v79, 0xf8, v79
	v_and_b32_e32 v88, 7, v78
	v_or_b32_e32 v76, v76, v78
	v_or3_b32 v77, v77, v79, v88
	v_cmp_ne_u32_e32 vcc_lo, 0, v76
	v_lshlrev_b32_e32 v77, 8, v77
	v_cndmask_b32_e32 v76, 0, v77, vcc_lo
.LBB4_427:                              ;   in Loop: Header=BB4_356 Depth=4
	s_or_b32 exec_lo, exec_lo, s73
.LBB4_428:                              ;   in Loop: Header=BB4_356 Depth=4
	s_or_b32 exec_lo, exec_lo, s72
	v_and_b32_sdwa v77, v20, v40 dst_sel:DWORD dst_unused:UNUSED_PAD src0_sel:WORD_1 src1_sel:DWORD
	s_and_b32 vcc_lo, exec_lo, s63
	s_mov_b32 s72, -1
                                        ; implicit-def: $vgpr78
	v_cmp_lt_i16_e64 s16, 0x7f, v77
	s_cbranch_vccz .LBB4_442
; %bb.429:                              ;   in Loop: Header=BB4_356 Depth=4
	s_mov_b32 s72, 0
	s_and_saveexec_b32 s73, s16
	s_xor_b32 s16, exec_lo, s73
	s_cbranch_execz .LBB4_1522
; %bb.430:                              ;   in Loop: Header=BB4_356 Depth=4
	s_mov_b32 s72, -1
	s_mov_b32 s73, exec_lo
	v_cmpx_eq_u16_e32 0x80, v77
; %bb.431:                              ;   in Loop: Header=BB4_356 Depth=4
	s_xor_b32 s72, exec_lo, -1
; %bb.432:                              ;   in Loop: Header=BB4_356 Depth=4
	s_or_b32 exec_lo, exec_lo, s73
	s_and_b32 s72, s72, exec_lo
	s_or_saveexec_b32 s16, s16
	v_mov_b32_e32 v78, 0x7f800001
	s_xor_b32 exec_lo, exec_lo, s16
	s_cbranch_execnz .LBB4_1523
.LBB4_433:                              ;   in Loop: Header=BB4_356 Depth=4
	s_or_b32 exec_lo, exec_lo, s16
	s_and_saveexec_b32 s16, s72
	s_cbranch_execz .LBB4_435
.LBB4_434:                              ;   in Loop: Header=BB4_356 Depth=4
	v_bfe_u32 v78, v20, 16, 3
	v_bfe_u32 v89, v20, 19, 4
	v_lshlrev_b32_sdwa v90, v41, v20 dst_sel:DWORD dst_unused:UNUSED_PAD src0_sel:DWORD src1_sel:WORD_1
	v_ffbh_u32_e32 v79, v78
	v_cmp_eq_u32_e32 vcc_lo, 0, v89
	v_min_u32_e32 v79, 32, v79
	v_subrev_nc_u32_e32 v88, 28, v79
	v_sub_nc_u32_e32 v79, 29, v79
	v_lshlrev_b32_sdwa v88, v88, v20 dst_sel:DWORD dst_unused:UNUSED_PAD src0_sel:DWORD src1_sel:WORD_1
	v_cndmask_b32_e32 v79, v89, v79, vcc_lo
	v_and_b32_e32 v88, 7, v88
	v_lshl_add_u32 v79, v79, 23, 0x3b800000
	v_cndmask_b32_e32 v78, v78, v88, vcc_lo
	v_and_b32_e32 v88, 0x80000000, v90
	v_lshlrev_b32_e32 v78, 20, v78
	v_or3_b32 v78, v88, v79, v78
.LBB4_435:                              ;   in Loop: Header=BB4_356 Depth=4
	s_or_b32 exec_lo, exec_lo, s16
	s_waitcnt vmcnt(1)
	v_and_b32_sdwa v88, v16, v40 dst_sel:DWORD dst_unused:UNUSED_PAD src0_sel:WORD_1 src1_sel:DWORD
	s_mov_b32 s16, 0
	s_mov_b32 s72, exec_lo
	v_cmpx_lt_i16_e32 0x7f, v88
	s_xor_b32 s72, exec_lo, s72
	s_cbranch_execz .LBB4_1524
; %bb.436:                              ;   in Loop: Header=BB4_356 Depth=4
	s_mov_b32 s16, -1
	s_mov_b32 s73, exec_lo
	v_cmpx_eq_u16_e32 0x80, v88
; %bb.437:                              ;   in Loop: Header=BB4_356 Depth=4
	s_xor_b32 s16, exec_lo, -1
; %bb.438:                              ;   in Loop: Header=BB4_356 Depth=4
	s_or_b32 exec_lo, exec_lo, s73
	s_and_b32 s16, s16, exec_lo
                                        ; implicit-def: $vgpr88
	s_or_saveexec_b32 s72, s72
	v_mov_b32_e32 v79, 0x7f800001
	s_xor_b32 exec_lo, exec_lo, s72
	s_cbranch_execnz .LBB4_1525
.LBB4_439:                              ;   in Loop: Header=BB4_356 Depth=4
	s_or_b32 exec_lo, exec_lo, s72
	s_and_saveexec_b32 s72, s16
	s_cbranch_execz .LBB4_441
.LBB4_440:                              ;   in Loop: Header=BB4_356 Depth=4
	v_bfe_u32 v79, v16, 16, 3
	v_bfe_u32 v90, v16, 19, 4
	v_lshlrev_b32_sdwa v91, v41, v16 dst_sel:DWORD dst_unused:UNUSED_PAD src0_sel:DWORD src1_sel:WORD_1
	v_ffbh_u32_e32 v88, v79
	v_cmp_eq_u32_e32 vcc_lo, 0, v90
	v_min_u32_e32 v88, 32, v88
	v_subrev_nc_u32_e32 v89, 28, v88
	v_sub_nc_u32_e32 v88, 29, v88
	v_lshlrev_b32_sdwa v89, v89, v16 dst_sel:DWORD dst_unused:UNUSED_PAD src0_sel:DWORD src1_sel:WORD_1
	v_cndmask_b32_e32 v88, v90, v88, vcc_lo
	v_and_b32_e32 v89, 7, v89
	v_lshl_add_u32 v88, v88, 23, 0x3b800000
	v_cndmask_b32_e32 v79, v79, v89, vcc_lo
	v_and_b32_e32 v89, 0x80000000, v91
	v_lshlrev_b32_e32 v79, 20, v79
	v_or3_b32 v79, v89, v88, v79
.LBB4_441:                              ;   in Loop: Header=BB4_356 Depth=4
	s_or_b32 exec_lo, exec_lo, s72
	v_max_f32_e32 v79, v79, v79
	v_max_f32_e32 v78, v78, v78
	s_mov_b32 s72, 0
	v_max_f32_e32 v78, v78, v79
.LBB4_442:                              ;   in Loop: Header=BB4_356 Depth=4
	s_and_b32 vcc_lo, exec_lo, s72
	s_cbranch_vccz .LBB4_456
; %bb.443:                              ;   in Loop: Header=BB4_356 Depth=4
	s_mov_b32 s16, 0
	s_mov_b32 s72, exec_lo
	v_cmpx_lt_i16_e32 0x7f, v77
	s_xor_b32 s72, exec_lo, s72
	s_cbranch_execz .LBB4_1526
; %bb.444:                              ;   in Loop: Header=BB4_356 Depth=4
	s_mov_b32 s16, -1
	s_mov_b32 s73, exec_lo
	v_cmpx_eq_u16_e32 0x80, v77
; %bb.445:                              ;   in Loop: Header=BB4_356 Depth=4
	s_xor_b32 s16, exec_lo, -1
; %bb.446:                              ;   in Loop: Header=BB4_356 Depth=4
	s_or_b32 exec_lo, exec_lo, s73
	s_and_b32 s16, s16, exec_lo
                                        ; implicit-def: $vgpr77
	s_or_saveexec_b32 s72, s72
	v_mov_b32_e32 v78, 0x7f800001
	s_xor_b32 exec_lo, exec_lo, s72
	s_cbranch_execnz .LBB4_1527
.LBB4_447:                              ;   in Loop: Header=BB4_356 Depth=4
	s_or_b32 exec_lo, exec_lo, s72
	s_and_saveexec_b32 s72, s16
	s_cbranch_execz .LBB4_449
.LBB4_448:                              ;   in Loop: Header=BB4_356 Depth=4
	v_bfe_u32 v77, v20, 16, 3
	v_bfe_u32 v88, v20, 19, 4
	v_lshlrev_b32_sdwa v89, v41, v20 dst_sel:DWORD dst_unused:UNUSED_PAD src0_sel:DWORD src1_sel:WORD_1
	v_ffbh_u32_e32 v78, v77
	v_cmp_eq_u32_e32 vcc_lo, 0, v88
	v_min_u32_e32 v78, 32, v78
	v_subrev_nc_u32_e32 v79, 28, v78
	v_sub_nc_u32_e32 v78, 29, v78
	v_lshlrev_b32_sdwa v79, v79, v20 dst_sel:DWORD dst_unused:UNUSED_PAD src0_sel:DWORD src1_sel:WORD_1
	v_cndmask_b32_e32 v78, v88, v78, vcc_lo
	v_and_b32_e32 v79, 7, v79
	v_lshl_add_u32 v78, v78, 23, 0x3b800000
	v_cndmask_b32_e32 v77, v77, v79, vcc_lo
	v_and_b32_e32 v79, 0x80000000, v89
	v_lshlrev_b32_e32 v77, 20, v77
	v_or3_b32 v78, v79, v78, v77
.LBB4_449:                              ;   in Loop: Header=BB4_356 Depth=4
	s_or_b32 exec_lo, exec_lo, s72
	s_waitcnt vmcnt(1)
	v_and_b32_sdwa v79, v16, v40 dst_sel:DWORD dst_unused:UNUSED_PAD src0_sel:WORD_1 src1_sel:DWORD
	s_mov_b32 s16, 0
	s_mov_b32 s72, exec_lo
	v_cmpx_lt_i16_e32 0x7f, v79
	s_xor_b32 s72, exec_lo, s72
	s_cbranch_execz .LBB4_1528
; %bb.450:                              ;   in Loop: Header=BB4_356 Depth=4
	s_mov_b32 s16, -1
	s_mov_b32 s73, exec_lo
	v_cmpx_eq_u16_e32 0x80, v79
; %bb.451:                              ;   in Loop: Header=BB4_356 Depth=4
	s_xor_b32 s16, exec_lo, -1
; %bb.452:                              ;   in Loop: Header=BB4_356 Depth=4
	s_or_b32 exec_lo, exec_lo, s73
	s_and_b32 s16, s16, exec_lo
                                        ; implicit-def: $vgpr79
	s_or_saveexec_b32 s72, s72
	v_mov_b32_e32 v77, 0x7f800001
	s_xor_b32 exec_lo, exec_lo, s72
	s_cbranch_execnz .LBB4_1529
.LBB4_453:                              ;   in Loop: Header=BB4_356 Depth=4
	s_or_b32 exec_lo, exec_lo, s72
	s_and_saveexec_b32 s72, s16
	s_cbranch_execz .LBB4_455
.LBB4_454:                              ;   in Loop: Header=BB4_356 Depth=4
	v_bfe_u32 v77, v16, 16, 3
	v_bfe_u32 v89, v16, 19, 4
	v_lshlrev_b32_sdwa v90, v41, v16 dst_sel:DWORD dst_unused:UNUSED_PAD src0_sel:DWORD src1_sel:WORD_1
	v_ffbh_u32_e32 v79, v77
	v_cmp_eq_u32_e32 vcc_lo, 0, v89
	v_min_u32_e32 v79, 32, v79
	v_subrev_nc_u32_e32 v88, 28, v79
	v_sub_nc_u32_e32 v79, 29, v79
	v_lshlrev_b32_sdwa v88, v88, v16 dst_sel:DWORD dst_unused:UNUSED_PAD src0_sel:DWORD src1_sel:WORD_1
	v_cndmask_b32_e32 v79, v89, v79, vcc_lo
	v_and_b32_e32 v88, 7, v88
	v_lshl_add_u32 v79, v79, 23, 0x3b800000
	v_cndmask_b32_e32 v77, v77, v88, vcc_lo
	v_and_b32_e32 v88, 0x80000000, v90
	v_lshlrev_b32_e32 v77, 20, v77
	v_or3_b32 v77, v88, v79, v77
.LBB4_455:                              ;   in Loop: Header=BB4_356 Depth=4
	s_or_b32 exec_lo, exec_lo, s72
	v_max_f32_e32 v77, v77, v77
	v_max_f32_e32 v78, v78, v78
	v_min_f32_e32 v78, v78, v77
.LBB4_456:                              ;   in Loop: Header=BB4_356 Depth=4
	v_and_b32_e32 v77, 0x7f800000, v78
	v_cmp_ne_u32_e32 vcc_lo, 0x7f800000, v77
	v_mov_b32_e32 v77, 0x80
	s_and_saveexec_b32 s72, vcc_lo
	s_cbranch_execz .LBB4_464
; %bb.457:                              ;   in Loop: Header=BB4_356 Depth=4
	v_mov_b32_e32 v77, 0
	s_mov_b32 s73, exec_lo
	v_cmpx_ne_u32_e32 0, v78
	s_cbranch_execz .LBB4_463
; %bb.458:                              ;   in Loop: Header=BB4_356 Depth=4
	v_bfe_u32 v77, v78, 23, 8
	v_and_b32_e32 v79, 0x7fffff, v78
	v_sub_nc_u32_e32 v88, 0x78, v77
	v_cmp_gt_u32_e32 vcc_lo, 0x79, v77
	v_or_b32_e32 v89, 0x800000, v79
	v_cndmask_b32_e32 v88, 0, v88, vcc_lo
	v_cmp_eq_u32_e32 vcc_lo, 0, v77
	v_add_nc_u32_e32 v77, 0xffffff89, v77
	v_cndmask_b32_e64 v88, v88, 0x77, vcc_lo
	v_cndmask_b32_e32 v79, v89, v79, vcc_lo
	v_cndmask_b32_e64 v77, v77, 0xffffff8a, vcc_lo
	v_lshl_add_u32 v89, 0x100000, v88, -1
	v_lshrrev_b32_e32 v90, v88, v79
	v_lshlrev_b32_e64 v92, v88, 0x80000
	v_add_nc_u32_e32 v88, v88, v77
	v_and_b32_e32 v79, v89, v79
	v_bfe_u32 v91, v90, 20, 1
	v_cmp_eq_u32_e64 s16, v79, v92
	v_add_nc_u32_e32 v89, -1, v91
	v_cndmask_b32_e64 v79, 0, v89, s16
	v_lshrrev_b32_e32 v89, 23, v90
	s_mov_b32 s16, exec_lo
	v_add_nc_u32_e32 v79, v79, v90
	v_xor_b32_e32 v89, 1, v89
	v_and_b32_e32 v77, 0xfffff, v79
	v_add_nc_u32_e32 v79, v77, v90
                                        ; implicit-def: $vgpr77
	v_cmpx_ne_u32_e64 v88, v89
	s_xor_b32 s16, exec_lo, s16
; %bb.459:                              ;   in Loop: Header=BB4_356 Depth=4
	v_cmp_lt_u32_e32 vcc_lo, 0xffffff, v79
	v_sub_nc_u32_e32 v77, v88, v89
	v_cndmask_b32_e64 v88, 0, 1, vcc_lo
	v_add_co_ci_u32_e64 v77, null, 0, v77, vcc_lo
	v_lshrrev_b32_e32 v79, v88, v79
; %bb.460:                              ;   in Loop: Header=BB4_356 Depth=4
	s_andn2_saveexec_b32 s16, s16
; %bb.461:                              ;   in Loop: Header=BB4_356 Depth=4
	v_bfe_u32 v77, v79, 23, 1
; %bb.462:                              ;   in Loop: Header=BB4_356 Depth=4
	s_or_b32 exec_lo, exec_lo, s16
	v_lshrrev_b32_e32 v79, 20, v79
	v_min_i32_e32 v88, 15, v77
	v_cmp_gt_i32_e32 vcc_lo, 16, v77
	v_and_b32_sdwa v78, v78, v118 dst_sel:DWORD dst_unused:UNUSED_PAD src0_sel:BYTE_3 src1_sel:DWORD
	v_lshlrev_b32_e32 v88, 3, v88
	v_cndmask_b32_e32 v79, 7, v79, vcc_lo
	v_and_b32_e32 v88, 0xf8, v88
	v_and_b32_e32 v89, 7, v79
	v_or_b32_e32 v77, v77, v79
	v_or3_b32 v78, v88, v78, v89
	v_cmp_ne_u32_e32 vcc_lo, 0, v77
	v_cndmask_b32_e32 v77, 0, v78, vcc_lo
.LBB4_463:                              ;   in Loop: Header=BB4_356 Depth=4
	s_or_b32 exec_lo, exec_lo, s73
.LBB4_464:                              ;   in Loop: Header=BB4_356 Depth=4
	s_or_b32 exec_lo, exec_lo, s72
	v_cmp_gt_i16_sdwa s72, v20, v117 src0_sel:BYTE_3 src1_sel:DWORD
	s_and_b32 vcc_lo, exec_lo, s63
	s_mov_b32 s16, -1
                                        ; implicit-def: $vgpr78
	s_cbranch_vccz .LBB4_478
; %bb.465:                              ;   in Loop: Header=BB4_356 Depth=4
	s_mov_b32 s16, 0
	s_and_saveexec_b32 s73, s72
	s_xor_b32 s72, exec_lo, s73
	s_cbranch_execz .LBB4_1530
; %bb.466:                              ;   in Loop: Header=BB4_356 Depth=4
	v_cmp_eq_u16_sdwa s74, v20, v118 src0_sel:BYTE_3 src1_sel:DWORD
	s_mov_b32 s16, -1
	s_and_saveexec_b32 s73, s74
; %bb.467:                              ;   in Loop: Header=BB4_356 Depth=4
	s_xor_b32 s16, exec_lo, -1
; %bb.468:                              ;   in Loop: Header=BB4_356 Depth=4
	s_or_b32 exec_lo, exec_lo, s73
	s_and_b32 s16, s16, exec_lo
	s_or_saveexec_b32 s72, s72
	v_mov_b32_e32 v78, 0x7f800001
	s_xor_b32 exec_lo, exec_lo, s72
	s_cbranch_execnz .LBB4_1531
.LBB4_469:                              ;   in Loop: Header=BB4_356 Depth=4
	s_or_b32 exec_lo, exec_lo, s72
	s_and_saveexec_b32 s72, s16
	s_cbranch_execz .LBB4_471
.LBB4_470:                              ;   in Loop: Header=BB4_356 Depth=4
	v_bfe_u32 v78, v20, 24, 3
	v_bfe_u32 v89, v20, 27, 4
	v_ffbh_u32_e32 v79, v78
	v_cmp_eq_u32_e32 vcc_lo, 0, v89
	v_min_u32_e32 v79, 32, v79
	v_subrev_nc_u32_e32 v88, 28, v79
	v_sub_nc_u32_e32 v79, 29, v79
	v_lshlrev_b32_sdwa v88, v88, v20 dst_sel:DWORD dst_unused:UNUSED_PAD src0_sel:DWORD src1_sel:BYTE_3
	v_cndmask_b32_e32 v79, v89, v79, vcc_lo
	v_and_b32_e32 v88, 7, v88
	v_lshl_add_u32 v79, v79, 23, 0x3b800000
	v_cndmask_b32_e32 v78, v78, v88, vcc_lo
	v_and_b32_e32 v88, 0x80000000, v20
	v_lshlrev_b32_e32 v78, 20, v78
	v_or3_b32 v78, v88, v79, v78
.LBB4_471:                              ;   in Loop: Header=BB4_356 Depth=4
	s_or_b32 exec_lo, exec_lo, s72
	s_waitcnt vmcnt(1)
	v_cmp_gt_i16_sdwa s72, v16, v117 src0_sel:BYTE_3 src1_sel:DWORD
	s_mov_b32 s16, 0
	s_and_saveexec_b32 s73, s72
	s_xor_b32 s72, exec_lo, s73
	s_cbranch_execz .LBB4_1532
; %bb.472:                              ;   in Loop: Header=BB4_356 Depth=4
	v_cmp_eq_u16_sdwa s74, v16, v118 src0_sel:BYTE_3 src1_sel:DWORD
	s_mov_b32 s16, -1
	s_and_saveexec_b32 s73, s74
; %bb.473:                              ;   in Loop: Header=BB4_356 Depth=4
	s_xor_b32 s16, exec_lo, -1
; %bb.474:                              ;   in Loop: Header=BB4_356 Depth=4
	s_or_b32 exec_lo, exec_lo, s73
	s_and_b32 s16, s16, exec_lo
	s_or_saveexec_b32 s72, s72
	v_mov_b32_e32 v79, 0x7f800001
	s_xor_b32 exec_lo, exec_lo, s72
	s_cbranch_execnz .LBB4_1533
.LBB4_475:                              ;   in Loop: Header=BB4_356 Depth=4
	s_or_b32 exec_lo, exec_lo, s72
	s_and_saveexec_b32 s72, s16
	s_cbranch_execz .LBB4_477
.LBB4_476:                              ;   in Loop: Header=BB4_356 Depth=4
	v_bfe_u32 v79, v16, 24, 3
	v_bfe_u32 v90, v16, 27, 4
	v_ffbh_u32_e32 v88, v79
	v_cmp_eq_u32_e32 vcc_lo, 0, v90
	v_min_u32_e32 v88, 32, v88
	v_subrev_nc_u32_e32 v89, 28, v88
	v_sub_nc_u32_e32 v88, 29, v88
	v_lshlrev_b32_sdwa v89, v89, v16 dst_sel:DWORD dst_unused:UNUSED_PAD src0_sel:DWORD src1_sel:BYTE_3
	v_cndmask_b32_e32 v88, v90, v88, vcc_lo
	v_and_b32_e32 v89, 7, v89
	v_lshl_add_u32 v88, v88, 23, 0x3b800000
	v_cndmask_b32_e32 v79, v79, v89, vcc_lo
	v_and_b32_e32 v89, 0x80000000, v16
	v_lshlrev_b32_e32 v79, 20, v79
	v_or3_b32 v79, v89, v88, v79
.LBB4_477:                              ;   in Loop: Header=BB4_356 Depth=4
	s_or_b32 exec_lo, exec_lo, s72
	v_max_f32_e32 v79, v79, v79
	v_max_f32_e32 v78, v78, v78
	s_mov_b32 s16, 0
	v_max_f32_e32 v78, v78, v79
.LBB4_478:                              ;   in Loop: Header=BB4_356 Depth=4
	s_and_b32 vcc_lo, exec_lo, s16
	s_cbranch_vccz .LBB4_492
; %bb.479:                              ;   in Loop: Header=BB4_356 Depth=4
	v_cmp_gt_i16_sdwa s72, v20, v117 src0_sel:BYTE_3 src1_sel:DWORD
	s_mov_b32 s16, 0
	s_and_saveexec_b32 s73, s72
	s_xor_b32 s72, exec_lo, s73
	s_cbranch_execz .LBB4_1534
; %bb.480:                              ;   in Loop: Header=BB4_356 Depth=4
	v_cmp_eq_u16_sdwa s74, v20, v118 src0_sel:BYTE_3 src1_sel:DWORD
	s_mov_b32 s16, -1
	s_and_saveexec_b32 s73, s74
; %bb.481:                              ;   in Loop: Header=BB4_356 Depth=4
	s_xor_b32 s16, exec_lo, -1
; %bb.482:                              ;   in Loop: Header=BB4_356 Depth=4
	s_or_b32 exec_lo, exec_lo, s73
	s_and_b32 s16, s16, exec_lo
	s_or_saveexec_b32 s72, s72
	v_mov_b32_e32 v78, 0x7f800001
	s_xor_b32 exec_lo, exec_lo, s72
	s_cbranch_execnz .LBB4_1535
.LBB4_483:                              ;   in Loop: Header=BB4_356 Depth=4
	s_or_b32 exec_lo, exec_lo, s72
	s_and_saveexec_b32 s72, s16
	s_cbranch_execz .LBB4_485
.LBB4_484:                              ;   in Loop: Header=BB4_356 Depth=4
	v_bfe_u32 v78, v20, 24, 3
	v_bfe_u32 v89, v20, 27, 4
	v_ffbh_u32_e32 v79, v78
	v_cmp_eq_u32_e32 vcc_lo, 0, v89
	v_min_u32_e32 v79, 32, v79
	v_subrev_nc_u32_e32 v88, 28, v79
	v_sub_nc_u32_e32 v79, 29, v79
	v_lshlrev_b32_sdwa v88, v88, v20 dst_sel:DWORD dst_unused:UNUSED_PAD src0_sel:DWORD src1_sel:BYTE_3
	v_cndmask_b32_e32 v79, v89, v79, vcc_lo
	v_and_b32_e32 v20, 0x80000000, v20
	v_and_b32_e32 v88, 7, v88
	v_lshl_add_u32 v79, v79, 23, 0x3b800000
	v_cndmask_b32_e32 v78, v78, v88, vcc_lo
	v_lshlrev_b32_e32 v78, 20, v78
	v_or3_b32 v78, v20, v79, v78
.LBB4_485:                              ;   in Loop: Header=BB4_356 Depth=4
	s_or_b32 exec_lo, exec_lo, s72
	s_waitcnt vmcnt(1)
	v_cmp_gt_i16_sdwa s72, v16, v117 src0_sel:BYTE_3 src1_sel:DWORD
	s_mov_b32 s16, 0
	s_and_saveexec_b32 s73, s72
	s_xor_b32 s72, exec_lo, s73
	s_cbranch_execz .LBB4_1536
; %bb.486:                              ;   in Loop: Header=BB4_356 Depth=4
	v_cmp_eq_u16_sdwa s74, v16, v118 src0_sel:BYTE_3 src1_sel:DWORD
	s_mov_b32 s16, -1
	s_and_saveexec_b32 s73, s74
; %bb.487:                              ;   in Loop: Header=BB4_356 Depth=4
	s_xor_b32 s16, exec_lo, -1
; %bb.488:                              ;   in Loop: Header=BB4_356 Depth=4
	s_or_b32 exec_lo, exec_lo, s73
	s_and_b32 s16, s16, exec_lo
	s_or_saveexec_b32 s72, s72
	v_mov_b32_e32 v20, 0x7f800001
	s_xor_b32 exec_lo, exec_lo, s72
	s_cbranch_execnz .LBB4_1537
.LBB4_489:                              ;   in Loop: Header=BB4_356 Depth=4
	s_or_b32 exec_lo, exec_lo, s72
	s_and_saveexec_b32 s72, s16
	s_cbranch_execz .LBB4_491
.LBB4_490:                              ;   in Loop: Header=BB4_356 Depth=4
	v_bfe_u32 v20, v16, 24, 3
	v_bfe_u32 v89, v16, 27, 4
	v_ffbh_u32_e32 v79, v20
	v_cmp_eq_u32_e32 vcc_lo, 0, v89
	v_min_u32_e32 v79, 32, v79
	v_subrev_nc_u32_e32 v88, 28, v79
	v_sub_nc_u32_e32 v79, 29, v79
	v_lshlrev_b32_sdwa v88, v88, v16 dst_sel:DWORD dst_unused:UNUSED_PAD src0_sel:DWORD src1_sel:BYTE_3
	v_cndmask_b32_e32 v79, v89, v79, vcc_lo
	v_and_b32_e32 v16, 0x80000000, v16
	v_and_b32_e32 v88, 7, v88
	v_lshl_add_u32 v79, v79, 23, 0x3b800000
	v_cndmask_b32_e32 v20, v20, v88, vcc_lo
	v_lshlrev_b32_e32 v20, 20, v20
	v_or3_b32 v20, v16, v79, v20
.LBB4_491:                              ;   in Loop: Header=BB4_356 Depth=4
	s_or_b32 exec_lo, exec_lo, s72
	v_max_f32_e32 v16, v20, v20
	v_max_f32_e32 v20, v78, v78
	v_min_f32_e32 v78, v20, v16
.LBB4_492:                              ;   in Loop: Header=BB4_356 Depth=4
	s_waitcnt vmcnt(1)
	v_and_b32_e32 v16, 0x7f800000, v78
	v_cmp_ne_u32_e32 vcc_lo, 0x7f800000, v16
	v_mov_b32_e32 v16, 0x8000
	s_and_saveexec_b32 s72, vcc_lo
	s_cbranch_execz .LBB4_500
; %bb.493:                              ;   in Loop: Header=BB4_356 Depth=4
	v_mov_b32_e32 v16, 0
	s_mov_b32 s73, exec_lo
	v_cmpx_ne_u32_e32 0, v78
	s_cbranch_execz .LBB4_499
; %bb.494:                              ;   in Loop: Header=BB4_356 Depth=4
	v_bfe_u32 v16, v78, 23, 8
	v_and_b32_e32 v20, 0x7fffff, v78
	v_sub_nc_u32_e32 v79, 0x78, v16
	v_cmp_gt_u32_e32 vcc_lo, 0x79, v16
	v_or_b32_e32 v88, 0x800000, v20
	v_cndmask_b32_e32 v79, 0, v79, vcc_lo
	v_cmp_eq_u32_e32 vcc_lo, 0, v16
	v_add_nc_u32_e32 v16, 0xffffff89, v16
	v_cndmask_b32_e64 v79, v79, 0x77, vcc_lo
	v_cndmask_b32_e32 v20, v88, v20, vcc_lo
	v_cndmask_b32_e64 v16, v16, 0xffffff8a, vcc_lo
	v_lshl_add_u32 v88, 0x100000, v79, -1
	v_lshrrev_b32_e32 v89, v79, v20
	v_lshlrev_b32_e64 v91, v79, 0x80000
	v_add_nc_u32_e32 v79, v79, v16
	v_and_b32_e32 v20, v88, v20
	v_bfe_u32 v90, v89, 20, 1
	v_cmp_eq_u32_e64 s16, v20, v91
	v_add_nc_u32_e32 v88, -1, v90
	v_cndmask_b32_e64 v20, 0, v88, s16
	v_lshrrev_b32_e32 v88, 23, v89
	s_mov_b32 s16, exec_lo
	v_add_nc_u32_e32 v20, v20, v89
	v_xor_b32_e32 v88, 1, v88
	v_and_b32_e32 v16, 0xfffff, v20
	v_add_nc_u32_e32 v20, v16, v89
                                        ; implicit-def: $vgpr16
	v_cmpx_ne_u32_e64 v79, v88
	s_xor_b32 s16, exec_lo, s16
; %bb.495:                              ;   in Loop: Header=BB4_356 Depth=4
	v_cmp_lt_u32_e32 vcc_lo, 0xffffff, v20
	v_sub_nc_u32_e32 v16, v79, v88
	v_cndmask_b32_e64 v79, 0, 1, vcc_lo
	v_add_co_ci_u32_e64 v16, null, 0, v16, vcc_lo
	v_lshrrev_b32_e32 v20, v79, v20
; %bb.496:                              ;   in Loop: Header=BB4_356 Depth=4
	s_andn2_saveexec_b32 s16, s16
; %bb.497:                              ;   in Loop: Header=BB4_356 Depth=4
	v_bfe_u32 v16, v20, 23, 1
; %bb.498:                              ;   in Loop: Header=BB4_356 Depth=4
	s_or_b32 exec_lo, exec_lo, s16
	v_lshrrev_b32_e32 v20, 20, v20
	v_min_i32_e32 v79, 15, v16
	v_cmp_gt_i32_e32 vcc_lo, 16, v16
	v_and_b32_sdwa v78, v78, v118 dst_sel:DWORD dst_unused:UNUSED_PAD src0_sel:BYTE_3 src1_sel:DWORD
	v_lshlrev_b32_e32 v79, 3, v79
	v_cndmask_b32_e32 v20, 7, v20, vcc_lo
	v_and_b32_e32 v79, 0xf8, v79
	v_and_b32_e32 v88, 7, v20
	v_or_b32_e32 v16, v16, v20
	v_or3_b32 v78, v78, v79, v88
	v_cmp_ne_u32_e32 vcc_lo, 0, v16
	v_lshlrev_b32_e32 v20, 8, v78
	v_cndmask_b32_e32 v16, 0, v20, vcc_lo
.LBB4_499:                              ;   in Loop: Header=BB4_356 Depth=4
	s_or_b32 exec_lo, exec_lo, s73
.LBB4_500:                              ;   in Loop: Header=BB4_356 Depth=4
	s_or_b32 exec_lo, exec_lo, s72
	v_cmp_gt_i16_sdwa s72, v21, v117 src0_sel:BYTE_0 src1_sel:DWORD
	s_and_b32 vcc_lo, exec_lo, s63
	s_mov_b32 s16, -1
                                        ; implicit-def: $vgpr78
	s_cbranch_vccz .LBB4_514
; %bb.501:                              ;   in Loop: Header=BB4_356 Depth=4
	s_mov_b32 s16, 0
	s_and_saveexec_b32 s73, s72
	s_xor_b32 s72, exec_lo, s73
	s_cbranch_execz .LBB4_1538
; %bb.502:                              ;   in Loop: Header=BB4_356 Depth=4
	v_cmp_eq_u16_sdwa s74, v21, v118 src0_sel:BYTE_0 src1_sel:DWORD
	s_mov_b32 s16, -1
	s_and_saveexec_b32 s73, s74
; %bb.503:                              ;   in Loop: Header=BB4_356 Depth=4
	s_xor_b32 s16, exec_lo, -1
; %bb.504:                              ;   in Loop: Header=BB4_356 Depth=4
	s_or_b32 exec_lo, exec_lo, s73
	s_and_b32 s16, s16, exec_lo
	s_or_saveexec_b32 s72, s72
	v_mov_b32_e32 v20, 0x7f800001
	s_xor_b32 exec_lo, exec_lo, s72
	s_cbranch_execnz .LBB4_1539
.LBB4_505:                              ;   in Loop: Header=BB4_356 Depth=4
	s_or_b32 exec_lo, exec_lo, s72
	s_and_saveexec_b32 s72, s16
	s_cbranch_execz .LBB4_507
.LBB4_506:                              ;   in Loop: Header=BB4_356 Depth=4
	v_and_b32_e32 v20, 7, v21
	v_bfe_u32 v88, v21, 3, 4
	v_lshlrev_b32_e32 v89, 24, v21
	v_ffbh_u32_e32 v78, v20
	v_cmp_eq_u32_e32 vcc_lo, 0, v88
	v_min_u32_e32 v78, 32, v78
	v_subrev_nc_u32_e32 v79, 28, v78
	v_sub_nc_u32_e32 v78, 29, v78
	v_lshlrev_b32_e32 v79, v79, v21
	v_cndmask_b32_e32 v78, v88, v78, vcc_lo
	v_and_b32_e32 v79, 7, v79
	v_lshl_add_u32 v78, v78, 23, 0x3b800000
	v_cndmask_b32_e32 v20, v20, v79, vcc_lo
	v_and_b32_e32 v79, 0x80000000, v89
	v_lshlrev_b32_e32 v20, 20, v20
	v_or3_b32 v20, v79, v78, v20
.LBB4_507:                              ;   in Loop: Header=BB4_356 Depth=4
	s_or_b32 exec_lo, exec_lo, s72
	v_cmp_gt_i16_sdwa s72, v17, v117 src0_sel:BYTE_0 src1_sel:DWORD
	s_mov_b32 s16, 0
	s_and_saveexec_b32 s73, s72
	s_xor_b32 s72, exec_lo, s73
	s_cbranch_execz .LBB4_1540
; %bb.508:                              ;   in Loop: Header=BB4_356 Depth=4
	v_cmp_eq_u16_sdwa s74, v17, v118 src0_sel:BYTE_0 src1_sel:DWORD
	s_mov_b32 s16, -1
	s_and_saveexec_b32 s73, s74
; %bb.509:                              ;   in Loop: Header=BB4_356 Depth=4
	s_xor_b32 s16, exec_lo, -1
; %bb.510:                              ;   in Loop: Header=BB4_356 Depth=4
	s_or_b32 exec_lo, exec_lo, s73
	s_and_b32 s16, s16, exec_lo
	s_or_saveexec_b32 s72, s72
	v_mov_b32_e32 v78, 0x7f800001
	s_xor_b32 exec_lo, exec_lo, s72
	s_cbranch_execnz .LBB4_1541
.LBB4_511:                              ;   in Loop: Header=BB4_356 Depth=4
	s_or_b32 exec_lo, exec_lo, s72
	s_and_saveexec_b32 s72, s16
	s_cbranch_execz .LBB4_513
.LBB4_512:                              ;   in Loop: Header=BB4_356 Depth=4
	v_and_b32_e32 v78, 7, v17
	v_bfe_u32 v89, v17, 3, 4
	v_lshlrev_b32_e32 v90, 24, v17
	v_ffbh_u32_e32 v79, v78
	v_cmp_eq_u32_e32 vcc_lo, 0, v89
	v_min_u32_e32 v79, 32, v79
	v_subrev_nc_u32_e32 v88, 28, v79
	v_sub_nc_u32_e32 v79, 29, v79
	v_lshlrev_b32_e32 v88, v88, v17
	v_cndmask_b32_e32 v79, v89, v79, vcc_lo
	v_and_b32_e32 v88, 7, v88
	v_lshl_add_u32 v79, v79, 23, 0x3b800000
	v_cndmask_b32_e32 v78, v78, v88, vcc_lo
	v_and_b32_e32 v88, 0x80000000, v90
	v_lshlrev_b32_e32 v78, 20, v78
	v_or3_b32 v78, v88, v79, v78
.LBB4_513:                              ;   in Loop: Header=BB4_356 Depth=4
	s_or_b32 exec_lo, exec_lo, s72
	v_max_f32_e32 v78, v78, v78
	v_max_f32_e32 v20, v20, v20
	s_mov_b32 s16, 0
	v_max_f32_e32 v78, v20, v78
.LBB4_514:                              ;   in Loop: Header=BB4_356 Depth=4
	s_and_b32 vcc_lo, exec_lo, s16
	s_cbranch_vccz .LBB4_528
; %bb.515:                              ;   in Loop: Header=BB4_356 Depth=4
	v_cmp_gt_i16_sdwa s72, v21, v117 src0_sel:BYTE_0 src1_sel:DWORD
	s_mov_b32 s16, 0
	s_and_saveexec_b32 s73, s72
	s_xor_b32 s72, exec_lo, s73
	s_cbranch_execz .LBB4_1542
; %bb.516:                              ;   in Loop: Header=BB4_356 Depth=4
	v_cmp_eq_u16_sdwa s74, v21, v118 src0_sel:BYTE_0 src1_sel:DWORD
	s_mov_b32 s16, -1
	s_and_saveexec_b32 s73, s74
; %bb.517:                              ;   in Loop: Header=BB4_356 Depth=4
	s_xor_b32 s16, exec_lo, -1
; %bb.518:                              ;   in Loop: Header=BB4_356 Depth=4
	s_or_b32 exec_lo, exec_lo, s73
	s_and_b32 s16, s16, exec_lo
	s_or_saveexec_b32 s72, s72
	v_mov_b32_e32 v20, 0x7f800001
	s_xor_b32 exec_lo, exec_lo, s72
	s_cbranch_execnz .LBB4_1543
.LBB4_519:                              ;   in Loop: Header=BB4_356 Depth=4
	s_or_b32 exec_lo, exec_lo, s72
	s_and_saveexec_b32 s72, s16
	s_cbranch_execz .LBB4_521
.LBB4_520:                              ;   in Loop: Header=BB4_356 Depth=4
	v_and_b32_e32 v20, 7, v21
	v_bfe_u32 v88, v21, 3, 4
	v_lshlrev_b32_e32 v89, 24, v21
	v_ffbh_u32_e32 v78, v20
	v_cmp_eq_u32_e32 vcc_lo, 0, v88
	v_min_u32_e32 v78, 32, v78
	v_subrev_nc_u32_e32 v79, 28, v78
	v_sub_nc_u32_e32 v78, 29, v78
	v_lshlrev_b32_e32 v79, v79, v21
	v_cndmask_b32_e32 v78, v88, v78, vcc_lo
	v_and_b32_e32 v79, 7, v79
	v_lshl_add_u32 v78, v78, 23, 0x3b800000
	v_cndmask_b32_e32 v20, v20, v79, vcc_lo
	v_and_b32_e32 v79, 0x80000000, v89
	v_lshlrev_b32_e32 v20, 20, v20
	v_or3_b32 v20, v79, v78, v20
.LBB4_521:                              ;   in Loop: Header=BB4_356 Depth=4
	s_or_b32 exec_lo, exec_lo, s72
	v_cmp_gt_i16_sdwa s72, v17, v117 src0_sel:BYTE_0 src1_sel:DWORD
	s_mov_b32 s16, 0
	s_and_saveexec_b32 s73, s72
	s_xor_b32 s72, exec_lo, s73
	s_cbranch_execz .LBB4_1544
; %bb.522:                              ;   in Loop: Header=BB4_356 Depth=4
	v_cmp_eq_u16_sdwa s74, v17, v118 src0_sel:BYTE_0 src1_sel:DWORD
	s_mov_b32 s16, -1
	s_and_saveexec_b32 s73, s74
; %bb.523:                              ;   in Loop: Header=BB4_356 Depth=4
	s_xor_b32 s16, exec_lo, -1
; %bb.524:                              ;   in Loop: Header=BB4_356 Depth=4
	s_or_b32 exec_lo, exec_lo, s73
	s_and_b32 s16, s16, exec_lo
	s_or_saveexec_b32 s72, s72
	v_mov_b32_e32 v78, 0x7f800001
	s_xor_b32 exec_lo, exec_lo, s72
	s_cbranch_execnz .LBB4_1545
.LBB4_525:                              ;   in Loop: Header=BB4_356 Depth=4
	s_or_b32 exec_lo, exec_lo, s72
	s_and_saveexec_b32 s72, s16
	s_cbranch_execz .LBB4_527
.LBB4_526:                              ;   in Loop: Header=BB4_356 Depth=4
	v_and_b32_e32 v78, 7, v17
	v_bfe_u32 v89, v17, 3, 4
	v_lshlrev_b32_e32 v90, 24, v17
	v_ffbh_u32_e32 v79, v78
	v_cmp_eq_u32_e32 vcc_lo, 0, v89
	v_min_u32_e32 v79, 32, v79
	v_subrev_nc_u32_e32 v88, 28, v79
	v_sub_nc_u32_e32 v79, 29, v79
	v_lshlrev_b32_e32 v88, v88, v17
	v_cndmask_b32_e32 v79, v89, v79, vcc_lo
	v_and_b32_e32 v88, 7, v88
	v_lshl_add_u32 v79, v79, 23, 0x3b800000
	v_cndmask_b32_e32 v78, v78, v88, vcc_lo
	v_and_b32_e32 v88, 0x80000000, v90
	v_lshlrev_b32_e32 v78, 20, v78
	v_or3_b32 v78, v88, v79, v78
.LBB4_527:                              ;   in Loop: Header=BB4_356 Depth=4
	s_or_b32 exec_lo, exec_lo, s72
	v_max_f32_e32 v78, v78, v78
	v_max_f32_e32 v20, v20, v20
	v_min_f32_e32 v78, v20, v78
.LBB4_528:                              ;   in Loop: Header=BB4_356 Depth=4
	v_and_b32_e32 v20, 0x7f800000, v78
	v_cmp_ne_u32_e32 vcc_lo, 0x7f800000, v20
	v_mov_b32_e32 v20, 0x80
	s_and_saveexec_b32 s72, vcc_lo
	s_cbranch_execz .LBB4_536
; %bb.529:                              ;   in Loop: Header=BB4_356 Depth=4
	v_mov_b32_e32 v20, 0
	s_mov_b32 s73, exec_lo
	v_cmpx_ne_u32_e32 0, v78
	s_cbranch_execz .LBB4_535
; %bb.530:                              ;   in Loop: Header=BB4_356 Depth=4
	v_bfe_u32 v20, v78, 23, 8
	v_and_b32_e32 v79, 0x7fffff, v78
	v_sub_nc_u32_e32 v88, 0x78, v20
	v_cmp_gt_u32_e32 vcc_lo, 0x79, v20
	v_or_b32_e32 v89, 0x800000, v79
	v_cndmask_b32_e32 v88, 0, v88, vcc_lo
	v_cmp_eq_u32_e32 vcc_lo, 0, v20
	v_add_nc_u32_e32 v20, 0xffffff89, v20
	v_cndmask_b32_e64 v88, v88, 0x77, vcc_lo
	v_cndmask_b32_e32 v79, v89, v79, vcc_lo
	v_cndmask_b32_e64 v20, v20, 0xffffff8a, vcc_lo
	v_lshl_add_u32 v89, 0x100000, v88, -1
	v_lshrrev_b32_e32 v90, v88, v79
	v_lshlrev_b32_e64 v92, v88, 0x80000
	v_add_nc_u32_e32 v88, v88, v20
	v_and_b32_e32 v79, v89, v79
	v_bfe_u32 v91, v90, 20, 1
	v_cmp_eq_u32_e64 s16, v79, v92
	v_add_nc_u32_e32 v89, -1, v91
	v_cndmask_b32_e64 v79, 0, v89, s16
	v_lshrrev_b32_e32 v89, 23, v90
	s_mov_b32 s16, exec_lo
	v_add_nc_u32_e32 v79, v79, v90
	v_xor_b32_e32 v89, 1, v89
	v_and_b32_e32 v20, 0xfffff, v79
	v_add_nc_u32_e32 v79, v20, v90
                                        ; implicit-def: $vgpr20
	v_cmpx_ne_u32_e64 v88, v89
	s_xor_b32 s16, exec_lo, s16
; %bb.531:                              ;   in Loop: Header=BB4_356 Depth=4
	v_cmp_lt_u32_e32 vcc_lo, 0xffffff, v79
	v_sub_nc_u32_e32 v20, v88, v89
	v_cndmask_b32_e64 v88, 0, 1, vcc_lo
	v_add_co_ci_u32_e64 v20, null, 0, v20, vcc_lo
	v_lshrrev_b32_e32 v79, v88, v79
; %bb.532:                              ;   in Loop: Header=BB4_356 Depth=4
	s_andn2_saveexec_b32 s16, s16
; %bb.533:                              ;   in Loop: Header=BB4_356 Depth=4
	v_bfe_u32 v20, v79, 23, 1
; %bb.534:                              ;   in Loop: Header=BB4_356 Depth=4
	s_or_b32 exec_lo, exec_lo, s16
	v_lshrrev_b32_e32 v79, 20, v79
	v_min_i32_e32 v88, 15, v20
	v_cmp_gt_i32_e32 vcc_lo, 16, v20
	v_and_b32_sdwa v78, v78, v118 dst_sel:DWORD dst_unused:UNUSED_PAD src0_sel:BYTE_3 src1_sel:DWORD
	v_lshlrev_b32_e32 v88, 3, v88
	v_cndmask_b32_e32 v79, 7, v79, vcc_lo
	v_and_b32_e32 v88, 0xf8, v88
	v_and_b32_e32 v89, 7, v79
	v_or_b32_e32 v20, v20, v79
	v_or3_b32 v78, v88, v78, v89
	v_cmp_ne_u32_e32 vcc_lo, 0, v20
	v_cndmask_b32_e32 v20, 0, v78, vcc_lo
.LBB4_535:                              ;   in Loop: Header=BB4_356 Depth=4
	s_or_b32 exec_lo, exec_lo, s73
.LBB4_536:                              ;   in Loop: Header=BB4_356 Depth=4
	s_or_b32 exec_lo, exec_lo, s72
	v_cmp_gt_i16_sdwa s72, v21, v117 src0_sel:BYTE_1 src1_sel:DWORD
	s_and_b32 vcc_lo, exec_lo, s63
	s_mov_b32 s16, -1
                                        ; implicit-def: $vgpr79
	s_cbranch_vccz .LBB4_550
; %bb.537:                              ;   in Loop: Header=BB4_356 Depth=4
	s_mov_b32 s16, 0
	s_and_saveexec_b32 s73, s72
	s_xor_b32 s72, exec_lo, s73
	s_cbranch_execz .LBB4_1546
; %bb.538:                              ;   in Loop: Header=BB4_356 Depth=4
	v_cmp_eq_u16_sdwa s74, v21, v118 src0_sel:BYTE_1 src1_sel:DWORD
	s_mov_b32 s16, -1
	s_and_saveexec_b32 s73, s74
; %bb.539:                              ;   in Loop: Header=BB4_356 Depth=4
	s_xor_b32 s16, exec_lo, -1
; %bb.540:                              ;   in Loop: Header=BB4_356 Depth=4
	s_or_b32 exec_lo, exec_lo, s73
	s_and_b32 s16, s16, exec_lo
	s_or_saveexec_b32 s72, s72
	v_mov_b32_e32 v78, 0x7f800001
	s_xor_b32 exec_lo, exec_lo, s72
	s_cbranch_execnz .LBB4_1547
.LBB4_541:                              ;   in Loop: Header=BB4_356 Depth=4
	s_or_b32 exec_lo, exec_lo, s72
	s_and_saveexec_b32 s72, s16
	s_cbranch_execz .LBB4_543
.LBB4_542:                              ;   in Loop: Header=BB4_356 Depth=4
	v_and_b32_sdwa v78, v119, v21 dst_sel:DWORD dst_unused:UNUSED_PAD src0_sel:DWORD src1_sel:BYTE_1
	v_and_b32_e32 v79, 7, v78
	v_bfe_u32 v90, v78, 3, 4
	v_ffbh_u32_e32 v88, v79
	v_cmp_eq_u32_e32 vcc_lo, 0, v90
	v_min_u32_e32 v88, 32, v88
	v_subrev_nc_u32_e32 v89, 28, v88
	v_sub_nc_u32_e32 v88, 29, v88
	v_lshlrev_b32_e32 v78, v89, v78
	v_lshlrev_b32_e32 v89, 16, v21
	v_cndmask_b32_e32 v88, v90, v88, vcc_lo
	v_and_b32_e32 v78, 7, v78
	v_lshl_add_u32 v88, v88, 23, 0x3b800000
	v_cndmask_b32_e32 v78, v79, v78, vcc_lo
	v_and_b32_e32 v79, 0x80000000, v89
	v_lshlrev_b32_e32 v78, 20, v78
	v_or3_b32 v78, v79, v88, v78
.LBB4_543:                              ;   in Loop: Header=BB4_356 Depth=4
	s_or_b32 exec_lo, exec_lo, s72
	v_cmp_gt_i16_sdwa s72, v17, v117 src0_sel:BYTE_1 src1_sel:DWORD
	s_mov_b32 s16, 0
	s_and_saveexec_b32 s73, s72
	s_xor_b32 s72, exec_lo, s73
	s_cbranch_execz .LBB4_1548
; %bb.544:                              ;   in Loop: Header=BB4_356 Depth=4
	v_cmp_eq_u16_sdwa s74, v17, v118 src0_sel:BYTE_1 src1_sel:DWORD
	s_mov_b32 s16, -1
	s_and_saveexec_b32 s73, s74
; %bb.545:                              ;   in Loop: Header=BB4_356 Depth=4
	s_xor_b32 s16, exec_lo, -1
; %bb.546:                              ;   in Loop: Header=BB4_356 Depth=4
	s_or_b32 exec_lo, exec_lo, s73
	s_and_b32 s16, s16, exec_lo
	s_or_saveexec_b32 s72, s72
	v_mov_b32_e32 v79, 0x7f800001
	s_xor_b32 exec_lo, exec_lo, s72
	s_cbranch_execnz .LBB4_1549
.LBB4_547:                              ;   in Loop: Header=BB4_356 Depth=4
	s_or_b32 exec_lo, exec_lo, s72
	s_and_saveexec_b32 s72, s16
	s_cbranch_execz .LBB4_549
.LBB4_548:                              ;   in Loop: Header=BB4_356 Depth=4
	v_and_b32_sdwa v79, v119, v17 dst_sel:DWORD dst_unused:UNUSED_PAD src0_sel:DWORD src1_sel:BYTE_1
	v_and_b32_e32 v88, 7, v79
	v_bfe_u32 v91, v79, 3, 4
	v_ffbh_u32_e32 v89, v88
	v_cmp_eq_u32_e32 vcc_lo, 0, v91
	v_min_u32_e32 v89, 32, v89
	v_subrev_nc_u32_e32 v90, 28, v89
	v_sub_nc_u32_e32 v89, 29, v89
	v_lshlrev_b32_e32 v79, v90, v79
	v_lshlrev_b32_e32 v90, 16, v17
	v_cndmask_b32_e32 v89, v91, v89, vcc_lo
	v_and_b32_e32 v79, 7, v79
	v_lshl_add_u32 v89, v89, 23, 0x3b800000
	v_cndmask_b32_e32 v79, v88, v79, vcc_lo
	v_and_b32_e32 v88, 0x80000000, v90
	v_lshlrev_b32_e32 v79, 20, v79
	v_or3_b32 v79, v88, v89, v79
.LBB4_549:                              ;   in Loop: Header=BB4_356 Depth=4
	s_or_b32 exec_lo, exec_lo, s72
	v_max_f32_e32 v79, v79, v79
	v_max_f32_e32 v78, v78, v78
	s_mov_b32 s16, 0
	v_max_f32_e32 v79, v78, v79
.LBB4_550:                              ;   in Loop: Header=BB4_356 Depth=4
	s_and_b32 vcc_lo, exec_lo, s16
	s_cbranch_vccz .LBB4_564
; %bb.551:                              ;   in Loop: Header=BB4_356 Depth=4
	v_cmp_gt_i16_sdwa s72, v21, v117 src0_sel:BYTE_1 src1_sel:DWORD
	s_mov_b32 s16, 0
	s_and_saveexec_b32 s73, s72
	s_xor_b32 s72, exec_lo, s73
	s_cbranch_execz .LBB4_1550
; %bb.552:                              ;   in Loop: Header=BB4_356 Depth=4
	v_cmp_eq_u16_sdwa s74, v21, v118 src0_sel:BYTE_1 src1_sel:DWORD
	s_mov_b32 s16, -1
	s_and_saveexec_b32 s73, s74
; %bb.553:                              ;   in Loop: Header=BB4_356 Depth=4
	s_xor_b32 s16, exec_lo, -1
; %bb.554:                              ;   in Loop: Header=BB4_356 Depth=4
	s_or_b32 exec_lo, exec_lo, s73
	s_and_b32 s16, s16, exec_lo
	s_or_saveexec_b32 s72, s72
	v_mov_b32_e32 v78, 0x7f800001
	s_xor_b32 exec_lo, exec_lo, s72
	s_cbranch_execnz .LBB4_1551
.LBB4_555:                              ;   in Loop: Header=BB4_356 Depth=4
	s_or_b32 exec_lo, exec_lo, s72
	s_and_saveexec_b32 s72, s16
	s_cbranch_execz .LBB4_557
.LBB4_556:                              ;   in Loop: Header=BB4_356 Depth=4
	v_and_b32_sdwa v78, v119, v21 dst_sel:DWORD dst_unused:UNUSED_PAD src0_sel:DWORD src1_sel:BYTE_1
	v_and_b32_e32 v79, 7, v78
	v_bfe_u32 v90, v78, 3, 4
	v_ffbh_u32_e32 v88, v79
	v_cmp_eq_u32_e32 vcc_lo, 0, v90
	v_min_u32_e32 v88, 32, v88
	v_subrev_nc_u32_e32 v89, 28, v88
	v_sub_nc_u32_e32 v88, 29, v88
	v_lshlrev_b32_e32 v78, v89, v78
	v_lshlrev_b32_e32 v89, 16, v21
	v_cndmask_b32_e32 v88, v90, v88, vcc_lo
	v_and_b32_e32 v78, 7, v78
	v_lshl_add_u32 v88, v88, 23, 0x3b800000
	v_cndmask_b32_e32 v78, v79, v78, vcc_lo
	v_and_b32_e32 v79, 0x80000000, v89
	v_lshlrev_b32_e32 v78, 20, v78
	v_or3_b32 v78, v79, v88, v78
.LBB4_557:                              ;   in Loop: Header=BB4_356 Depth=4
	s_or_b32 exec_lo, exec_lo, s72
	v_cmp_gt_i16_sdwa s72, v17, v117 src0_sel:BYTE_1 src1_sel:DWORD
	s_mov_b32 s16, 0
	s_and_saveexec_b32 s73, s72
	s_xor_b32 s72, exec_lo, s73
	s_cbranch_execz .LBB4_1552
; %bb.558:                              ;   in Loop: Header=BB4_356 Depth=4
	v_cmp_eq_u16_sdwa s74, v17, v118 src0_sel:BYTE_1 src1_sel:DWORD
	s_mov_b32 s16, -1
	s_and_saveexec_b32 s73, s74
; %bb.559:                              ;   in Loop: Header=BB4_356 Depth=4
	s_xor_b32 s16, exec_lo, -1
; %bb.560:                              ;   in Loop: Header=BB4_356 Depth=4
	s_or_b32 exec_lo, exec_lo, s73
	s_and_b32 s16, s16, exec_lo
	s_or_saveexec_b32 s72, s72
	v_mov_b32_e32 v79, 0x7f800001
	s_xor_b32 exec_lo, exec_lo, s72
	s_cbranch_execnz .LBB4_1553
.LBB4_561:                              ;   in Loop: Header=BB4_356 Depth=4
	s_or_b32 exec_lo, exec_lo, s72
	s_and_saveexec_b32 s72, s16
	s_cbranch_execz .LBB4_563
.LBB4_562:                              ;   in Loop: Header=BB4_356 Depth=4
	v_and_b32_sdwa v79, v119, v17 dst_sel:DWORD dst_unused:UNUSED_PAD src0_sel:DWORD src1_sel:BYTE_1
	v_and_b32_e32 v88, 7, v79
	v_bfe_u32 v91, v79, 3, 4
	v_ffbh_u32_e32 v89, v88
	v_cmp_eq_u32_e32 vcc_lo, 0, v91
	v_min_u32_e32 v89, 32, v89
	v_subrev_nc_u32_e32 v90, 28, v89
	v_sub_nc_u32_e32 v89, 29, v89
	v_lshlrev_b32_e32 v79, v90, v79
	v_lshlrev_b32_e32 v90, 16, v17
	v_cndmask_b32_e32 v89, v91, v89, vcc_lo
	v_and_b32_e32 v79, 7, v79
	v_lshl_add_u32 v89, v89, 23, 0x3b800000
	v_cndmask_b32_e32 v79, v88, v79, vcc_lo
	v_and_b32_e32 v88, 0x80000000, v90
	v_lshlrev_b32_e32 v79, 20, v79
	v_or3_b32 v79, v88, v89, v79
.LBB4_563:                              ;   in Loop: Header=BB4_356 Depth=4
	s_or_b32 exec_lo, exec_lo, s72
	v_max_f32_e32 v79, v79, v79
	v_max_f32_e32 v78, v78, v78
	v_min_f32_e32 v79, v78, v79
.LBB4_564:                              ;   in Loop: Header=BB4_356 Depth=4
	v_and_b32_e32 v78, 0x7f800000, v79
	v_cmp_ne_u32_e32 vcc_lo, 0x7f800000, v78
	v_mov_b32_e32 v78, 0x8000
	s_and_saveexec_b32 s72, vcc_lo
	s_cbranch_execz .LBB4_572
; %bb.565:                              ;   in Loop: Header=BB4_356 Depth=4
	v_mov_b32_e32 v78, 0
	s_mov_b32 s73, exec_lo
	v_cmpx_ne_u32_e32 0, v79
	s_cbranch_execz .LBB4_571
; %bb.566:                              ;   in Loop: Header=BB4_356 Depth=4
	v_bfe_u32 v78, v79, 23, 8
	v_and_b32_e32 v88, 0x7fffff, v79
	v_sub_nc_u32_e32 v89, 0x78, v78
	v_cmp_gt_u32_e32 vcc_lo, 0x79, v78
	v_or_b32_e32 v90, 0x800000, v88
	v_cndmask_b32_e32 v89, 0, v89, vcc_lo
	v_cmp_eq_u32_e32 vcc_lo, 0, v78
	v_add_nc_u32_e32 v78, 0xffffff89, v78
	v_cndmask_b32_e64 v89, v89, 0x77, vcc_lo
	v_cndmask_b32_e32 v88, v90, v88, vcc_lo
	v_cndmask_b32_e64 v78, v78, 0xffffff8a, vcc_lo
	v_lshl_add_u32 v90, 0x100000, v89, -1
	v_lshrrev_b32_e32 v91, v89, v88
	v_lshlrev_b32_e64 v93, v89, 0x80000
	v_add_nc_u32_e32 v89, v89, v78
	v_and_b32_e32 v88, v90, v88
	v_bfe_u32 v92, v91, 20, 1
	v_cmp_eq_u32_e64 s16, v88, v93
	v_add_nc_u32_e32 v90, -1, v92
	v_cndmask_b32_e64 v88, 0, v90, s16
	v_lshrrev_b32_e32 v90, 23, v91
	s_mov_b32 s16, exec_lo
	v_add_nc_u32_e32 v88, v88, v91
	v_xor_b32_e32 v90, 1, v90
	v_and_b32_e32 v78, 0xfffff, v88
	v_add_nc_u32_e32 v88, v78, v91
                                        ; implicit-def: $vgpr78
	v_cmpx_ne_u32_e64 v89, v90
	s_xor_b32 s16, exec_lo, s16
; %bb.567:                              ;   in Loop: Header=BB4_356 Depth=4
	v_cmp_lt_u32_e32 vcc_lo, 0xffffff, v88
	v_sub_nc_u32_e32 v78, v89, v90
	v_cndmask_b32_e64 v89, 0, 1, vcc_lo
	v_add_co_ci_u32_e64 v78, null, 0, v78, vcc_lo
	v_lshrrev_b32_e32 v88, v89, v88
; %bb.568:                              ;   in Loop: Header=BB4_356 Depth=4
	s_andn2_saveexec_b32 s16, s16
; %bb.569:                              ;   in Loop: Header=BB4_356 Depth=4
	v_bfe_u32 v78, v88, 23, 1
; %bb.570:                              ;   in Loop: Header=BB4_356 Depth=4
	s_or_b32 exec_lo, exec_lo, s16
	v_lshrrev_b32_e32 v88, 20, v88
	v_min_i32_e32 v89, 15, v78
	v_cmp_gt_i32_e32 vcc_lo, 16, v78
	v_and_b32_sdwa v79, v79, v118 dst_sel:DWORD dst_unused:UNUSED_PAD src0_sel:BYTE_3 src1_sel:DWORD
	v_lshlrev_b32_e32 v89, 3, v89
	v_cndmask_b32_e32 v88, 7, v88, vcc_lo
	v_and_b32_e32 v89, 0xf8, v89
	v_and_b32_e32 v90, 7, v88
	v_or_b32_e32 v78, v78, v88
	v_or3_b32 v79, v79, v89, v90
	v_cmp_ne_u32_e32 vcc_lo, 0, v78
	v_lshlrev_b32_e32 v79, 8, v79
	v_cndmask_b32_e32 v78, 0, v79, vcc_lo
.LBB4_571:                              ;   in Loop: Header=BB4_356 Depth=4
	s_or_b32 exec_lo, exec_lo, s73
.LBB4_572:                              ;   in Loop: Header=BB4_356 Depth=4
	s_or_b32 exec_lo, exec_lo, s72
	v_and_b32_sdwa v79, v21, v40 dst_sel:DWORD dst_unused:UNUSED_PAD src0_sel:WORD_1 src1_sel:DWORD
	s_and_b32 vcc_lo, exec_lo, s63
	s_mov_b32 s72, -1
                                        ; implicit-def: $vgpr88
	v_cmp_lt_i16_e64 s16, 0x7f, v79
	s_cbranch_vccz .LBB4_586
; %bb.573:                              ;   in Loop: Header=BB4_356 Depth=4
	s_mov_b32 s72, 0
	s_and_saveexec_b32 s73, s16
	s_xor_b32 s16, exec_lo, s73
	s_cbranch_execz .LBB4_1554
; %bb.574:                              ;   in Loop: Header=BB4_356 Depth=4
	s_mov_b32 s72, -1
	s_mov_b32 s73, exec_lo
	v_cmpx_eq_u16_e32 0x80, v79
; %bb.575:                              ;   in Loop: Header=BB4_356 Depth=4
	s_xor_b32 s72, exec_lo, -1
; %bb.576:                              ;   in Loop: Header=BB4_356 Depth=4
	s_or_b32 exec_lo, exec_lo, s73
	s_and_b32 s72, s72, exec_lo
	s_or_saveexec_b32 s16, s16
	v_mov_b32_e32 v88, 0x7f800001
	s_xor_b32 exec_lo, exec_lo, s16
	s_cbranch_execnz .LBB4_1555
.LBB4_577:                              ;   in Loop: Header=BB4_356 Depth=4
	s_or_b32 exec_lo, exec_lo, s16
	s_and_saveexec_b32 s16, s72
	s_cbranch_execz .LBB4_579
.LBB4_578:                              ;   in Loop: Header=BB4_356 Depth=4
	v_bfe_u32 v88, v21, 16, 3
	v_bfe_u32 v91, v21, 19, 4
	v_lshlrev_b32_sdwa v92, v41, v21 dst_sel:DWORD dst_unused:UNUSED_PAD src0_sel:DWORD src1_sel:WORD_1
	v_ffbh_u32_e32 v89, v88
	v_cmp_eq_u32_e32 vcc_lo, 0, v91
	v_min_u32_e32 v89, 32, v89
	v_subrev_nc_u32_e32 v90, 28, v89
	v_sub_nc_u32_e32 v89, 29, v89
	v_lshlrev_b32_sdwa v90, v90, v21 dst_sel:DWORD dst_unused:UNUSED_PAD src0_sel:DWORD src1_sel:WORD_1
	v_cndmask_b32_e32 v89, v91, v89, vcc_lo
	v_and_b32_e32 v90, 7, v90
	v_lshl_add_u32 v89, v89, 23, 0x3b800000
	v_cndmask_b32_e32 v88, v88, v90, vcc_lo
	v_and_b32_e32 v90, 0x80000000, v92
	v_lshlrev_b32_e32 v88, 20, v88
	v_or3_b32 v88, v90, v89, v88
.LBB4_579:                              ;   in Loop: Header=BB4_356 Depth=4
	s_or_b32 exec_lo, exec_lo, s16
	v_and_b32_sdwa v90, v17, v40 dst_sel:DWORD dst_unused:UNUSED_PAD src0_sel:WORD_1 src1_sel:DWORD
	s_mov_b32 s16, 0
	s_mov_b32 s72, exec_lo
	v_cmpx_lt_i16_e32 0x7f, v90
	s_xor_b32 s72, exec_lo, s72
	s_cbranch_execz .LBB4_1556
; %bb.580:                              ;   in Loop: Header=BB4_356 Depth=4
	s_mov_b32 s16, -1
	s_mov_b32 s73, exec_lo
	v_cmpx_eq_u16_e32 0x80, v90
; %bb.581:                              ;   in Loop: Header=BB4_356 Depth=4
	s_xor_b32 s16, exec_lo, -1
; %bb.582:                              ;   in Loop: Header=BB4_356 Depth=4
	s_or_b32 exec_lo, exec_lo, s73
	s_and_b32 s16, s16, exec_lo
                                        ; implicit-def: $vgpr90
	s_or_saveexec_b32 s72, s72
	v_mov_b32_e32 v89, 0x7f800001
	s_xor_b32 exec_lo, exec_lo, s72
	s_cbranch_execnz .LBB4_1557
.LBB4_583:                              ;   in Loop: Header=BB4_356 Depth=4
	s_or_b32 exec_lo, exec_lo, s72
	s_and_saveexec_b32 s72, s16
	s_cbranch_execz .LBB4_585
.LBB4_584:                              ;   in Loop: Header=BB4_356 Depth=4
	v_bfe_u32 v89, v17, 16, 3
	v_bfe_u32 v92, v17, 19, 4
	v_lshlrev_b32_sdwa v93, v41, v17 dst_sel:DWORD dst_unused:UNUSED_PAD src0_sel:DWORD src1_sel:WORD_1
	v_ffbh_u32_e32 v90, v89
	v_cmp_eq_u32_e32 vcc_lo, 0, v92
	v_min_u32_e32 v90, 32, v90
	v_subrev_nc_u32_e32 v91, 28, v90
	v_sub_nc_u32_e32 v90, 29, v90
	v_lshlrev_b32_sdwa v91, v91, v17 dst_sel:DWORD dst_unused:UNUSED_PAD src0_sel:DWORD src1_sel:WORD_1
	v_cndmask_b32_e32 v90, v92, v90, vcc_lo
	v_and_b32_e32 v91, 7, v91
	v_lshl_add_u32 v90, v90, 23, 0x3b800000
	v_cndmask_b32_e32 v89, v89, v91, vcc_lo
	v_and_b32_e32 v91, 0x80000000, v93
	v_lshlrev_b32_e32 v89, 20, v89
	v_or3_b32 v89, v91, v90, v89
.LBB4_585:                              ;   in Loop: Header=BB4_356 Depth=4
	s_or_b32 exec_lo, exec_lo, s72
	v_max_f32_e32 v89, v89, v89
	v_max_f32_e32 v88, v88, v88
	s_mov_b32 s72, 0
	v_max_f32_e32 v88, v88, v89
.LBB4_586:                              ;   in Loop: Header=BB4_356 Depth=4
	s_and_b32 vcc_lo, exec_lo, s72
	s_cbranch_vccz .LBB4_600
; %bb.587:                              ;   in Loop: Header=BB4_356 Depth=4
	s_mov_b32 s16, 0
	s_mov_b32 s72, exec_lo
	v_cmpx_lt_i16_e32 0x7f, v79
	s_xor_b32 s72, exec_lo, s72
	s_cbranch_execz .LBB4_1558
; %bb.588:                              ;   in Loop: Header=BB4_356 Depth=4
	s_mov_b32 s16, -1
	s_mov_b32 s73, exec_lo
	v_cmpx_eq_u16_e32 0x80, v79
; %bb.589:                              ;   in Loop: Header=BB4_356 Depth=4
	s_xor_b32 s16, exec_lo, -1
; %bb.590:                              ;   in Loop: Header=BB4_356 Depth=4
	s_or_b32 exec_lo, exec_lo, s73
	s_and_b32 s16, s16, exec_lo
                                        ; implicit-def: $vgpr79
	s_or_saveexec_b32 s72, s72
	v_mov_b32_e32 v88, 0x7f800001
	s_xor_b32 exec_lo, exec_lo, s72
	s_cbranch_execnz .LBB4_1559
.LBB4_591:                              ;   in Loop: Header=BB4_356 Depth=4
	s_or_b32 exec_lo, exec_lo, s72
	s_and_saveexec_b32 s72, s16
	s_cbranch_execz .LBB4_593
.LBB4_592:                              ;   in Loop: Header=BB4_356 Depth=4
	v_bfe_u32 v79, v21, 16, 3
	v_bfe_u32 v90, v21, 19, 4
	v_lshlrev_b32_sdwa v91, v41, v21 dst_sel:DWORD dst_unused:UNUSED_PAD src0_sel:DWORD src1_sel:WORD_1
	v_ffbh_u32_e32 v88, v79
	v_cmp_eq_u32_e32 vcc_lo, 0, v90
	v_min_u32_e32 v88, 32, v88
	v_subrev_nc_u32_e32 v89, 28, v88
	v_sub_nc_u32_e32 v88, 29, v88
	v_lshlrev_b32_sdwa v89, v89, v21 dst_sel:DWORD dst_unused:UNUSED_PAD src0_sel:DWORD src1_sel:WORD_1
	v_cndmask_b32_e32 v88, v90, v88, vcc_lo
	v_and_b32_e32 v89, 7, v89
	v_lshl_add_u32 v88, v88, 23, 0x3b800000
	v_cndmask_b32_e32 v79, v79, v89, vcc_lo
	v_and_b32_e32 v89, 0x80000000, v91
	v_lshlrev_b32_e32 v79, 20, v79
	v_or3_b32 v88, v89, v88, v79
.LBB4_593:                              ;   in Loop: Header=BB4_356 Depth=4
	s_or_b32 exec_lo, exec_lo, s72
	v_and_b32_sdwa v89, v17, v40 dst_sel:DWORD dst_unused:UNUSED_PAD src0_sel:WORD_1 src1_sel:DWORD
	s_mov_b32 s16, 0
	s_mov_b32 s72, exec_lo
	v_cmpx_lt_i16_e32 0x7f, v89
	s_xor_b32 s72, exec_lo, s72
	s_cbranch_execz .LBB4_1560
; %bb.594:                              ;   in Loop: Header=BB4_356 Depth=4
	s_mov_b32 s16, -1
	s_mov_b32 s73, exec_lo
	v_cmpx_eq_u16_e32 0x80, v89
; %bb.595:                              ;   in Loop: Header=BB4_356 Depth=4
	s_xor_b32 s16, exec_lo, -1
; %bb.596:                              ;   in Loop: Header=BB4_356 Depth=4
	s_or_b32 exec_lo, exec_lo, s73
	s_and_b32 s16, s16, exec_lo
                                        ; implicit-def: $vgpr89
	s_or_saveexec_b32 s72, s72
	v_mov_b32_e32 v79, 0x7f800001
	s_xor_b32 exec_lo, exec_lo, s72
	s_cbranch_execnz .LBB4_1561
.LBB4_597:                              ;   in Loop: Header=BB4_356 Depth=4
	s_or_b32 exec_lo, exec_lo, s72
	s_and_saveexec_b32 s72, s16
	s_cbranch_execz .LBB4_599
.LBB4_598:                              ;   in Loop: Header=BB4_356 Depth=4
	v_bfe_u32 v79, v17, 16, 3
	v_bfe_u32 v91, v17, 19, 4
	v_lshlrev_b32_sdwa v92, v41, v17 dst_sel:DWORD dst_unused:UNUSED_PAD src0_sel:DWORD src1_sel:WORD_1
	v_ffbh_u32_e32 v89, v79
	v_cmp_eq_u32_e32 vcc_lo, 0, v91
	v_min_u32_e32 v89, 32, v89
	v_subrev_nc_u32_e32 v90, 28, v89
	v_sub_nc_u32_e32 v89, 29, v89
	v_lshlrev_b32_sdwa v90, v90, v17 dst_sel:DWORD dst_unused:UNUSED_PAD src0_sel:DWORD src1_sel:WORD_1
	v_cndmask_b32_e32 v89, v91, v89, vcc_lo
	v_and_b32_e32 v90, 7, v90
	v_lshl_add_u32 v89, v89, 23, 0x3b800000
	v_cndmask_b32_e32 v79, v79, v90, vcc_lo
	v_and_b32_e32 v90, 0x80000000, v92
	v_lshlrev_b32_e32 v79, 20, v79
	v_or3_b32 v79, v90, v89, v79
.LBB4_599:                              ;   in Loop: Header=BB4_356 Depth=4
	s_or_b32 exec_lo, exec_lo, s72
	v_max_f32_e32 v79, v79, v79
	v_max_f32_e32 v88, v88, v88
	v_min_f32_e32 v88, v88, v79
.LBB4_600:                              ;   in Loop: Header=BB4_356 Depth=4
	v_and_b32_e32 v79, 0x7f800000, v88
	v_cmp_ne_u32_e32 vcc_lo, 0x7f800000, v79
	v_mov_b32_e32 v79, 0x80
	s_and_saveexec_b32 s72, vcc_lo
	s_cbranch_execz .LBB4_608
; %bb.601:                              ;   in Loop: Header=BB4_356 Depth=4
	v_mov_b32_e32 v79, 0
	s_mov_b32 s73, exec_lo
	v_cmpx_ne_u32_e32 0, v88
	s_cbranch_execz .LBB4_607
; %bb.602:                              ;   in Loop: Header=BB4_356 Depth=4
	v_bfe_u32 v79, v88, 23, 8
	v_and_b32_e32 v89, 0x7fffff, v88
	v_sub_nc_u32_e32 v90, 0x78, v79
	v_cmp_gt_u32_e32 vcc_lo, 0x79, v79
	v_or_b32_e32 v91, 0x800000, v89
	v_cndmask_b32_e32 v90, 0, v90, vcc_lo
	v_cmp_eq_u32_e32 vcc_lo, 0, v79
	v_add_nc_u32_e32 v79, 0xffffff89, v79
	v_cndmask_b32_e64 v90, v90, 0x77, vcc_lo
	v_cndmask_b32_e32 v89, v91, v89, vcc_lo
	v_cndmask_b32_e64 v79, v79, 0xffffff8a, vcc_lo
	v_lshl_add_u32 v91, 0x100000, v90, -1
	v_lshrrev_b32_e32 v92, v90, v89
	v_lshlrev_b32_e64 v94, v90, 0x80000
	v_add_nc_u32_e32 v90, v90, v79
	v_and_b32_e32 v89, v91, v89
	v_bfe_u32 v93, v92, 20, 1
	v_cmp_eq_u32_e64 s16, v89, v94
	v_add_nc_u32_e32 v91, -1, v93
	v_cndmask_b32_e64 v89, 0, v91, s16
	v_lshrrev_b32_e32 v91, 23, v92
	s_mov_b32 s16, exec_lo
	v_add_nc_u32_e32 v89, v89, v92
	v_xor_b32_e32 v91, 1, v91
	v_and_b32_e32 v79, 0xfffff, v89
	v_add_nc_u32_e32 v89, v79, v92
                                        ; implicit-def: $vgpr79
	v_cmpx_ne_u32_e64 v90, v91
	s_xor_b32 s16, exec_lo, s16
; %bb.603:                              ;   in Loop: Header=BB4_356 Depth=4
	v_cmp_lt_u32_e32 vcc_lo, 0xffffff, v89
	v_sub_nc_u32_e32 v79, v90, v91
	v_cndmask_b32_e64 v90, 0, 1, vcc_lo
	v_add_co_ci_u32_e64 v79, null, 0, v79, vcc_lo
	v_lshrrev_b32_e32 v89, v90, v89
; %bb.604:                              ;   in Loop: Header=BB4_356 Depth=4
	s_andn2_saveexec_b32 s16, s16
; %bb.605:                              ;   in Loop: Header=BB4_356 Depth=4
	v_bfe_u32 v79, v89, 23, 1
; %bb.606:                              ;   in Loop: Header=BB4_356 Depth=4
	s_or_b32 exec_lo, exec_lo, s16
	v_lshrrev_b32_e32 v89, 20, v89
	v_min_i32_e32 v90, 15, v79
	v_cmp_gt_i32_e32 vcc_lo, 16, v79
	v_and_b32_sdwa v88, v88, v118 dst_sel:DWORD dst_unused:UNUSED_PAD src0_sel:BYTE_3 src1_sel:DWORD
	v_lshlrev_b32_e32 v90, 3, v90
	v_cndmask_b32_e32 v89, 7, v89, vcc_lo
	v_and_b32_e32 v90, 0xf8, v90
	v_and_b32_e32 v91, 7, v89
	v_or_b32_e32 v79, v79, v89
	v_or3_b32 v88, v90, v88, v91
	v_cmp_ne_u32_e32 vcc_lo, 0, v79
	v_cndmask_b32_e32 v79, 0, v88, vcc_lo
.LBB4_607:                              ;   in Loop: Header=BB4_356 Depth=4
	s_or_b32 exec_lo, exec_lo, s73
.LBB4_608:                              ;   in Loop: Header=BB4_356 Depth=4
	s_or_b32 exec_lo, exec_lo, s72
	v_cmp_gt_i16_sdwa s72, v21, v117 src0_sel:BYTE_3 src1_sel:DWORD
	s_and_b32 vcc_lo, exec_lo, s63
	s_mov_b32 s16, -1
                                        ; implicit-def: $vgpr88
	s_cbranch_vccz .LBB4_622
; %bb.609:                              ;   in Loop: Header=BB4_356 Depth=4
	s_mov_b32 s16, 0
	s_and_saveexec_b32 s73, s72
	s_xor_b32 s72, exec_lo, s73
	s_cbranch_execz .LBB4_1562
; %bb.610:                              ;   in Loop: Header=BB4_356 Depth=4
	v_cmp_eq_u16_sdwa s74, v21, v118 src0_sel:BYTE_3 src1_sel:DWORD
	s_mov_b32 s16, -1
	s_and_saveexec_b32 s73, s74
; %bb.611:                              ;   in Loop: Header=BB4_356 Depth=4
	s_xor_b32 s16, exec_lo, -1
; %bb.612:                              ;   in Loop: Header=BB4_356 Depth=4
	s_or_b32 exec_lo, exec_lo, s73
	s_and_b32 s16, s16, exec_lo
	s_or_saveexec_b32 s72, s72
	v_mov_b32_e32 v88, 0x7f800001
	s_xor_b32 exec_lo, exec_lo, s72
	s_cbranch_execnz .LBB4_1563
.LBB4_613:                              ;   in Loop: Header=BB4_356 Depth=4
	s_or_b32 exec_lo, exec_lo, s72
	s_and_saveexec_b32 s72, s16
	s_cbranch_execz .LBB4_615
.LBB4_614:                              ;   in Loop: Header=BB4_356 Depth=4
	v_bfe_u32 v88, v21, 24, 3
	v_bfe_u32 v91, v21, 27, 4
	v_ffbh_u32_e32 v89, v88
	v_cmp_eq_u32_e32 vcc_lo, 0, v91
	v_min_u32_e32 v89, 32, v89
	v_subrev_nc_u32_e32 v90, 28, v89
	v_sub_nc_u32_e32 v89, 29, v89
	v_lshlrev_b32_sdwa v90, v90, v21 dst_sel:DWORD dst_unused:UNUSED_PAD src0_sel:DWORD src1_sel:BYTE_3
	v_cndmask_b32_e32 v89, v91, v89, vcc_lo
	v_and_b32_e32 v90, 7, v90
	v_lshl_add_u32 v89, v89, 23, 0x3b800000
	v_cndmask_b32_e32 v88, v88, v90, vcc_lo
	v_and_b32_e32 v90, 0x80000000, v21
	v_lshlrev_b32_e32 v88, 20, v88
	v_or3_b32 v88, v90, v89, v88
.LBB4_615:                              ;   in Loop: Header=BB4_356 Depth=4
	s_or_b32 exec_lo, exec_lo, s72
	v_cmp_gt_i16_sdwa s72, v17, v117 src0_sel:BYTE_3 src1_sel:DWORD
	s_mov_b32 s16, 0
	s_and_saveexec_b32 s73, s72
	s_xor_b32 s72, exec_lo, s73
	s_cbranch_execz .LBB4_1564
; %bb.616:                              ;   in Loop: Header=BB4_356 Depth=4
	v_cmp_eq_u16_sdwa s74, v17, v118 src0_sel:BYTE_3 src1_sel:DWORD
	s_mov_b32 s16, -1
	s_and_saveexec_b32 s73, s74
; %bb.617:                              ;   in Loop: Header=BB4_356 Depth=4
	s_xor_b32 s16, exec_lo, -1
; %bb.618:                              ;   in Loop: Header=BB4_356 Depth=4
	s_or_b32 exec_lo, exec_lo, s73
	s_and_b32 s16, s16, exec_lo
	s_or_saveexec_b32 s72, s72
	v_mov_b32_e32 v89, 0x7f800001
	s_xor_b32 exec_lo, exec_lo, s72
	s_cbranch_execnz .LBB4_1565
.LBB4_619:                              ;   in Loop: Header=BB4_356 Depth=4
	s_or_b32 exec_lo, exec_lo, s72
	s_and_saveexec_b32 s72, s16
	s_cbranch_execz .LBB4_621
.LBB4_620:                              ;   in Loop: Header=BB4_356 Depth=4
	v_bfe_u32 v89, v17, 24, 3
	v_bfe_u32 v92, v17, 27, 4
	v_ffbh_u32_e32 v90, v89
	v_cmp_eq_u32_e32 vcc_lo, 0, v92
	v_min_u32_e32 v90, 32, v90
	v_subrev_nc_u32_e32 v91, 28, v90
	v_sub_nc_u32_e32 v90, 29, v90
	v_lshlrev_b32_sdwa v91, v91, v17 dst_sel:DWORD dst_unused:UNUSED_PAD src0_sel:DWORD src1_sel:BYTE_3
	v_cndmask_b32_e32 v90, v92, v90, vcc_lo
	v_and_b32_e32 v91, 7, v91
	v_lshl_add_u32 v90, v90, 23, 0x3b800000
	v_cndmask_b32_e32 v89, v89, v91, vcc_lo
	v_and_b32_e32 v91, 0x80000000, v17
	v_lshlrev_b32_e32 v89, 20, v89
	v_or3_b32 v89, v91, v90, v89
.LBB4_621:                              ;   in Loop: Header=BB4_356 Depth=4
	s_or_b32 exec_lo, exec_lo, s72
	v_max_f32_e32 v89, v89, v89
	v_max_f32_e32 v88, v88, v88
	s_mov_b32 s16, 0
	v_max_f32_e32 v88, v88, v89
.LBB4_622:                              ;   in Loop: Header=BB4_356 Depth=4
	s_and_b32 vcc_lo, exec_lo, s16
	s_cbranch_vccz .LBB4_636
; %bb.623:                              ;   in Loop: Header=BB4_356 Depth=4
	v_cmp_gt_i16_sdwa s72, v21, v117 src0_sel:BYTE_3 src1_sel:DWORD
	s_mov_b32 s16, 0
	s_and_saveexec_b32 s73, s72
	s_xor_b32 s72, exec_lo, s73
	s_cbranch_execz .LBB4_1566
; %bb.624:                              ;   in Loop: Header=BB4_356 Depth=4
	v_cmp_eq_u16_sdwa s74, v21, v118 src0_sel:BYTE_3 src1_sel:DWORD
	s_mov_b32 s16, -1
	s_and_saveexec_b32 s73, s74
; %bb.625:                              ;   in Loop: Header=BB4_356 Depth=4
	s_xor_b32 s16, exec_lo, -1
; %bb.626:                              ;   in Loop: Header=BB4_356 Depth=4
	s_or_b32 exec_lo, exec_lo, s73
	s_and_b32 s16, s16, exec_lo
	s_or_saveexec_b32 s72, s72
	v_mov_b32_e32 v88, 0x7f800001
	s_xor_b32 exec_lo, exec_lo, s72
	s_cbranch_execnz .LBB4_1567
.LBB4_627:                              ;   in Loop: Header=BB4_356 Depth=4
	s_or_b32 exec_lo, exec_lo, s72
	s_and_saveexec_b32 s72, s16
	s_cbranch_execz .LBB4_629
.LBB4_628:                              ;   in Loop: Header=BB4_356 Depth=4
	v_bfe_u32 v88, v21, 24, 3
	v_bfe_u32 v91, v21, 27, 4
	v_ffbh_u32_e32 v89, v88
	v_cmp_eq_u32_e32 vcc_lo, 0, v91
	v_min_u32_e32 v89, 32, v89
	v_subrev_nc_u32_e32 v90, 28, v89
	v_sub_nc_u32_e32 v89, 29, v89
	v_lshlrev_b32_sdwa v90, v90, v21 dst_sel:DWORD dst_unused:UNUSED_PAD src0_sel:DWORD src1_sel:BYTE_3
	v_cndmask_b32_e32 v89, v91, v89, vcc_lo
	v_and_b32_e32 v21, 0x80000000, v21
	v_and_b32_e32 v90, 7, v90
	v_lshl_add_u32 v89, v89, 23, 0x3b800000
	v_cndmask_b32_e32 v88, v88, v90, vcc_lo
	v_lshlrev_b32_e32 v88, 20, v88
	v_or3_b32 v88, v21, v89, v88
.LBB4_629:                              ;   in Loop: Header=BB4_356 Depth=4
	s_or_b32 exec_lo, exec_lo, s72
	v_cmp_gt_i16_sdwa s72, v17, v117 src0_sel:BYTE_3 src1_sel:DWORD
	s_mov_b32 s16, 0
	s_and_saveexec_b32 s73, s72
	s_xor_b32 s72, exec_lo, s73
	s_cbranch_execz .LBB4_1568
; %bb.630:                              ;   in Loop: Header=BB4_356 Depth=4
	v_cmp_eq_u16_sdwa s74, v17, v118 src0_sel:BYTE_3 src1_sel:DWORD
	s_mov_b32 s16, -1
	s_and_saveexec_b32 s73, s74
; %bb.631:                              ;   in Loop: Header=BB4_356 Depth=4
	s_xor_b32 s16, exec_lo, -1
; %bb.632:                              ;   in Loop: Header=BB4_356 Depth=4
	s_or_b32 exec_lo, exec_lo, s73
	s_and_b32 s16, s16, exec_lo
	s_or_saveexec_b32 s72, s72
	v_mov_b32_e32 v21, 0x7f800001
	s_xor_b32 exec_lo, exec_lo, s72
	s_cbranch_execnz .LBB4_1569
.LBB4_633:                              ;   in Loop: Header=BB4_356 Depth=4
	s_or_b32 exec_lo, exec_lo, s72
	s_and_saveexec_b32 s72, s16
	s_cbranch_execz .LBB4_635
.LBB4_634:                              ;   in Loop: Header=BB4_356 Depth=4
	v_bfe_u32 v21, v17, 24, 3
	v_bfe_u32 v91, v17, 27, 4
	v_ffbh_u32_e32 v89, v21
	v_cmp_eq_u32_e32 vcc_lo, 0, v91
	v_min_u32_e32 v89, 32, v89
	v_subrev_nc_u32_e32 v90, 28, v89
	v_sub_nc_u32_e32 v89, 29, v89
	v_lshlrev_b32_sdwa v90, v90, v17 dst_sel:DWORD dst_unused:UNUSED_PAD src0_sel:DWORD src1_sel:BYTE_3
	v_cndmask_b32_e32 v89, v91, v89, vcc_lo
	v_and_b32_e32 v17, 0x80000000, v17
	v_and_b32_e32 v90, 7, v90
	v_lshl_add_u32 v89, v89, 23, 0x3b800000
	v_cndmask_b32_e32 v21, v21, v90, vcc_lo
	v_lshlrev_b32_e32 v21, 20, v21
	v_or3_b32 v21, v17, v89, v21
.LBB4_635:                              ;   in Loop: Header=BB4_356 Depth=4
	s_or_b32 exec_lo, exec_lo, s72
	v_max_f32_e32 v17, v21, v21
	v_max_f32_e32 v21, v88, v88
	v_min_f32_e32 v88, v21, v17
.LBB4_636:                              ;   in Loop: Header=BB4_356 Depth=4
	v_and_b32_e32 v17, 0x7f800000, v88
	v_cmp_ne_u32_e32 vcc_lo, 0x7f800000, v17
	v_mov_b32_e32 v17, 0x8000
	s_and_saveexec_b32 s72, vcc_lo
	s_cbranch_execz .LBB4_644
; %bb.637:                              ;   in Loop: Header=BB4_356 Depth=4
	v_mov_b32_e32 v17, 0
	s_mov_b32 s73, exec_lo
	v_cmpx_ne_u32_e32 0, v88
	s_cbranch_execz .LBB4_643
; %bb.638:                              ;   in Loop: Header=BB4_356 Depth=4
	v_bfe_u32 v17, v88, 23, 8
	v_and_b32_e32 v21, 0x7fffff, v88
	v_sub_nc_u32_e32 v89, 0x78, v17
	v_cmp_gt_u32_e32 vcc_lo, 0x79, v17
	v_or_b32_e32 v90, 0x800000, v21
	v_cndmask_b32_e32 v89, 0, v89, vcc_lo
	v_cmp_eq_u32_e32 vcc_lo, 0, v17
	v_add_nc_u32_e32 v17, 0xffffff89, v17
	v_cndmask_b32_e64 v89, v89, 0x77, vcc_lo
	v_cndmask_b32_e32 v21, v90, v21, vcc_lo
	v_cndmask_b32_e64 v17, v17, 0xffffff8a, vcc_lo
	v_lshl_add_u32 v90, 0x100000, v89, -1
	v_lshrrev_b32_e32 v91, v89, v21
	v_lshlrev_b32_e64 v93, v89, 0x80000
	v_add_nc_u32_e32 v89, v89, v17
	v_and_b32_e32 v21, v90, v21
	v_bfe_u32 v92, v91, 20, 1
	v_cmp_eq_u32_e64 s16, v21, v93
	v_add_nc_u32_e32 v90, -1, v92
	v_cndmask_b32_e64 v21, 0, v90, s16
	v_lshrrev_b32_e32 v90, 23, v91
	s_mov_b32 s16, exec_lo
	v_add_nc_u32_e32 v21, v21, v91
	v_xor_b32_e32 v90, 1, v90
	v_and_b32_e32 v17, 0xfffff, v21
	v_add_nc_u32_e32 v21, v17, v91
                                        ; implicit-def: $vgpr17
	v_cmpx_ne_u32_e64 v89, v90
	s_xor_b32 s16, exec_lo, s16
; %bb.639:                              ;   in Loop: Header=BB4_356 Depth=4
	v_cmp_lt_u32_e32 vcc_lo, 0xffffff, v21
	v_sub_nc_u32_e32 v17, v89, v90
	v_cndmask_b32_e64 v89, 0, 1, vcc_lo
	v_add_co_ci_u32_e64 v17, null, 0, v17, vcc_lo
	v_lshrrev_b32_e32 v21, v89, v21
; %bb.640:                              ;   in Loop: Header=BB4_356 Depth=4
	s_andn2_saveexec_b32 s16, s16
; %bb.641:                              ;   in Loop: Header=BB4_356 Depth=4
	v_bfe_u32 v17, v21, 23, 1
; %bb.642:                              ;   in Loop: Header=BB4_356 Depth=4
	s_or_b32 exec_lo, exec_lo, s16
	v_lshrrev_b32_e32 v21, 20, v21
	v_min_i32_e32 v89, 15, v17
	v_cmp_gt_i32_e32 vcc_lo, 16, v17
	v_and_b32_sdwa v88, v88, v118 dst_sel:DWORD dst_unused:UNUSED_PAD src0_sel:BYTE_3 src1_sel:DWORD
	v_lshlrev_b32_e32 v89, 3, v89
	v_cndmask_b32_e32 v21, 7, v21, vcc_lo
	v_and_b32_e32 v89, 0xf8, v89
	v_and_b32_e32 v90, 7, v21
	v_or_b32_e32 v17, v17, v21
	v_or3_b32 v88, v88, v89, v90
	v_cmp_ne_u32_e32 vcc_lo, 0, v17
	v_lshlrev_b32_e32 v21, 8, v88
	v_cndmask_b32_e32 v17, 0, v21, vcc_lo
.LBB4_643:                              ;   in Loop: Header=BB4_356 Depth=4
	s_or_b32 exec_lo, exec_lo, s73
.LBB4_644:                              ;   in Loop: Header=BB4_356 Depth=4
	s_or_b32 exec_lo, exec_lo, s72
	v_cmp_gt_i16_sdwa s72, v22, v117 src0_sel:BYTE_0 src1_sel:DWORD
	s_and_b32 vcc_lo, exec_lo, s63
	s_mov_b32 s16, -1
                                        ; implicit-def: $vgpr88
	s_cbranch_vccz .LBB4_658
; %bb.645:                              ;   in Loop: Header=BB4_356 Depth=4
	s_mov_b32 s16, 0
	s_and_saveexec_b32 s73, s72
	s_xor_b32 s72, exec_lo, s73
	s_cbranch_execz .LBB4_1570
; %bb.646:                              ;   in Loop: Header=BB4_356 Depth=4
	v_cmp_eq_u16_sdwa s74, v22, v118 src0_sel:BYTE_0 src1_sel:DWORD
	s_mov_b32 s16, -1
	s_and_saveexec_b32 s73, s74
; %bb.647:                              ;   in Loop: Header=BB4_356 Depth=4
	s_xor_b32 s16, exec_lo, -1
; %bb.648:                              ;   in Loop: Header=BB4_356 Depth=4
	s_or_b32 exec_lo, exec_lo, s73
	s_and_b32 s16, s16, exec_lo
	s_or_saveexec_b32 s72, s72
	v_mov_b32_e32 v21, 0x7f800001
	s_xor_b32 exec_lo, exec_lo, s72
	s_cbranch_execnz .LBB4_1571
.LBB4_649:                              ;   in Loop: Header=BB4_356 Depth=4
	s_or_b32 exec_lo, exec_lo, s72
	s_and_saveexec_b32 s72, s16
	s_cbranch_execz .LBB4_651
.LBB4_650:                              ;   in Loop: Header=BB4_356 Depth=4
	v_and_b32_e32 v21, 7, v22
	v_bfe_u32 v90, v22, 3, 4
	v_lshlrev_b32_e32 v91, 24, v22
	v_ffbh_u32_e32 v88, v21
	v_cmp_eq_u32_e32 vcc_lo, 0, v90
	v_min_u32_e32 v88, 32, v88
	v_subrev_nc_u32_e32 v89, 28, v88
	v_sub_nc_u32_e32 v88, 29, v88
	v_lshlrev_b32_e32 v89, v89, v22
	v_cndmask_b32_e32 v88, v90, v88, vcc_lo
	v_and_b32_e32 v89, 7, v89
	v_lshl_add_u32 v88, v88, 23, 0x3b800000
	v_cndmask_b32_e32 v21, v21, v89, vcc_lo
	v_and_b32_e32 v89, 0x80000000, v91
	v_lshlrev_b32_e32 v21, 20, v21
	v_or3_b32 v21, v89, v88, v21
.LBB4_651:                              ;   in Loop: Header=BB4_356 Depth=4
	s_or_b32 exec_lo, exec_lo, s72
	v_cmp_gt_i16_sdwa s72, v18, v117 src0_sel:BYTE_0 src1_sel:DWORD
	s_mov_b32 s16, 0
	s_and_saveexec_b32 s73, s72
	s_xor_b32 s72, exec_lo, s73
	s_cbranch_execz .LBB4_1572
; %bb.652:                              ;   in Loop: Header=BB4_356 Depth=4
	v_cmp_eq_u16_sdwa s74, v18, v118 src0_sel:BYTE_0 src1_sel:DWORD
	s_mov_b32 s16, -1
	s_and_saveexec_b32 s73, s74
; %bb.653:                              ;   in Loop: Header=BB4_356 Depth=4
	s_xor_b32 s16, exec_lo, -1
; %bb.654:                              ;   in Loop: Header=BB4_356 Depth=4
	s_or_b32 exec_lo, exec_lo, s73
	s_and_b32 s16, s16, exec_lo
	s_or_saveexec_b32 s72, s72
	v_mov_b32_e32 v88, 0x7f800001
	s_xor_b32 exec_lo, exec_lo, s72
	s_cbranch_execnz .LBB4_1573
.LBB4_655:                              ;   in Loop: Header=BB4_356 Depth=4
	s_or_b32 exec_lo, exec_lo, s72
	s_and_saveexec_b32 s72, s16
	s_cbranch_execz .LBB4_657
.LBB4_656:                              ;   in Loop: Header=BB4_356 Depth=4
	v_and_b32_e32 v88, 7, v18
	v_bfe_u32 v91, v18, 3, 4
	v_lshlrev_b32_e32 v92, 24, v18
	v_ffbh_u32_e32 v89, v88
	v_cmp_eq_u32_e32 vcc_lo, 0, v91
	v_min_u32_e32 v89, 32, v89
	v_subrev_nc_u32_e32 v90, 28, v89
	v_sub_nc_u32_e32 v89, 29, v89
	v_lshlrev_b32_e32 v90, v90, v18
	v_cndmask_b32_e32 v89, v91, v89, vcc_lo
	v_and_b32_e32 v90, 7, v90
	v_lshl_add_u32 v89, v89, 23, 0x3b800000
	v_cndmask_b32_e32 v88, v88, v90, vcc_lo
	v_and_b32_e32 v90, 0x80000000, v92
	v_lshlrev_b32_e32 v88, 20, v88
	v_or3_b32 v88, v90, v89, v88
.LBB4_657:                              ;   in Loop: Header=BB4_356 Depth=4
	s_or_b32 exec_lo, exec_lo, s72
	v_max_f32_e32 v88, v88, v88
	v_max_f32_e32 v21, v21, v21
	s_mov_b32 s16, 0
	v_max_f32_e32 v88, v21, v88
.LBB4_658:                              ;   in Loop: Header=BB4_356 Depth=4
	s_and_b32 vcc_lo, exec_lo, s16
	s_cbranch_vccz .LBB4_672
; %bb.659:                              ;   in Loop: Header=BB4_356 Depth=4
	v_cmp_gt_i16_sdwa s72, v22, v117 src0_sel:BYTE_0 src1_sel:DWORD
	s_mov_b32 s16, 0
	s_and_saveexec_b32 s73, s72
	s_xor_b32 s72, exec_lo, s73
	s_cbranch_execz .LBB4_1574
; %bb.660:                              ;   in Loop: Header=BB4_356 Depth=4
	v_cmp_eq_u16_sdwa s74, v22, v118 src0_sel:BYTE_0 src1_sel:DWORD
	s_mov_b32 s16, -1
	s_and_saveexec_b32 s73, s74
; %bb.661:                              ;   in Loop: Header=BB4_356 Depth=4
	s_xor_b32 s16, exec_lo, -1
; %bb.662:                              ;   in Loop: Header=BB4_356 Depth=4
	s_or_b32 exec_lo, exec_lo, s73
	s_and_b32 s16, s16, exec_lo
	s_or_saveexec_b32 s72, s72
	v_mov_b32_e32 v21, 0x7f800001
	s_xor_b32 exec_lo, exec_lo, s72
	s_cbranch_execnz .LBB4_1575
.LBB4_663:                              ;   in Loop: Header=BB4_356 Depth=4
	s_or_b32 exec_lo, exec_lo, s72
	s_and_saveexec_b32 s72, s16
	s_cbranch_execz .LBB4_665
.LBB4_664:                              ;   in Loop: Header=BB4_356 Depth=4
	v_and_b32_e32 v21, 7, v22
	v_bfe_u32 v90, v22, 3, 4
	v_lshlrev_b32_e32 v91, 24, v22
	v_ffbh_u32_e32 v88, v21
	v_cmp_eq_u32_e32 vcc_lo, 0, v90
	v_min_u32_e32 v88, 32, v88
	v_subrev_nc_u32_e32 v89, 28, v88
	v_sub_nc_u32_e32 v88, 29, v88
	v_lshlrev_b32_e32 v89, v89, v22
	v_cndmask_b32_e32 v88, v90, v88, vcc_lo
	v_and_b32_e32 v89, 7, v89
	v_lshl_add_u32 v88, v88, 23, 0x3b800000
	v_cndmask_b32_e32 v21, v21, v89, vcc_lo
	v_and_b32_e32 v89, 0x80000000, v91
	v_lshlrev_b32_e32 v21, 20, v21
	v_or3_b32 v21, v89, v88, v21
.LBB4_665:                              ;   in Loop: Header=BB4_356 Depth=4
	s_or_b32 exec_lo, exec_lo, s72
	v_cmp_gt_i16_sdwa s72, v18, v117 src0_sel:BYTE_0 src1_sel:DWORD
	s_mov_b32 s16, 0
	s_and_saveexec_b32 s73, s72
	s_xor_b32 s72, exec_lo, s73
	s_cbranch_execz .LBB4_1576
; %bb.666:                              ;   in Loop: Header=BB4_356 Depth=4
	v_cmp_eq_u16_sdwa s74, v18, v118 src0_sel:BYTE_0 src1_sel:DWORD
	s_mov_b32 s16, -1
	s_and_saveexec_b32 s73, s74
; %bb.667:                              ;   in Loop: Header=BB4_356 Depth=4
	s_xor_b32 s16, exec_lo, -1
; %bb.668:                              ;   in Loop: Header=BB4_356 Depth=4
	s_or_b32 exec_lo, exec_lo, s73
	s_and_b32 s16, s16, exec_lo
	s_or_saveexec_b32 s72, s72
	v_mov_b32_e32 v88, 0x7f800001
	s_xor_b32 exec_lo, exec_lo, s72
	s_cbranch_execnz .LBB4_1577
.LBB4_669:                              ;   in Loop: Header=BB4_356 Depth=4
	s_or_b32 exec_lo, exec_lo, s72
	s_and_saveexec_b32 s72, s16
	s_cbranch_execz .LBB4_671
.LBB4_670:                              ;   in Loop: Header=BB4_356 Depth=4
	v_and_b32_e32 v88, 7, v18
	v_bfe_u32 v91, v18, 3, 4
	v_lshlrev_b32_e32 v92, 24, v18
	v_ffbh_u32_e32 v89, v88
	v_cmp_eq_u32_e32 vcc_lo, 0, v91
	v_min_u32_e32 v89, 32, v89
	v_subrev_nc_u32_e32 v90, 28, v89
	v_sub_nc_u32_e32 v89, 29, v89
	v_lshlrev_b32_e32 v90, v90, v18
	v_cndmask_b32_e32 v89, v91, v89, vcc_lo
	v_and_b32_e32 v90, 7, v90
	v_lshl_add_u32 v89, v89, 23, 0x3b800000
	v_cndmask_b32_e32 v88, v88, v90, vcc_lo
	v_and_b32_e32 v90, 0x80000000, v92
	v_lshlrev_b32_e32 v88, 20, v88
	v_or3_b32 v88, v90, v89, v88
.LBB4_671:                              ;   in Loop: Header=BB4_356 Depth=4
	s_or_b32 exec_lo, exec_lo, s72
	v_max_f32_e32 v88, v88, v88
	v_max_f32_e32 v21, v21, v21
	v_min_f32_e32 v88, v21, v88
.LBB4_672:                              ;   in Loop: Header=BB4_356 Depth=4
	v_and_b32_e32 v21, 0x7f800000, v88
	v_cmp_ne_u32_e32 vcc_lo, 0x7f800000, v21
	v_mov_b32_e32 v21, 0x80
	s_and_saveexec_b32 s72, vcc_lo
	s_cbranch_execz .LBB4_680
; %bb.673:                              ;   in Loop: Header=BB4_356 Depth=4
	v_mov_b32_e32 v21, 0
	s_mov_b32 s73, exec_lo
	v_cmpx_ne_u32_e32 0, v88
	s_cbranch_execz .LBB4_679
; %bb.674:                              ;   in Loop: Header=BB4_356 Depth=4
	v_bfe_u32 v21, v88, 23, 8
	v_and_b32_e32 v89, 0x7fffff, v88
	v_sub_nc_u32_e32 v90, 0x78, v21
	v_cmp_gt_u32_e32 vcc_lo, 0x79, v21
	v_or_b32_e32 v91, 0x800000, v89
	v_cndmask_b32_e32 v90, 0, v90, vcc_lo
	v_cmp_eq_u32_e32 vcc_lo, 0, v21
	v_add_nc_u32_e32 v21, 0xffffff89, v21
	v_cndmask_b32_e64 v90, v90, 0x77, vcc_lo
	v_cndmask_b32_e32 v89, v91, v89, vcc_lo
	v_cndmask_b32_e64 v21, v21, 0xffffff8a, vcc_lo
	v_lshl_add_u32 v91, 0x100000, v90, -1
	v_lshrrev_b32_e32 v92, v90, v89
	v_lshlrev_b32_e64 v94, v90, 0x80000
	v_add_nc_u32_e32 v90, v90, v21
	v_and_b32_e32 v89, v91, v89
	v_bfe_u32 v93, v92, 20, 1
	v_cmp_eq_u32_e64 s16, v89, v94
	v_add_nc_u32_e32 v91, -1, v93
	v_cndmask_b32_e64 v89, 0, v91, s16
	v_lshrrev_b32_e32 v91, 23, v92
	s_mov_b32 s16, exec_lo
	v_add_nc_u32_e32 v89, v89, v92
	v_xor_b32_e32 v91, 1, v91
	v_and_b32_e32 v21, 0xfffff, v89
	v_add_nc_u32_e32 v89, v21, v92
                                        ; implicit-def: $vgpr21
	v_cmpx_ne_u32_e64 v90, v91
	s_xor_b32 s16, exec_lo, s16
; %bb.675:                              ;   in Loop: Header=BB4_356 Depth=4
	v_cmp_lt_u32_e32 vcc_lo, 0xffffff, v89
	v_sub_nc_u32_e32 v21, v90, v91
	v_cndmask_b32_e64 v90, 0, 1, vcc_lo
	v_add_co_ci_u32_e64 v21, null, 0, v21, vcc_lo
	v_lshrrev_b32_e32 v89, v90, v89
; %bb.676:                              ;   in Loop: Header=BB4_356 Depth=4
	s_andn2_saveexec_b32 s16, s16
; %bb.677:                              ;   in Loop: Header=BB4_356 Depth=4
	v_bfe_u32 v21, v89, 23, 1
; %bb.678:                              ;   in Loop: Header=BB4_356 Depth=4
	s_or_b32 exec_lo, exec_lo, s16
	v_lshrrev_b32_e32 v89, 20, v89
	v_min_i32_e32 v90, 15, v21
	v_cmp_gt_i32_e32 vcc_lo, 16, v21
	v_and_b32_sdwa v88, v88, v118 dst_sel:DWORD dst_unused:UNUSED_PAD src0_sel:BYTE_3 src1_sel:DWORD
	v_lshlrev_b32_e32 v90, 3, v90
	v_cndmask_b32_e32 v89, 7, v89, vcc_lo
	v_and_b32_e32 v90, 0xf8, v90
	v_and_b32_e32 v91, 7, v89
	v_or_b32_e32 v21, v21, v89
	v_or3_b32 v88, v90, v88, v91
	v_cmp_ne_u32_e32 vcc_lo, 0, v21
	v_cndmask_b32_e32 v21, 0, v88, vcc_lo
.LBB4_679:                              ;   in Loop: Header=BB4_356 Depth=4
	s_or_b32 exec_lo, exec_lo, s73
.LBB4_680:                              ;   in Loop: Header=BB4_356 Depth=4
	s_or_b32 exec_lo, exec_lo, s72
	v_cmp_gt_i16_sdwa s72, v22, v117 src0_sel:BYTE_1 src1_sel:DWORD
	s_and_b32 vcc_lo, exec_lo, s63
	s_mov_b32 s16, -1
                                        ; implicit-def: $vgpr89
	s_cbranch_vccz .LBB4_694
; %bb.681:                              ;   in Loop: Header=BB4_356 Depth=4
	s_mov_b32 s16, 0
	s_and_saveexec_b32 s73, s72
	s_xor_b32 s72, exec_lo, s73
	s_cbranch_execz .LBB4_1578
; %bb.682:                              ;   in Loop: Header=BB4_356 Depth=4
	v_cmp_eq_u16_sdwa s74, v22, v118 src0_sel:BYTE_1 src1_sel:DWORD
	s_mov_b32 s16, -1
	s_and_saveexec_b32 s73, s74
; %bb.683:                              ;   in Loop: Header=BB4_356 Depth=4
	s_xor_b32 s16, exec_lo, -1
; %bb.684:                              ;   in Loop: Header=BB4_356 Depth=4
	s_or_b32 exec_lo, exec_lo, s73
	s_and_b32 s16, s16, exec_lo
	s_or_saveexec_b32 s72, s72
	v_mov_b32_e32 v88, 0x7f800001
	s_xor_b32 exec_lo, exec_lo, s72
	s_cbranch_execnz .LBB4_1579
.LBB4_685:                              ;   in Loop: Header=BB4_356 Depth=4
	s_or_b32 exec_lo, exec_lo, s72
	s_and_saveexec_b32 s72, s16
	s_cbranch_execz .LBB4_687
.LBB4_686:                              ;   in Loop: Header=BB4_356 Depth=4
	v_and_b32_sdwa v88, v119, v22 dst_sel:DWORD dst_unused:UNUSED_PAD src0_sel:DWORD src1_sel:BYTE_1
	v_and_b32_e32 v89, 7, v88
	v_bfe_u32 v92, v88, 3, 4
	v_ffbh_u32_e32 v90, v89
	v_cmp_eq_u32_e32 vcc_lo, 0, v92
	v_min_u32_e32 v90, 32, v90
	v_subrev_nc_u32_e32 v91, 28, v90
	v_sub_nc_u32_e32 v90, 29, v90
	v_lshlrev_b32_e32 v88, v91, v88
	v_lshlrev_b32_e32 v91, 16, v22
	v_cndmask_b32_e32 v90, v92, v90, vcc_lo
	v_and_b32_e32 v88, 7, v88
	v_lshl_add_u32 v90, v90, 23, 0x3b800000
	v_cndmask_b32_e32 v88, v89, v88, vcc_lo
	v_and_b32_e32 v89, 0x80000000, v91
	v_lshlrev_b32_e32 v88, 20, v88
	v_or3_b32 v88, v89, v90, v88
.LBB4_687:                              ;   in Loop: Header=BB4_356 Depth=4
	s_or_b32 exec_lo, exec_lo, s72
	v_cmp_gt_i16_sdwa s72, v18, v117 src0_sel:BYTE_1 src1_sel:DWORD
	s_mov_b32 s16, 0
	s_and_saveexec_b32 s73, s72
	s_xor_b32 s72, exec_lo, s73
	s_cbranch_execz .LBB4_1580
; %bb.688:                              ;   in Loop: Header=BB4_356 Depth=4
	v_cmp_eq_u16_sdwa s74, v18, v118 src0_sel:BYTE_1 src1_sel:DWORD
	s_mov_b32 s16, -1
	s_and_saveexec_b32 s73, s74
; %bb.689:                              ;   in Loop: Header=BB4_356 Depth=4
	s_xor_b32 s16, exec_lo, -1
; %bb.690:                              ;   in Loop: Header=BB4_356 Depth=4
	s_or_b32 exec_lo, exec_lo, s73
	s_and_b32 s16, s16, exec_lo
	s_or_saveexec_b32 s72, s72
	v_mov_b32_e32 v89, 0x7f800001
	s_xor_b32 exec_lo, exec_lo, s72
	s_cbranch_execnz .LBB4_1581
.LBB4_691:                              ;   in Loop: Header=BB4_356 Depth=4
	s_or_b32 exec_lo, exec_lo, s72
	s_and_saveexec_b32 s72, s16
	s_cbranch_execz .LBB4_693
.LBB4_692:                              ;   in Loop: Header=BB4_356 Depth=4
	v_and_b32_sdwa v89, v119, v18 dst_sel:DWORD dst_unused:UNUSED_PAD src0_sel:DWORD src1_sel:BYTE_1
	v_and_b32_e32 v90, 7, v89
	v_bfe_u32 v93, v89, 3, 4
	v_ffbh_u32_e32 v91, v90
	v_cmp_eq_u32_e32 vcc_lo, 0, v93
	v_min_u32_e32 v91, 32, v91
	v_subrev_nc_u32_e32 v92, 28, v91
	v_sub_nc_u32_e32 v91, 29, v91
	v_lshlrev_b32_e32 v89, v92, v89
	v_lshlrev_b32_e32 v92, 16, v18
	v_cndmask_b32_e32 v91, v93, v91, vcc_lo
	v_and_b32_e32 v89, 7, v89
	v_lshl_add_u32 v91, v91, 23, 0x3b800000
	v_cndmask_b32_e32 v89, v90, v89, vcc_lo
	v_and_b32_e32 v90, 0x80000000, v92
	v_lshlrev_b32_e32 v89, 20, v89
	v_or3_b32 v89, v90, v91, v89
.LBB4_693:                              ;   in Loop: Header=BB4_356 Depth=4
	s_or_b32 exec_lo, exec_lo, s72
	v_max_f32_e32 v89, v89, v89
	v_max_f32_e32 v88, v88, v88
	s_mov_b32 s16, 0
	v_max_f32_e32 v89, v88, v89
.LBB4_694:                              ;   in Loop: Header=BB4_356 Depth=4
	s_and_b32 vcc_lo, exec_lo, s16
	s_cbranch_vccz .LBB4_708
; %bb.695:                              ;   in Loop: Header=BB4_356 Depth=4
	v_cmp_gt_i16_sdwa s72, v22, v117 src0_sel:BYTE_1 src1_sel:DWORD
	s_mov_b32 s16, 0
	s_and_saveexec_b32 s73, s72
	s_xor_b32 s72, exec_lo, s73
	s_cbranch_execz .LBB4_1582
; %bb.696:                              ;   in Loop: Header=BB4_356 Depth=4
	v_cmp_eq_u16_sdwa s74, v22, v118 src0_sel:BYTE_1 src1_sel:DWORD
	s_mov_b32 s16, -1
	s_and_saveexec_b32 s73, s74
; %bb.697:                              ;   in Loop: Header=BB4_356 Depth=4
	s_xor_b32 s16, exec_lo, -1
; %bb.698:                              ;   in Loop: Header=BB4_356 Depth=4
	s_or_b32 exec_lo, exec_lo, s73
	s_and_b32 s16, s16, exec_lo
	s_or_saveexec_b32 s72, s72
	v_mov_b32_e32 v88, 0x7f800001
	s_xor_b32 exec_lo, exec_lo, s72
	s_cbranch_execnz .LBB4_1583
.LBB4_699:                              ;   in Loop: Header=BB4_356 Depth=4
	s_or_b32 exec_lo, exec_lo, s72
	s_and_saveexec_b32 s72, s16
	s_cbranch_execz .LBB4_701
.LBB4_700:                              ;   in Loop: Header=BB4_356 Depth=4
	v_and_b32_sdwa v88, v119, v22 dst_sel:DWORD dst_unused:UNUSED_PAD src0_sel:DWORD src1_sel:BYTE_1
	v_and_b32_e32 v89, 7, v88
	v_bfe_u32 v92, v88, 3, 4
	v_ffbh_u32_e32 v90, v89
	v_cmp_eq_u32_e32 vcc_lo, 0, v92
	v_min_u32_e32 v90, 32, v90
	v_subrev_nc_u32_e32 v91, 28, v90
	v_sub_nc_u32_e32 v90, 29, v90
	v_lshlrev_b32_e32 v88, v91, v88
	v_lshlrev_b32_e32 v91, 16, v22
	v_cndmask_b32_e32 v90, v92, v90, vcc_lo
	v_and_b32_e32 v88, 7, v88
	v_lshl_add_u32 v90, v90, 23, 0x3b800000
	v_cndmask_b32_e32 v88, v89, v88, vcc_lo
	v_and_b32_e32 v89, 0x80000000, v91
	v_lshlrev_b32_e32 v88, 20, v88
	v_or3_b32 v88, v89, v90, v88
.LBB4_701:                              ;   in Loop: Header=BB4_356 Depth=4
	s_or_b32 exec_lo, exec_lo, s72
	v_cmp_gt_i16_sdwa s72, v18, v117 src0_sel:BYTE_1 src1_sel:DWORD
	s_mov_b32 s16, 0
	s_and_saveexec_b32 s73, s72
	s_xor_b32 s72, exec_lo, s73
	s_cbranch_execz .LBB4_1584
; %bb.702:                              ;   in Loop: Header=BB4_356 Depth=4
	v_cmp_eq_u16_sdwa s74, v18, v118 src0_sel:BYTE_1 src1_sel:DWORD
	s_mov_b32 s16, -1
	s_and_saveexec_b32 s73, s74
; %bb.703:                              ;   in Loop: Header=BB4_356 Depth=4
	s_xor_b32 s16, exec_lo, -1
; %bb.704:                              ;   in Loop: Header=BB4_356 Depth=4
	s_or_b32 exec_lo, exec_lo, s73
	s_and_b32 s16, s16, exec_lo
	s_or_saveexec_b32 s72, s72
	v_mov_b32_e32 v89, 0x7f800001
	s_xor_b32 exec_lo, exec_lo, s72
	s_cbranch_execnz .LBB4_1585
.LBB4_705:                              ;   in Loop: Header=BB4_356 Depth=4
	s_or_b32 exec_lo, exec_lo, s72
	s_and_saveexec_b32 s72, s16
	s_cbranch_execz .LBB4_707
.LBB4_706:                              ;   in Loop: Header=BB4_356 Depth=4
	v_and_b32_sdwa v89, v119, v18 dst_sel:DWORD dst_unused:UNUSED_PAD src0_sel:DWORD src1_sel:BYTE_1
	v_and_b32_e32 v90, 7, v89
	v_bfe_u32 v93, v89, 3, 4
	v_ffbh_u32_e32 v91, v90
	v_cmp_eq_u32_e32 vcc_lo, 0, v93
	v_min_u32_e32 v91, 32, v91
	v_subrev_nc_u32_e32 v92, 28, v91
	v_sub_nc_u32_e32 v91, 29, v91
	v_lshlrev_b32_e32 v89, v92, v89
	v_lshlrev_b32_e32 v92, 16, v18
	v_cndmask_b32_e32 v91, v93, v91, vcc_lo
	v_and_b32_e32 v89, 7, v89
	v_lshl_add_u32 v91, v91, 23, 0x3b800000
	v_cndmask_b32_e32 v89, v90, v89, vcc_lo
	v_and_b32_e32 v90, 0x80000000, v92
	v_lshlrev_b32_e32 v89, 20, v89
	v_or3_b32 v89, v90, v91, v89
.LBB4_707:                              ;   in Loop: Header=BB4_356 Depth=4
	s_or_b32 exec_lo, exec_lo, s72
	v_max_f32_e32 v89, v89, v89
	v_max_f32_e32 v88, v88, v88
	v_min_f32_e32 v89, v88, v89
.LBB4_708:                              ;   in Loop: Header=BB4_356 Depth=4
	v_and_b32_e32 v88, 0x7f800000, v89
	v_cmp_ne_u32_e32 vcc_lo, 0x7f800000, v88
	v_mov_b32_e32 v88, 0x8000
	s_and_saveexec_b32 s72, vcc_lo
	s_cbranch_execz .LBB4_716
; %bb.709:                              ;   in Loop: Header=BB4_356 Depth=4
	v_mov_b32_e32 v88, 0
	s_mov_b32 s73, exec_lo
	v_cmpx_ne_u32_e32 0, v89
	s_cbranch_execz .LBB4_715
; %bb.710:                              ;   in Loop: Header=BB4_356 Depth=4
	v_bfe_u32 v88, v89, 23, 8
	v_and_b32_e32 v90, 0x7fffff, v89
	v_sub_nc_u32_e32 v91, 0x78, v88
	v_cmp_gt_u32_e32 vcc_lo, 0x79, v88
	v_or_b32_e32 v92, 0x800000, v90
	v_cndmask_b32_e32 v91, 0, v91, vcc_lo
	v_cmp_eq_u32_e32 vcc_lo, 0, v88
	v_add_nc_u32_e32 v88, 0xffffff89, v88
	v_cndmask_b32_e64 v91, v91, 0x77, vcc_lo
	v_cndmask_b32_e32 v90, v92, v90, vcc_lo
	v_cndmask_b32_e64 v88, v88, 0xffffff8a, vcc_lo
	v_lshl_add_u32 v92, 0x100000, v91, -1
	v_lshrrev_b32_e32 v93, v91, v90
	v_lshlrev_b32_e64 v95, v91, 0x80000
	v_add_nc_u32_e32 v91, v91, v88
	v_and_b32_e32 v90, v92, v90
	v_bfe_u32 v94, v93, 20, 1
	v_cmp_eq_u32_e64 s16, v90, v95
	v_add_nc_u32_e32 v92, -1, v94
	v_cndmask_b32_e64 v90, 0, v92, s16
	v_lshrrev_b32_e32 v92, 23, v93
	s_mov_b32 s16, exec_lo
	v_add_nc_u32_e32 v90, v90, v93
	v_xor_b32_e32 v92, 1, v92
	v_and_b32_e32 v88, 0xfffff, v90
	v_add_nc_u32_e32 v90, v88, v93
                                        ; implicit-def: $vgpr88
	v_cmpx_ne_u32_e64 v91, v92
	s_xor_b32 s16, exec_lo, s16
; %bb.711:                              ;   in Loop: Header=BB4_356 Depth=4
	v_cmp_lt_u32_e32 vcc_lo, 0xffffff, v90
	v_sub_nc_u32_e32 v88, v91, v92
	v_cndmask_b32_e64 v91, 0, 1, vcc_lo
	v_add_co_ci_u32_e64 v88, null, 0, v88, vcc_lo
	v_lshrrev_b32_e32 v90, v91, v90
; %bb.712:                              ;   in Loop: Header=BB4_356 Depth=4
	s_andn2_saveexec_b32 s16, s16
; %bb.713:                              ;   in Loop: Header=BB4_356 Depth=4
	v_bfe_u32 v88, v90, 23, 1
; %bb.714:                              ;   in Loop: Header=BB4_356 Depth=4
	s_or_b32 exec_lo, exec_lo, s16
	v_lshrrev_b32_e32 v90, 20, v90
	v_min_i32_e32 v91, 15, v88
	v_cmp_gt_i32_e32 vcc_lo, 16, v88
	v_and_b32_sdwa v89, v89, v118 dst_sel:DWORD dst_unused:UNUSED_PAD src0_sel:BYTE_3 src1_sel:DWORD
	v_lshlrev_b32_e32 v91, 3, v91
	v_cndmask_b32_e32 v90, 7, v90, vcc_lo
	v_and_b32_e32 v91, 0xf8, v91
	v_and_b32_e32 v92, 7, v90
	v_or_b32_e32 v88, v88, v90
	v_or3_b32 v89, v89, v91, v92
	v_cmp_ne_u32_e32 vcc_lo, 0, v88
	v_lshlrev_b32_e32 v89, 8, v89
	v_cndmask_b32_e32 v88, 0, v89, vcc_lo
.LBB4_715:                              ;   in Loop: Header=BB4_356 Depth=4
	s_or_b32 exec_lo, exec_lo, s73
.LBB4_716:                              ;   in Loop: Header=BB4_356 Depth=4
	s_or_b32 exec_lo, exec_lo, s72
	v_and_b32_sdwa v89, v22, v40 dst_sel:DWORD dst_unused:UNUSED_PAD src0_sel:WORD_1 src1_sel:DWORD
	s_and_b32 vcc_lo, exec_lo, s63
	s_mov_b32 s72, -1
                                        ; implicit-def: $vgpr90
	v_cmp_lt_i16_e64 s16, 0x7f, v89
	s_cbranch_vccz .LBB4_730
; %bb.717:                              ;   in Loop: Header=BB4_356 Depth=4
	s_mov_b32 s72, 0
	s_and_saveexec_b32 s73, s16
	s_xor_b32 s16, exec_lo, s73
	s_cbranch_execz .LBB4_1586
; %bb.718:                              ;   in Loop: Header=BB4_356 Depth=4
	s_mov_b32 s72, -1
	s_mov_b32 s73, exec_lo
	v_cmpx_eq_u16_e32 0x80, v89
; %bb.719:                              ;   in Loop: Header=BB4_356 Depth=4
	s_xor_b32 s72, exec_lo, -1
; %bb.720:                              ;   in Loop: Header=BB4_356 Depth=4
	s_or_b32 exec_lo, exec_lo, s73
	s_and_b32 s72, s72, exec_lo
	s_or_saveexec_b32 s16, s16
	v_mov_b32_e32 v90, 0x7f800001
	s_xor_b32 exec_lo, exec_lo, s16
	s_cbranch_execnz .LBB4_1587
.LBB4_721:                              ;   in Loop: Header=BB4_356 Depth=4
	s_or_b32 exec_lo, exec_lo, s16
	s_and_saveexec_b32 s16, s72
	s_cbranch_execz .LBB4_723
.LBB4_722:                              ;   in Loop: Header=BB4_356 Depth=4
	v_bfe_u32 v90, v22, 16, 3
	v_bfe_u32 v93, v22, 19, 4
	v_lshlrev_b32_sdwa v94, v41, v22 dst_sel:DWORD dst_unused:UNUSED_PAD src0_sel:DWORD src1_sel:WORD_1
	v_ffbh_u32_e32 v91, v90
	v_cmp_eq_u32_e32 vcc_lo, 0, v93
	v_min_u32_e32 v91, 32, v91
	v_subrev_nc_u32_e32 v92, 28, v91
	v_sub_nc_u32_e32 v91, 29, v91
	v_lshlrev_b32_sdwa v92, v92, v22 dst_sel:DWORD dst_unused:UNUSED_PAD src0_sel:DWORD src1_sel:WORD_1
	v_cndmask_b32_e32 v91, v93, v91, vcc_lo
	v_and_b32_e32 v92, 7, v92
	v_lshl_add_u32 v91, v91, 23, 0x3b800000
	v_cndmask_b32_e32 v90, v90, v92, vcc_lo
	v_and_b32_e32 v92, 0x80000000, v94
	v_lshlrev_b32_e32 v90, 20, v90
	v_or3_b32 v90, v92, v91, v90
.LBB4_723:                              ;   in Loop: Header=BB4_356 Depth=4
	s_or_b32 exec_lo, exec_lo, s16
	v_and_b32_sdwa v92, v18, v40 dst_sel:DWORD dst_unused:UNUSED_PAD src0_sel:WORD_1 src1_sel:DWORD
	s_mov_b32 s16, 0
	s_mov_b32 s72, exec_lo
	v_cmpx_lt_i16_e32 0x7f, v92
	s_xor_b32 s72, exec_lo, s72
	s_cbranch_execz .LBB4_1588
; %bb.724:                              ;   in Loop: Header=BB4_356 Depth=4
	s_mov_b32 s16, -1
	s_mov_b32 s73, exec_lo
	v_cmpx_eq_u16_e32 0x80, v92
; %bb.725:                              ;   in Loop: Header=BB4_356 Depth=4
	s_xor_b32 s16, exec_lo, -1
; %bb.726:                              ;   in Loop: Header=BB4_356 Depth=4
	s_or_b32 exec_lo, exec_lo, s73
	s_and_b32 s16, s16, exec_lo
                                        ; implicit-def: $vgpr92
	s_or_saveexec_b32 s72, s72
	v_mov_b32_e32 v91, 0x7f800001
	s_xor_b32 exec_lo, exec_lo, s72
	s_cbranch_execnz .LBB4_1589
.LBB4_727:                              ;   in Loop: Header=BB4_356 Depth=4
	s_or_b32 exec_lo, exec_lo, s72
	s_and_saveexec_b32 s72, s16
	s_cbranch_execz .LBB4_729
.LBB4_728:                              ;   in Loop: Header=BB4_356 Depth=4
	v_bfe_u32 v91, v18, 16, 3
	v_bfe_u32 v94, v18, 19, 4
	v_lshlrev_b32_sdwa v95, v41, v18 dst_sel:DWORD dst_unused:UNUSED_PAD src0_sel:DWORD src1_sel:WORD_1
	v_ffbh_u32_e32 v92, v91
	v_cmp_eq_u32_e32 vcc_lo, 0, v94
	v_min_u32_e32 v92, 32, v92
	v_subrev_nc_u32_e32 v93, 28, v92
	v_sub_nc_u32_e32 v92, 29, v92
	v_lshlrev_b32_sdwa v93, v93, v18 dst_sel:DWORD dst_unused:UNUSED_PAD src0_sel:DWORD src1_sel:WORD_1
	v_cndmask_b32_e32 v92, v94, v92, vcc_lo
	v_and_b32_e32 v93, 7, v93
	v_lshl_add_u32 v92, v92, 23, 0x3b800000
	v_cndmask_b32_e32 v91, v91, v93, vcc_lo
	v_and_b32_e32 v93, 0x80000000, v95
	v_lshlrev_b32_e32 v91, 20, v91
	v_or3_b32 v91, v93, v92, v91
.LBB4_729:                              ;   in Loop: Header=BB4_356 Depth=4
	s_or_b32 exec_lo, exec_lo, s72
	v_max_f32_e32 v91, v91, v91
	v_max_f32_e32 v90, v90, v90
	s_mov_b32 s72, 0
	v_max_f32_e32 v90, v90, v91
.LBB4_730:                              ;   in Loop: Header=BB4_356 Depth=4
	s_and_b32 vcc_lo, exec_lo, s72
	s_cbranch_vccz .LBB4_744
; %bb.731:                              ;   in Loop: Header=BB4_356 Depth=4
	s_mov_b32 s16, 0
	s_mov_b32 s72, exec_lo
	v_cmpx_lt_i16_e32 0x7f, v89
	s_xor_b32 s72, exec_lo, s72
	s_cbranch_execz .LBB4_1590
; %bb.732:                              ;   in Loop: Header=BB4_356 Depth=4
	s_mov_b32 s16, -1
	s_mov_b32 s73, exec_lo
	v_cmpx_eq_u16_e32 0x80, v89
; %bb.733:                              ;   in Loop: Header=BB4_356 Depth=4
	s_xor_b32 s16, exec_lo, -1
; %bb.734:                              ;   in Loop: Header=BB4_356 Depth=4
	s_or_b32 exec_lo, exec_lo, s73
	s_and_b32 s16, s16, exec_lo
                                        ; implicit-def: $vgpr89
	s_or_saveexec_b32 s72, s72
	v_mov_b32_e32 v90, 0x7f800001
	s_xor_b32 exec_lo, exec_lo, s72
	s_cbranch_execnz .LBB4_1591
.LBB4_735:                              ;   in Loop: Header=BB4_356 Depth=4
	s_or_b32 exec_lo, exec_lo, s72
	s_and_saveexec_b32 s72, s16
	s_cbranch_execz .LBB4_737
.LBB4_736:                              ;   in Loop: Header=BB4_356 Depth=4
	v_bfe_u32 v89, v22, 16, 3
	v_bfe_u32 v92, v22, 19, 4
	v_lshlrev_b32_sdwa v93, v41, v22 dst_sel:DWORD dst_unused:UNUSED_PAD src0_sel:DWORD src1_sel:WORD_1
	v_ffbh_u32_e32 v90, v89
	v_cmp_eq_u32_e32 vcc_lo, 0, v92
	v_min_u32_e32 v90, 32, v90
	v_subrev_nc_u32_e32 v91, 28, v90
	v_sub_nc_u32_e32 v90, 29, v90
	v_lshlrev_b32_sdwa v91, v91, v22 dst_sel:DWORD dst_unused:UNUSED_PAD src0_sel:DWORD src1_sel:WORD_1
	v_cndmask_b32_e32 v90, v92, v90, vcc_lo
	v_and_b32_e32 v91, 7, v91
	v_lshl_add_u32 v90, v90, 23, 0x3b800000
	v_cndmask_b32_e32 v89, v89, v91, vcc_lo
	v_and_b32_e32 v91, 0x80000000, v93
	v_lshlrev_b32_e32 v89, 20, v89
	v_or3_b32 v90, v91, v90, v89
.LBB4_737:                              ;   in Loop: Header=BB4_356 Depth=4
	s_or_b32 exec_lo, exec_lo, s72
	v_and_b32_sdwa v91, v18, v40 dst_sel:DWORD dst_unused:UNUSED_PAD src0_sel:WORD_1 src1_sel:DWORD
	s_mov_b32 s16, 0
	s_mov_b32 s72, exec_lo
	v_cmpx_lt_i16_e32 0x7f, v91
	s_xor_b32 s72, exec_lo, s72
	s_cbranch_execz .LBB4_1592
; %bb.738:                              ;   in Loop: Header=BB4_356 Depth=4
	s_mov_b32 s16, -1
	s_mov_b32 s73, exec_lo
	v_cmpx_eq_u16_e32 0x80, v91
; %bb.739:                              ;   in Loop: Header=BB4_356 Depth=4
	s_xor_b32 s16, exec_lo, -1
; %bb.740:                              ;   in Loop: Header=BB4_356 Depth=4
	s_or_b32 exec_lo, exec_lo, s73
	s_and_b32 s16, s16, exec_lo
                                        ; implicit-def: $vgpr91
	s_or_saveexec_b32 s72, s72
	v_mov_b32_e32 v89, 0x7f800001
	s_xor_b32 exec_lo, exec_lo, s72
	s_cbranch_execnz .LBB4_1593
.LBB4_741:                              ;   in Loop: Header=BB4_356 Depth=4
	s_or_b32 exec_lo, exec_lo, s72
	s_and_saveexec_b32 s72, s16
	s_cbranch_execz .LBB4_743
.LBB4_742:                              ;   in Loop: Header=BB4_356 Depth=4
	v_bfe_u32 v89, v18, 16, 3
	v_bfe_u32 v93, v18, 19, 4
	v_lshlrev_b32_sdwa v94, v41, v18 dst_sel:DWORD dst_unused:UNUSED_PAD src0_sel:DWORD src1_sel:WORD_1
	v_ffbh_u32_e32 v91, v89
	v_cmp_eq_u32_e32 vcc_lo, 0, v93
	v_min_u32_e32 v91, 32, v91
	v_subrev_nc_u32_e32 v92, 28, v91
	v_sub_nc_u32_e32 v91, 29, v91
	v_lshlrev_b32_sdwa v92, v92, v18 dst_sel:DWORD dst_unused:UNUSED_PAD src0_sel:DWORD src1_sel:WORD_1
	v_cndmask_b32_e32 v91, v93, v91, vcc_lo
	v_and_b32_e32 v92, 7, v92
	v_lshl_add_u32 v91, v91, 23, 0x3b800000
	v_cndmask_b32_e32 v89, v89, v92, vcc_lo
	v_and_b32_e32 v92, 0x80000000, v94
	v_lshlrev_b32_e32 v89, 20, v89
	v_or3_b32 v89, v92, v91, v89
.LBB4_743:                              ;   in Loop: Header=BB4_356 Depth=4
	s_or_b32 exec_lo, exec_lo, s72
	v_max_f32_e32 v89, v89, v89
	v_max_f32_e32 v90, v90, v90
	v_min_f32_e32 v90, v90, v89
.LBB4_744:                              ;   in Loop: Header=BB4_356 Depth=4
	v_and_b32_e32 v89, 0x7f800000, v90
	v_cmp_ne_u32_e32 vcc_lo, 0x7f800000, v89
	v_mov_b32_e32 v89, 0x80
	s_and_saveexec_b32 s72, vcc_lo
	s_cbranch_execz .LBB4_752
; %bb.745:                              ;   in Loop: Header=BB4_356 Depth=4
	v_mov_b32_e32 v89, 0
	s_mov_b32 s73, exec_lo
	v_cmpx_ne_u32_e32 0, v90
	s_cbranch_execz .LBB4_751
; %bb.746:                              ;   in Loop: Header=BB4_356 Depth=4
	v_bfe_u32 v89, v90, 23, 8
	v_and_b32_e32 v91, 0x7fffff, v90
	v_sub_nc_u32_e32 v92, 0x78, v89
	v_cmp_gt_u32_e32 vcc_lo, 0x79, v89
	v_or_b32_e32 v93, 0x800000, v91
	v_cndmask_b32_e32 v92, 0, v92, vcc_lo
	v_cmp_eq_u32_e32 vcc_lo, 0, v89
	v_add_nc_u32_e32 v89, 0xffffff89, v89
	v_cndmask_b32_e64 v92, v92, 0x77, vcc_lo
	v_cndmask_b32_e32 v91, v93, v91, vcc_lo
	v_cndmask_b32_e64 v89, v89, 0xffffff8a, vcc_lo
	v_lshl_add_u32 v93, 0x100000, v92, -1
	v_lshrrev_b32_e32 v94, v92, v91
	v_lshlrev_b32_e64 v104, v92, 0x80000
	v_add_nc_u32_e32 v92, v92, v89
	v_and_b32_e32 v91, v93, v91
	v_bfe_u32 v95, v94, 20, 1
	v_cmp_eq_u32_e64 s16, v91, v104
	v_add_nc_u32_e32 v93, -1, v95
	v_cndmask_b32_e64 v91, 0, v93, s16
	v_lshrrev_b32_e32 v93, 23, v94
	s_mov_b32 s16, exec_lo
	v_add_nc_u32_e32 v91, v91, v94
	v_xor_b32_e32 v93, 1, v93
	v_and_b32_e32 v89, 0xfffff, v91
	v_add_nc_u32_e32 v91, v89, v94
                                        ; implicit-def: $vgpr89
	v_cmpx_ne_u32_e64 v92, v93
	s_xor_b32 s16, exec_lo, s16
; %bb.747:                              ;   in Loop: Header=BB4_356 Depth=4
	v_cmp_lt_u32_e32 vcc_lo, 0xffffff, v91
	v_sub_nc_u32_e32 v89, v92, v93
	v_cndmask_b32_e64 v92, 0, 1, vcc_lo
	v_add_co_ci_u32_e64 v89, null, 0, v89, vcc_lo
	v_lshrrev_b32_e32 v91, v92, v91
; %bb.748:                              ;   in Loop: Header=BB4_356 Depth=4
	s_andn2_saveexec_b32 s16, s16
; %bb.749:                              ;   in Loop: Header=BB4_356 Depth=4
	v_bfe_u32 v89, v91, 23, 1
; %bb.750:                              ;   in Loop: Header=BB4_356 Depth=4
	s_or_b32 exec_lo, exec_lo, s16
	v_lshrrev_b32_e32 v91, 20, v91
	v_min_i32_e32 v92, 15, v89
	v_cmp_gt_i32_e32 vcc_lo, 16, v89
	v_and_b32_sdwa v90, v90, v118 dst_sel:DWORD dst_unused:UNUSED_PAD src0_sel:BYTE_3 src1_sel:DWORD
	v_lshlrev_b32_e32 v92, 3, v92
	v_cndmask_b32_e32 v91, 7, v91, vcc_lo
	v_and_b32_e32 v92, 0xf8, v92
	v_and_b32_e32 v93, 7, v91
	v_or_b32_e32 v89, v89, v91
	v_or3_b32 v90, v92, v90, v93
	v_cmp_ne_u32_e32 vcc_lo, 0, v89
	v_cndmask_b32_e32 v89, 0, v90, vcc_lo
.LBB4_751:                              ;   in Loop: Header=BB4_356 Depth=4
	s_or_b32 exec_lo, exec_lo, s73
.LBB4_752:                              ;   in Loop: Header=BB4_356 Depth=4
	s_or_b32 exec_lo, exec_lo, s72
	v_cmp_gt_i16_sdwa s72, v22, v117 src0_sel:BYTE_3 src1_sel:DWORD
	s_and_b32 vcc_lo, exec_lo, s63
	s_mov_b32 s16, -1
                                        ; implicit-def: $vgpr90
	s_cbranch_vccz .LBB4_766
; %bb.753:                              ;   in Loop: Header=BB4_356 Depth=4
	s_mov_b32 s16, 0
	s_and_saveexec_b32 s73, s72
	s_xor_b32 s72, exec_lo, s73
	s_cbranch_execz .LBB4_1594
; %bb.754:                              ;   in Loop: Header=BB4_356 Depth=4
	v_cmp_eq_u16_sdwa s74, v22, v118 src0_sel:BYTE_3 src1_sel:DWORD
	s_mov_b32 s16, -1
	s_and_saveexec_b32 s73, s74
; %bb.755:                              ;   in Loop: Header=BB4_356 Depth=4
	s_xor_b32 s16, exec_lo, -1
; %bb.756:                              ;   in Loop: Header=BB4_356 Depth=4
	s_or_b32 exec_lo, exec_lo, s73
	s_and_b32 s16, s16, exec_lo
	s_or_saveexec_b32 s72, s72
	v_mov_b32_e32 v90, 0x7f800001
	s_xor_b32 exec_lo, exec_lo, s72
	s_cbranch_execnz .LBB4_1595
.LBB4_757:                              ;   in Loop: Header=BB4_356 Depth=4
	s_or_b32 exec_lo, exec_lo, s72
	s_and_saveexec_b32 s72, s16
	s_cbranch_execz .LBB4_759
.LBB4_758:                              ;   in Loop: Header=BB4_356 Depth=4
	v_bfe_u32 v90, v22, 24, 3
	v_bfe_u32 v93, v22, 27, 4
	v_ffbh_u32_e32 v91, v90
	v_cmp_eq_u32_e32 vcc_lo, 0, v93
	v_min_u32_e32 v91, 32, v91
	v_subrev_nc_u32_e32 v92, 28, v91
	v_sub_nc_u32_e32 v91, 29, v91
	v_lshlrev_b32_sdwa v92, v92, v22 dst_sel:DWORD dst_unused:UNUSED_PAD src0_sel:DWORD src1_sel:BYTE_3
	v_cndmask_b32_e32 v91, v93, v91, vcc_lo
	v_and_b32_e32 v92, 7, v92
	v_lshl_add_u32 v91, v91, 23, 0x3b800000
	v_cndmask_b32_e32 v90, v90, v92, vcc_lo
	v_and_b32_e32 v92, 0x80000000, v22
	v_lshlrev_b32_e32 v90, 20, v90
	v_or3_b32 v90, v92, v91, v90
.LBB4_759:                              ;   in Loop: Header=BB4_356 Depth=4
	s_or_b32 exec_lo, exec_lo, s72
	v_cmp_gt_i16_sdwa s72, v18, v117 src0_sel:BYTE_3 src1_sel:DWORD
	s_mov_b32 s16, 0
	s_and_saveexec_b32 s73, s72
	s_xor_b32 s72, exec_lo, s73
	s_cbranch_execz .LBB4_1596
; %bb.760:                              ;   in Loop: Header=BB4_356 Depth=4
	v_cmp_eq_u16_sdwa s74, v18, v118 src0_sel:BYTE_3 src1_sel:DWORD
	s_mov_b32 s16, -1
	s_and_saveexec_b32 s73, s74
; %bb.761:                              ;   in Loop: Header=BB4_356 Depth=4
	s_xor_b32 s16, exec_lo, -1
; %bb.762:                              ;   in Loop: Header=BB4_356 Depth=4
	s_or_b32 exec_lo, exec_lo, s73
	s_and_b32 s16, s16, exec_lo
	s_or_saveexec_b32 s72, s72
	v_mov_b32_e32 v91, 0x7f800001
	s_xor_b32 exec_lo, exec_lo, s72
	s_cbranch_execnz .LBB4_1597
.LBB4_763:                              ;   in Loop: Header=BB4_356 Depth=4
	s_or_b32 exec_lo, exec_lo, s72
	s_and_saveexec_b32 s72, s16
	s_cbranch_execz .LBB4_765
.LBB4_764:                              ;   in Loop: Header=BB4_356 Depth=4
	v_bfe_u32 v91, v18, 24, 3
	v_bfe_u32 v94, v18, 27, 4
	v_ffbh_u32_e32 v92, v91
	v_cmp_eq_u32_e32 vcc_lo, 0, v94
	v_min_u32_e32 v92, 32, v92
	v_subrev_nc_u32_e32 v93, 28, v92
	v_sub_nc_u32_e32 v92, 29, v92
	v_lshlrev_b32_sdwa v93, v93, v18 dst_sel:DWORD dst_unused:UNUSED_PAD src0_sel:DWORD src1_sel:BYTE_3
	v_cndmask_b32_e32 v92, v94, v92, vcc_lo
	v_and_b32_e32 v93, 7, v93
	v_lshl_add_u32 v92, v92, 23, 0x3b800000
	v_cndmask_b32_e32 v91, v91, v93, vcc_lo
	v_and_b32_e32 v93, 0x80000000, v18
	v_lshlrev_b32_e32 v91, 20, v91
	v_or3_b32 v91, v93, v92, v91
.LBB4_765:                              ;   in Loop: Header=BB4_356 Depth=4
	s_or_b32 exec_lo, exec_lo, s72
	v_max_f32_e32 v91, v91, v91
	v_max_f32_e32 v90, v90, v90
	s_mov_b32 s16, 0
	v_max_f32_e32 v90, v90, v91
.LBB4_766:                              ;   in Loop: Header=BB4_356 Depth=4
	s_and_b32 vcc_lo, exec_lo, s16
	s_cbranch_vccz .LBB4_780
; %bb.767:                              ;   in Loop: Header=BB4_356 Depth=4
	v_cmp_gt_i16_sdwa s72, v22, v117 src0_sel:BYTE_3 src1_sel:DWORD
	s_mov_b32 s16, 0
	s_and_saveexec_b32 s73, s72
	s_xor_b32 s72, exec_lo, s73
	s_cbranch_execz .LBB4_1598
; %bb.768:                              ;   in Loop: Header=BB4_356 Depth=4
	v_cmp_eq_u16_sdwa s74, v22, v118 src0_sel:BYTE_3 src1_sel:DWORD
	s_mov_b32 s16, -1
	s_and_saveexec_b32 s73, s74
; %bb.769:                              ;   in Loop: Header=BB4_356 Depth=4
	s_xor_b32 s16, exec_lo, -1
; %bb.770:                              ;   in Loop: Header=BB4_356 Depth=4
	s_or_b32 exec_lo, exec_lo, s73
	s_and_b32 s16, s16, exec_lo
	s_or_saveexec_b32 s72, s72
	v_mov_b32_e32 v90, 0x7f800001
	s_xor_b32 exec_lo, exec_lo, s72
	s_cbranch_execnz .LBB4_1599
.LBB4_771:                              ;   in Loop: Header=BB4_356 Depth=4
	s_or_b32 exec_lo, exec_lo, s72
	s_and_saveexec_b32 s72, s16
	s_cbranch_execz .LBB4_773
.LBB4_772:                              ;   in Loop: Header=BB4_356 Depth=4
	v_bfe_u32 v90, v22, 24, 3
	v_bfe_u32 v93, v22, 27, 4
	v_ffbh_u32_e32 v91, v90
	v_cmp_eq_u32_e32 vcc_lo, 0, v93
	v_min_u32_e32 v91, 32, v91
	v_subrev_nc_u32_e32 v92, 28, v91
	v_sub_nc_u32_e32 v91, 29, v91
	v_lshlrev_b32_sdwa v92, v92, v22 dst_sel:DWORD dst_unused:UNUSED_PAD src0_sel:DWORD src1_sel:BYTE_3
	v_cndmask_b32_e32 v91, v93, v91, vcc_lo
	v_and_b32_e32 v22, 0x80000000, v22
	v_and_b32_e32 v92, 7, v92
	v_lshl_add_u32 v91, v91, 23, 0x3b800000
	v_cndmask_b32_e32 v90, v90, v92, vcc_lo
	v_lshlrev_b32_e32 v90, 20, v90
	v_or3_b32 v90, v22, v91, v90
.LBB4_773:                              ;   in Loop: Header=BB4_356 Depth=4
	s_or_b32 exec_lo, exec_lo, s72
	v_cmp_gt_i16_sdwa s72, v18, v117 src0_sel:BYTE_3 src1_sel:DWORD
	s_mov_b32 s16, 0
	s_and_saveexec_b32 s73, s72
	s_xor_b32 s72, exec_lo, s73
	s_cbranch_execz .LBB4_1600
; %bb.774:                              ;   in Loop: Header=BB4_356 Depth=4
	v_cmp_eq_u16_sdwa s74, v18, v118 src0_sel:BYTE_3 src1_sel:DWORD
	s_mov_b32 s16, -1
	s_and_saveexec_b32 s73, s74
; %bb.775:                              ;   in Loop: Header=BB4_356 Depth=4
	s_xor_b32 s16, exec_lo, -1
; %bb.776:                              ;   in Loop: Header=BB4_356 Depth=4
	s_or_b32 exec_lo, exec_lo, s73
	s_and_b32 s16, s16, exec_lo
	s_or_saveexec_b32 s72, s72
	v_mov_b32_e32 v22, 0x7f800001
	s_xor_b32 exec_lo, exec_lo, s72
	s_cbranch_execnz .LBB4_1601
.LBB4_777:                              ;   in Loop: Header=BB4_356 Depth=4
	s_or_b32 exec_lo, exec_lo, s72
	s_and_saveexec_b32 s72, s16
	s_cbranch_execz .LBB4_779
.LBB4_778:                              ;   in Loop: Header=BB4_356 Depth=4
	v_bfe_u32 v22, v18, 24, 3
	v_bfe_u32 v93, v18, 27, 4
	v_ffbh_u32_e32 v91, v22
	v_cmp_eq_u32_e32 vcc_lo, 0, v93
	v_min_u32_e32 v91, 32, v91
	v_subrev_nc_u32_e32 v92, 28, v91
	v_sub_nc_u32_e32 v91, 29, v91
	v_lshlrev_b32_sdwa v92, v92, v18 dst_sel:DWORD dst_unused:UNUSED_PAD src0_sel:DWORD src1_sel:BYTE_3
	v_cndmask_b32_e32 v91, v93, v91, vcc_lo
	v_and_b32_e32 v18, 0x80000000, v18
	v_and_b32_e32 v92, 7, v92
	v_lshl_add_u32 v91, v91, 23, 0x3b800000
	v_cndmask_b32_e32 v22, v22, v92, vcc_lo
	v_lshlrev_b32_e32 v22, 20, v22
	v_or3_b32 v22, v18, v91, v22
.LBB4_779:                              ;   in Loop: Header=BB4_356 Depth=4
	s_or_b32 exec_lo, exec_lo, s72
	v_max_f32_e32 v18, v22, v22
	v_max_f32_e32 v22, v90, v90
	v_min_f32_e32 v90, v22, v18
.LBB4_780:                              ;   in Loop: Header=BB4_356 Depth=4
	v_and_b32_e32 v18, 0x7f800000, v90
	v_cmp_ne_u32_e32 vcc_lo, 0x7f800000, v18
	v_mov_b32_e32 v18, 0x8000
	s_and_saveexec_b32 s72, vcc_lo
	s_cbranch_execz .LBB4_788
; %bb.781:                              ;   in Loop: Header=BB4_356 Depth=4
	v_mov_b32_e32 v18, 0
	s_mov_b32 s73, exec_lo
	v_cmpx_ne_u32_e32 0, v90
	s_cbranch_execz .LBB4_787
; %bb.782:                              ;   in Loop: Header=BB4_356 Depth=4
	v_bfe_u32 v18, v90, 23, 8
	v_and_b32_e32 v22, 0x7fffff, v90
	v_sub_nc_u32_e32 v91, 0x78, v18
	v_cmp_gt_u32_e32 vcc_lo, 0x79, v18
	v_or_b32_e32 v92, 0x800000, v22
	v_cndmask_b32_e32 v91, 0, v91, vcc_lo
	v_cmp_eq_u32_e32 vcc_lo, 0, v18
	v_add_nc_u32_e32 v18, 0xffffff89, v18
	v_cndmask_b32_e64 v91, v91, 0x77, vcc_lo
	v_cndmask_b32_e32 v22, v92, v22, vcc_lo
	v_cndmask_b32_e64 v18, v18, 0xffffff8a, vcc_lo
	v_lshl_add_u32 v92, 0x100000, v91, -1
	v_lshrrev_b32_e32 v93, v91, v22
	v_lshlrev_b32_e64 v95, v91, 0x80000
	v_add_nc_u32_e32 v91, v91, v18
	v_and_b32_e32 v22, v92, v22
	v_bfe_u32 v94, v93, 20, 1
	v_cmp_eq_u32_e64 s16, v22, v95
	v_add_nc_u32_e32 v92, -1, v94
	v_cndmask_b32_e64 v22, 0, v92, s16
	v_lshrrev_b32_e32 v92, 23, v93
	s_mov_b32 s16, exec_lo
	v_add_nc_u32_e32 v22, v22, v93
	v_xor_b32_e32 v92, 1, v92
	v_and_b32_e32 v18, 0xfffff, v22
	v_add_nc_u32_e32 v22, v18, v93
                                        ; implicit-def: $vgpr18
	v_cmpx_ne_u32_e64 v91, v92
	s_xor_b32 s16, exec_lo, s16
; %bb.783:                              ;   in Loop: Header=BB4_356 Depth=4
	v_cmp_lt_u32_e32 vcc_lo, 0xffffff, v22
	v_sub_nc_u32_e32 v18, v91, v92
	v_cndmask_b32_e64 v91, 0, 1, vcc_lo
	v_add_co_ci_u32_e64 v18, null, 0, v18, vcc_lo
	v_lshrrev_b32_e32 v22, v91, v22
; %bb.784:                              ;   in Loop: Header=BB4_356 Depth=4
	s_andn2_saveexec_b32 s16, s16
; %bb.785:                              ;   in Loop: Header=BB4_356 Depth=4
	v_bfe_u32 v18, v22, 23, 1
; %bb.786:                              ;   in Loop: Header=BB4_356 Depth=4
	s_or_b32 exec_lo, exec_lo, s16
	v_lshrrev_b32_e32 v22, 20, v22
	v_min_i32_e32 v91, 15, v18
	v_cmp_gt_i32_e32 vcc_lo, 16, v18
	v_and_b32_sdwa v90, v90, v118 dst_sel:DWORD dst_unused:UNUSED_PAD src0_sel:BYTE_3 src1_sel:DWORD
	v_lshlrev_b32_e32 v91, 3, v91
	v_cndmask_b32_e32 v22, 7, v22, vcc_lo
	v_and_b32_e32 v91, 0xf8, v91
	v_and_b32_e32 v92, 7, v22
	v_or_b32_e32 v18, v18, v22
	v_or3_b32 v90, v90, v91, v92
	v_cmp_ne_u32_e32 vcc_lo, 0, v18
	v_lshlrev_b32_e32 v22, 8, v90
	v_cndmask_b32_e32 v18, 0, v22, vcc_lo
.LBB4_787:                              ;   in Loop: Header=BB4_356 Depth=4
	s_or_b32 exec_lo, exec_lo, s73
.LBB4_788:                              ;   in Loop: Header=BB4_356 Depth=4
	s_or_b32 exec_lo, exec_lo, s72
	v_cmp_gt_i16_sdwa s72, v23, v117 src0_sel:BYTE_0 src1_sel:DWORD
	s_and_b32 vcc_lo, exec_lo, s63
	s_mov_b32 s16, -1
                                        ; implicit-def: $vgpr90
	s_cbranch_vccz .LBB4_802
; %bb.789:                              ;   in Loop: Header=BB4_356 Depth=4
	s_mov_b32 s16, 0
	s_and_saveexec_b32 s73, s72
	s_xor_b32 s72, exec_lo, s73
	s_cbranch_execz .LBB4_1602
; %bb.790:                              ;   in Loop: Header=BB4_356 Depth=4
	v_cmp_eq_u16_sdwa s74, v23, v118 src0_sel:BYTE_0 src1_sel:DWORD
	s_mov_b32 s16, -1
	s_and_saveexec_b32 s73, s74
; %bb.791:                              ;   in Loop: Header=BB4_356 Depth=4
	s_xor_b32 s16, exec_lo, -1
; %bb.792:                              ;   in Loop: Header=BB4_356 Depth=4
	s_or_b32 exec_lo, exec_lo, s73
	s_and_b32 s16, s16, exec_lo
	s_or_saveexec_b32 s72, s72
	v_mov_b32_e32 v22, 0x7f800001
	s_xor_b32 exec_lo, exec_lo, s72
	s_cbranch_execnz .LBB4_1603
.LBB4_793:                              ;   in Loop: Header=BB4_356 Depth=4
	s_or_b32 exec_lo, exec_lo, s72
	s_and_saveexec_b32 s72, s16
	s_cbranch_execz .LBB4_795
.LBB4_794:                              ;   in Loop: Header=BB4_356 Depth=4
	v_and_b32_e32 v22, 7, v23
	v_bfe_u32 v92, v23, 3, 4
	v_lshlrev_b32_e32 v93, 24, v23
	v_ffbh_u32_e32 v90, v22
	v_cmp_eq_u32_e32 vcc_lo, 0, v92
	v_min_u32_e32 v90, 32, v90
	v_subrev_nc_u32_e32 v91, 28, v90
	v_sub_nc_u32_e32 v90, 29, v90
	v_lshlrev_b32_e32 v91, v91, v23
	v_cndmask_b32_e32 v90, v92, v90, vcc_lo
	v_and_b32_e32 v91, 7, v91
	v_lshl_add_u32 v90, v90, 23, 0x3b800000
	v_cndmask_b32_e32 v22, v22, v91, vcc_lo
	v_and_b32_e32 v91, 0x80000000, v93
	v_lshlrev_b32_e32 v22, 20, v22
	v_or3_b32 v22, v91, v90, v22
.LBB4_795:                              ;   in Loop: Header=BB4_356 Depth=4
	s_or_b32 exec_lo, exec_lo, s72
	v_cmp_gt_i16_sdwa s72, v19, v117 src0_sel:BYTE_0 src1_sel:DWORD
	s_mov_b32 s16, 0
	s_and_saveexec_b32 s73, s72
	s_xor_b32 s72, exec_lo, s73
	s_cbranch_execz .LBB4_1604
; %bb.796:                              ;   in Loop: Header=BB4_356 Depth=4
	v_cmp_eq_u16_sdwa s74, v19, v118 src0_sel:BYTE_0 src1_sel:DWORD
	s_mov_b32 s16, -1
	s_and_saveexec_b32 s73, s74
; %bb.797:                              ;   in Loop: Header=BB4_356 Depth=4
	s_xor_b32 s16, exec_lo, -1
; %bb.798:                              ;   in Loop: Header=BB4_356 Depth=4
	s_or_b32 exec_lo, exec_lo, s73
	s_and_b32 s16, s16, exec_lo
	s_or_saveexec_b32 s72, s72
	v_mov_b32_e32 v90, 0x7f800001
	s_xor_b32 exec_lo, exec_lo, s72
	s_cbranch_execnz .LBB4_1605
.LBB4_799:                              ;   in Loop: Header=BB4_356 Depth=4
	s_or_b32 exec_lo, exec_lo, s72
	s_and_saveexec_b32 s72, s16
	s_cbranch_execz .LBB4_801
.LBB4_800:                              ;   in Loop: Header=BB4_356 Depth=4
	v_and_b32_e32 v90, 7, v19
	v_bfe_u32 v93, v19, 3, 4
	v_lshlrev_b32_e32 v94, 24, v19
	v_ffbh_u32_e32 v91, v90
	v_cmp_eq_u32_e32 vcc_lo, 0, v93
	v_min_u32_e32 v91, 32, v91
	v_subrev_nc_u32_e32 v92, 28, v91
	v_sub_nc_u32_e32 v91, 29, v91
	v_lshlrev_b32_e32 v92, v92, v19
	v_cndmask_b32_e32 v91, v93, v91, vcc_lo
	v_and_b32_e32 v92, 7, v92
	v_lshl_add_u32 v91, v91, 23, 0x3b800000
	v_cndmask_b32_e32 v90, v90, v92, vcc_lo
	v_and_b32_e32 v92, 0x80000000, v94
	v_lshlrev_b32_e32 v90, 20, v90
	v_or3_b32 v90, v92, v91, v90
.LBB4_801:                              ;   in Loop: Header=BB4_356 Depth=4
	s_or_b32 exec_lo, exec_lo, s72
	v_max_f32_e32 v90, v90, v90
	v_max_f32_e32 v22, v22, v22
	s_mov_b32 s16, 0
	v_max_f32_e32 v90, v22, v90
.LBB4_802:                              ;   in Loop: Header=BB4_356 Depth=4
	s_and_b32 vcc_lo, exec_lo, s16
	s_cbranch_vccz .LBB4_816
; %bb.803:                              ;   in Loop: Header=BB4_356 Depth=4
	v_cmp_gt_i16_sdwa s72, v23, v117 src0_sel:BYTE_0 src1_sel:DWORD
	s_mov_b32 s16, 0
	s_and_saveexec_b32 s73, s72
	s_xor_b32 s72, exec_lo, s73
	s_cbranch_execz .LBB4_1606
; %bb.804:                              ;   in Loop: Header=BB4_356 Depth=4
	v_cmp_eq_u16_sdwa s74, v23, v118 src0_sel:BYTE_0 src1_sel:DWORD
	s_mov_b32 s16, -1
	s_and_saveexec_b32 s73, s74
; %bb.805:                              ;   in Loop: Header=BB4_356 Depth=4
	s_xor_b32 s16, exec_lo, -1
; %bb.806:                              ;   in Loop: Header=BB4_356 Depth=4
	s_or_b32 exec_lo, exec_lo, s73
	s_and_b32 s16, s16, exec_lo
	s_or_saveexec_b32 s72, s72
	v_mov_b32_e32 v22, 0x7f800001
	s_xor_b32 exec_lo, exec_lo, s72
	s_cbranch_execnz .LBB4_1607
.LBB4_807:                              ;   in Loop: Header=BB4_356 Depth=4
	s_or_b32 exec_lo, exec_lo, s72
	s_and_saveexec_b32 s72, s16
	s_cbranch_execz .LBB4_809
.LBB4_808:                              ;   in Loop: Header=BB4_356 Depth=4
	v_and_b32_e32 v22, 7, v23
	v_bfe_u32 v92, v23, 3, 4
	v_lshlrev_b32_e32 v93, 24, v23
	v_ffbh_u32_e32 v90, v22
	v_cmp_eq_u32_e32 vcc_lo, 0, v92
	v_min_u32_e32 v90, 32, v90
	v_subrev_nc_u32_e32 v91, 28, v90
	v_sub_nc_u32_e32 v90, 29, v90
	v_lshlrev_b32_e32 v91, v91, v23
	v_cndmask_b32_e32 v90, v92, v90, vcc_lo
	v_and_b32_e32 v91, 7, v91
	v_lshl_add_u32 v90, v90, 23, 0x3b800000
	v_cndmask_b32_e32 v22, v22, v91, vcc_lo
	v_and_b32_e32 v91, 0x80000000, v93
	v_lshlrev_b32_e32 v22, 20, v22
	v_or3_b32 v22, v91, v90, v22
.LBB4_809:                              ;   in Loop: Header=BB4_356 Depth=4
	s_or_b32 exec_lo, exec_lo, s72
	v_cmp_gt_i16_sdwa s72, v19, v117 src0_sel:BYTE_0 src1_sel:DWORD
	s_mov_b32 s16, 0
	s_and_saveexec_b32 s73, s72
	s_xor_b32 s72, exec_lo, s73
	s_cbranch_execz .LBB4_1608
; %bb.810:                              ;   in Loop: Header=BB4_356 Depth=4
	v_cmp_eq_u16_sdwa s74, v19, v118 src0_sel:BYTE_0 src1_sel:DWORD
	s_mov_b32 s16, -1
	s_and_saveexec_b32 s73, s74
; %bb.811:                              ;   in Loop: Header=BB4_356 Depth=4
	s_xor_b32 s16, exec_lo, -1
; %bb.812:                              ;   in Loop: Header=BB4_356 Depth=4
	s_or_b32 exec_lo, exec_lo, s73
	s_and_b32 s16, s16, exec_lo
	s_or_saveexec_b32 s72, s72
	v_mov_b32_e32 v90, 0x7f800001
	s_xor_b32 exec_lo, exec_lo, s72
	s_cbranch_execnz .LBB4_1609
.LBB4_813:                              ;   in Loop: Header=BB4_356 Depth=4
	s_or_b32 exec_lo, exec_lo, s72
	s_and_saveexec_b32 s72, s16
	s_cbranch_execz .LBB4_815
.LBB4_814:                              ;   in Loop: Header=BB4_356 Depth=4
	v_and_b32_e32 v90, 7, v19
	v_bfe_u32 v93, v19, 3, 4
	v_lshlrev_b32_e32 v94, 24, v19
	v_ffbh_u32_e32 v91, v90
	v_cmp_eq_u32_e32 vcc_lo, 0, v93
	v_min_u32_e32 v91, 32, v91
	v_subrev_nc_u32_e32 v92, 28, v91
	v_sub_nc_u32_e32 v91, 29, v91
	v_lshlrev_b32_e32 v92, v92, v19
	v_cndmask_b32_e32 v91, v93, v91, vcc_lo
	v_and_b32_e32 v92, 7, v92
	v_lshl_add_u32 v91, v91, 23, 0x3b800000
	v_cndmask_b32_e32 v90, v90, v92, vcc_lo
	v_and_b32_e32 v92, 0x80000000, v94
	v_lshlrev_b32_e32 v90, 20, v90
	v_or3_b32 v90, v92, v91, v90
.LBB4_815:                              ;   in Loop: Header=BB4_356 Depth=4
	s_or_b32 exec_lo, exec_lo, s72
	v_max_f32_e32 v90, v90, v90
	v_max_f32_e32 v22, v22, v22
	v_min_f32_e32 v90, v22, v90
.LBB4_816:                              ;   in Loop: Header=BB4_356 Depth=4
	v_and_b32_e32 v22, 0x7f800000, v90
	v_cmp_ne_u32_e32 vcc_lo, 0x7f800000, v22
	v_mov_b32_e32 v22, 0x80
	s_and_saveexec_b32 s72, vcc_lo
	s_cbranch_execz .LBB4_824
; %bb.817:                              ;   in Loop: Header=BB4_356 Depth=4
	v_mov_b32_e32 v22, 0
	s_mov_b32 s73, exec_lo
	v_cmpx_ne_u32_e32 0, v90
	s_cbranch_execz .LBB4_823
; %bb.818:                              ;   in Loop: Header=BB4_356 Depth=4
	v_bfe_u32 v22, v90, 23, 8
	v_and_b32_e32 v91, 0x7fffff, v90
	v_sub_nc_u32_e32 v92, 0x78, v22
	v_cmp_gt_u32_e32 vcc_lo, 0x79, v22
	v_or_b32_e32 v93, 0x800000, v91
	v_cndmask_b32_e32 v92, 0, v92, vcc_lo
	v_cmp_eq_u32_e32 vcc_lo, 0, v22
	v_add_nc_u32_e32 v22, 0xffffff89, v22
	v_cndmask_b32_e64 v92, v92, 0x77, vcc_lo
	v_cndmask_b32_e32 v91, v93, v91, vcc_lo
	v_cndmask_b32_e64 v22, v22, 0xffffff8a, vcc_lo
	v_lshl_add_u32 v93, 0x100000, v92, -1
	v_lshrrev_b32_e32 v94, v92, v91
	v_lshlrev_b32_e64 v104, v92, 0x80000
	v_add_nc_u32_e32 v92, v92, v22
	v_and_b32_e32 v91, v93, v91
	v_bfe_u32 v95, v94, 20, 1
	v_cmp_eq_u32_e64 s16, v91, v104
	v_add_nc_u32_e32 v93, -1, v95
	v_cndmask_b32_e64 v91, 0, v93, s16
	v_lshrrev_b32_e32 v93, 23, v94
	s_mov_b32 s16, exec_lo
	v_add_nc_u32_e32 v91, v91, v94
	v_xor_b32_e32 v93, 1, v93
	v_and_b32_e32 v22, 0xfffff, v91
	v_add_nc_u32_e32 v91, v22, v94
                                        ; implicit-def: $vgpr22
	v_cmpx_ne_u32_e64 v92, v93
	s_xor_b32 s16, exec_lo, s16
; %bb.819:                              ;   in Loop: Header=BB4_356 Depth=4
	v_cmp_lt_u32_e32 vcc_lo, 0xffffff, v91
	v_sub_nc_u32_e32 v22, v92, v93
	v_cndmask_b32_e64 v92, 0, 1, vcc_lo
	v_add_co_ci_u32_e64 v22, null, 0, v22, vcc_lo
	v_lshrrev_b32_e32 v91, v92, v91
; %bb.820:                              ;   in Loop: Header=BB4_356 Depth=4
	s_andn2_saveexec_b32 s16, s16
; %bb.821:                              ;   in Loop: Header=BB4_356 Depth=4
	v_bfe_u32 v22, v91, 23, 1
; %bb.822:                              ;   in Loop: Header=BB4_356 Depth=4
	s_or_b32 exec_lo, exec_lo, s16
	v_lshrrev_b32_e32 v91, 20, v91
	v_min_i32_e32 v92, 15, v22
	v_cmp_gt_i32_e32 vcc_lo, 16, v22
	v_and_b32_sdwa v90, v90, v118 dst_sel:DWORD dst_unused:UNUSED_PAD src0_sel:BYTE_3 src1_sel:DWORD
	v_lshlrev_b32_e32 v92, 3, v92
	v_cndmask_b32_e32 v91, 7, v91, vcc_lo
	v_and_b32_e32 v92, 0xf8, v92
	v_and_b32_e32 v93, 7, v91
	v_or_b32_e32 v22, v22, v91
	v_or3_b32 v90, v92, v90, v93
	v_cmp_ne_u32_e32 vcc_lo, 0, v22
	v_cndmask_b32_e32 v22, 0, v90, vcc_lo
.LBB4_823:                              ;   in Loop: Header=BB4_356 Depth=4
	s_or_b32 exec_lo, exec_lo, s73
.LBB4_824:                              ;   in Loop: Header=BB4_356 Depth=4
	s_or_b32 exec_lo, exec_lo, s72
	v_cmp_gt_i16_sdwa s72, v23, v117 src0_sel:BYTE_1 src1_sel:DWORD
	s_and_b32 vcc_lo, exec_lo, s63
	s_mov_b32 s16, -1
                                        ; implicit-def: $vgpr91
	s_cbranch_vccz .LBB4_838
; %bb.825:                              ;   in Loop: Header=BB4_356 Depth=4
	s_mov_b32 s16, 0
	s_and_saveexec_b32 s73, s72
	s_xor_b32 s72, exec_lo, s73
	s_cbranch_execz .LBB4_1610
; %bb.826:                              ;   in Loop: Header=BB4_356 Depth=4
	v_cmp_eq_u16_sdwa s74, v23, v118 src0_sel:BYTE_1 src1_sel:DWORD
	s_mov_b32 s16, -1
	s_and_saveexec_b32 s73, s74
; %bb.827:                              ;   in Loop: Header=BB4_356 Depth=4
	s_xor_b32 s16, exec_lo, -1
; %bb.828:                              ;   in Loop: Header=BB4_356 Depth=4
	s_or_b32 exec_lo, exec_lo, s73
	s_and_b32 s16, s16, exec_lo
	s_or_saveexec_b32 s72, s72
	v_mov_b32_e32 v90, 0x7f800001
	s_xor_b32 exec_lo, exec_lo, s72
	s_cbranch_execnz .LBB4_1611
.LBB4_829:                              ;   in Loop: Header=BB4_356 Depth=4
	s_or_b32 exec_lo, exec_lo, s72
	s_and_saveexec_b32 s72, s16
	s_cbranch_execz .LBB4_831
.LBB4_830:                              ;   in Loop: Header=BB4_356 Depth=4
	v_and_b32_sdwa v90, v119, v23 dst_sel:DWORD dst_unused:UNUSED_PAD src0_sel:DWORD src1_sel:BYTE_1
	v_and_b32_e32 v91, 7, v90
	v_bfe_u32 v94, v90, 3, 4
	v_ffbh_u32_e32 v92, v91
	v_cmp_eq_u32_e32 vcc_lo, 0, v94
	v_min_u32_e32 v92, 32, v92
	v_subrev_nc_u32_e32 v93, 28, v92
	v_sub_nc_u32_e32 v92, 29, v92
	v_lshlrev_b32_e32 v90, v93, v90
	v_lshlrev_b32_e32 v93, 16, v23
	v_cndmask_b32_e32 v92, v94, v92, vcc_lo
	v_and_b32_e32 v90, 7, v90
	v_lshl_add_u32 v92, v92, 23, 0x3b800000
	v_cndmask_b32_e32 v90, v91, v90, vcc_lo
	v_and_b32_e32 v91, 0x80000000, v93
	v_lshlrev_b32_e32 v90, 20, v90
	v_or3_b32 v90, v91, v92, v90
.LBB4_831:                              ;   in Loop: Header=BB4_356 Depth=4
	s_or_b32 exec_lo, exec_lo, s72
	v_cmp_gt_i16_sdwa s72, v19, v117 src0_sel:BYTE_1 src1_sel:DWORD
	s_mov_b32 s16, 0
	s_and_saveexec_b32 s73, s72
	s_xor_b32 s72, exec_lo, s73
	s_cbranch_execz .LBB4_1612
; %bb.832:                              ;   in Loop: Header=BB4_356 Depth=4
	v_cmp_eq_u16_sdwa s74, v19, v118 src0_sel:BYTE_1 src1_sel:DWORD
	s_mov_b32 s16, -1
	s_and_saveexec_b32 s73, s74
; %bb.833:                              ;   in Loop: Header=BB4_356 Depth=4
	s_xor_b32 s16, exec_lo, -1
; %bb.834:                              ;   in Loop: Header=BB4_356 Depth=4
	s_or_b32 exec_lo, exec_lo, s73
	s_and_b32 s16, s16, exec_lo
	s_or_saveexec_b32 s72, s72
	v_mov_b32_e32 v91, 0x7f800001
	s_xor_b32 exec_lo, exec_lo, s72
	s_cbranch_execnz .LBB4_1613
.LBB4_835:                              ;   in Loop: Header=BB4_356 Depth=4
	s_or_b32 exec_lo, exec_lo, s72
	s_and_saveexec_b32 s72, s16
	s_cbranch_execz .LBB4_837
.LBB4_836:                              ;   in Loop: Header=BB4_356 Depth=4
	v_and_b32_sdwa v91, v119, v19 dst_sel:DWORD dst_unused:UNUSED_PAD src0_sel:DWORD src1_sel:BYTE_1
	v_and_b32_e32 v92, 7, v91
	v_bfe_u32 v95, v91, 3, 4
	v_ffbh_u32_e32 v93, v92
	v_cmp_eq_u32_e32 vcc_lo, 0, v95
	v_min_u32_e32 v93, 32, v93
	v_subrev_nc_u32_e32 v94, 28, v93
	v_sub_nc_u32_e32 v93, 29, v93
	v_lshlrev_b32_e32 v91, v94, v91
	v_lshlrev_b32_e32 v94, 16, v19
	v_cndmask_b32_e32 v93, v95, v93, vcc_lo
	v_and_b32_e32 v91, 7, v91
	v_lshl_add_u32 v93, v93, 23, 0x3b800000
	v_cndmask_b32_e32 v91, v92, v91, vcc_lo
	v_and_b32_e32 v92, 0x80000000, v94
	v_lshlrev_b32_e32 v91, 20, v91
	v_or3_b32 v91, v92, v93, v91
.LBB4_837:                              ;   in Loop: Header=BB4_356 Depth=4
	s_or_b32 exec_lo, exec_lo, s72
	v_max_f32_e32 v91, v91, v91
	v_max_f32_e32 v90, v90, v90
	s_mov_b32 s16, 0
	v_max_f32_e32 v91, v90, v91
.LBB4_838:                              ;   in Loop: Header=BB4_356 Depth=4
	s_and_b32 vcc_lo, exec_lo, s16
	s_cbranch_vccz .LBB4_852
; %bb.839:                              ;   in Loop: Header=BB4_356 Depth=4
	v_cmp_gt_i16_sdwa s72, v23, v117 src0_sel:BYTE_1 src1_sel:DWORD
	s_mov_b32 s16, 0
	s_and_saveexec_b32 s73, s72
	s_xor_b32 s72, exec_lo, s73
	s_cbranch_execz .LBB4_1614
; %bb.840:                              ;   in Loop: Header=BB4_356 Depth=4
	v_cmp_eq_u16_sdwa s74, v23, v118 src0_sel:BYTE_1 src1_sel:DWORD
	s_mov_b32 s16, -1
	s_and_saveexec_b32 s73, s74
; %bb.841:                              ;   in Loop: Header=BB4_356 Depth=4
	s_xor_b32 s16, exec_lo, -1
; %bb.842:                              ;   in Loop: Header=BB4_356 Depth=4
	s_or_b32 exec_lo, exec_lo, s73
	s_and_b32 s16, s16, exec_lo
	s_or_saveexec_b32 s72, s72
	v_mov_b32_e32 v90, 0x7f800001
	s_xor_b32 exec_lo, exec_lo, s72
	s_cbranch_execnz .LBB4_1615
.LBB4_843:                              ;   in Loop: Header=BB4_356 Depth=4
	s_or_b32 exec_lo, exec_lo, s72
	s_and_saveexec_b32 s72, s16
	s_cbranch_execz .LBB4_845
.LBB4_844:                              ;   in Loop: Header=BB4_356 Depth=4
	v_and_b32_sdwa v90, v119, v23 dst_sel:DWORD dst_unused:UNUSED_PAD src0_sel:DWORD src1_sel:BYTE_1
	v_and_b32_e32 v91, 7, v90
	v_bfe_u32 v94, v90, 3, 4
	v_ffbh_u32_e32 v92, v91
	v_cmp_eq_u32_e32 vcc_lo, 0, v94
	v_min_u32_e32 v92, 32, v92
	v_subrev_nc_u32_e32 v93, 28, v92
	v_sub_nc_u32_e32 v92, 29, v92
	v_lshlrev_b32_e32 v90, v93, v90
	v_lshlrev_b32_e32 v93, 16, v23
	v_cndmask_b32_e32 v92, v94, v92, vcc_lo
	v_and_b32_e32 v90, 7, v90
	v_lshl_add_u32 v92, v92, 23, 0x3b800000
	v_cndmask_b32_e32 v90, v91, v90, vcc_lo
	v_and_b32_e32 v91, 0x80000000, v93
	v_lshlrev_b32_e32 v90, 20, v90
	v_or3_b32 v90, v91, v92, v90
.LBB4_845:                              ;   in Loop: Header=BB4_356 Depth=4
	s_or_b32 exec_lo, exec_lo, s72
	v_cmp_gt_i16_sdwa s72, v19, v117 src0_sel:BYTE_1 src1_sel:DWORD
	s_mov_b32 s16, 0
	s_and_saveexec_b32 s73, s72
	s_xor_b32 s72, exec_lo, s73
	s_cbranch_execz .LBB4_1616
; %bb.846:                              ;   in Loop: Header=BB4_356 Depth=4
	v_cmp_eq_u16_sdwa s74, v19, v118 src0_sel:BYTE_1 src1_sel:DWORD
	s_mov_b32 s16, -1
	s_and_saveexec_b32 s73, s74
; %bb.847:                              ;   in Loop: Header=BB4_356 Depth=4
	s_xor_b32 s16, exec_lo, -1
; %bb.848:                              ;   in Loop: Header=BB4_356 Depth=4
	s_or_b32 exec_lo, exec_lo, s73
	s_and_b32 s16, s16, exec_lo
	s_or_saveexec_b32 s72, s72
	v_mov_b32_e32 v91, 0x7f800001
	s_xor_b32 exec_lo, exec_lo, s72
	s_cbranch_execnz .LBB4_1617
.LBB4_849:                              ;   in Loop: Header=BB4_356 Depth=4
	s_or_b32 exec_lo, exec_lo, s72
	s_and_saveexec_b32 s72, s16
	s_cbranch_execz .LBB4_851
.LBB4_850:                              ;   in Loop: Header=BB4_356 Depth=4
	v_and_b32_sdwa v91, v119, v19 dst_sel:DWORD dst_unused:UNUSED_PAD src0_sel:DWORD src1_sel:BYTE_1
	v_and_b32_e32 v92, 7, v91
	v_bfe_u32 v95, v91, 3, 4
	v_ffbh_u32_e32 v93, v92
	v_cmp_eq_u32_e32 vcc_lo, 0, v95
	v_min_u32_e32 v93, 32, v93
	v_subrev_nc_u32_e32 v94, 28, v93
	v_sub_nc_u32_e32 v93, 29, v93
	v_lshlrev_b32_e32 v91, v94, v91
	v_lshlrev_b32_e32 v94, 16, v19
	v_cndmask_b32_e32 v93, v95, v93, vcc_lo
	v_and_b32_e32 v91, 7, v91
	v_lshl_add_u32 v93, v93, 23, 0x3b800000
	v_cndmask_b32_e32 v91, v92, v91, vcc_lo
	v_and_b32_e32 v92, 0x80000000, v94
	v_lshlrev_b32_e32 v91, 20, v91
	v_or3_b32 v91, v92, v93, v91
.LBB4_851:                              ;   in Loop: Header=BB4_356 Depth=4
	s_or_b32 exec_lo, exec_lo, s72
	v_max_f32_e32 v91, v91, v91
	v_max_f32_e32 v90, v90, v90
	v_min_f32_e32 v91, v90, v91
.LBB4_852:                              ;   in Loop: Header=BB4_356 Depth=4
	v_and_b32_e32 v90, 0x7f800000, v91
	v_cmp_ne_u32_e32 vcc_lo, 0x7f800000, v90
	v_mov_b32_e32 v90, 0x8000
	s_and_saveexec_b32 s72, vcc_lo
	s_cbranch_execz .LBB4_860
; %bb.853:                              ;   in Loop: Header=BB4_356 Depth=4
	v_mov_b32_e32 v90, 0
	s_mov_b32 s73, exec_lo
	v_cmpx_ne_u32_e32 0, v91
	s_cbranch_execz .LBB4_859
; %bb.854:                              ;   in Loop: Header=BB4_356 Depth=4
	v_bfe_u32 v90, v91, 23, 8
	v_and_b32_e32 v92, 0x7fffff, v91
	v_sub_nc_u32_e32 v93, 0x78, v90
	v_cmp_gt_u32_e32 vcc_lo, 0x79, v90
	v_or_b32_e32 v94, 0x800000, v92
	v_cndmask_b32_e32 v93, 0, v93, vcc_lo
	v_cmp_eq_u32_e32 vcc_lo, 0, v90
	v_add_nc_u32_e32 v90, 0xffffff89, v90
	v_cndmask_b32_e64 v93, v93, 0x77, vcc_lo
	v_cndmask_b32_e32 v92, v94, v92, vcc_lo
	v_cndmask_b32_e64 v90, v90, 0xffffff8a, vcc_lo
	v_lshl_add_u32 v94, 0x100000, v93, -1
	v_lshrrev_b32_e32 v95, v93, v92
	v_lshlrev_b32_e64 v105, v93, 0x80000
	v_add_nc_u32_e32 v93, v93, v90
	v_and_b32_e32 v92, v94, v92
	v_bfe_u32 v104, v95, 20, 1
	v_cmp_eq_u32_e64 s16, v92, v105
	v_add_nc_u32_e32 v94, -1, v104
	v_cndmask_b32_e64 v92, 0, v94, s16
	v_lshrrev_b32_e32 v94, 23, v95
	s_mov_b32 s16, exec_lo
	v_add_nc_u32_e32 v92, v92, v95
	v_xor_b32_e32 v94, 1, v94
	v_and_b32_e32 v90, 0xfffff, v92
	v_add_nc_u32_e32 v92, v90, v95
                                        ; implicit-def: $vgpr90
	v_cmpx_ne_u32_e64 v93, v94
	s_xor_b32 s16, exec_lo, s16
; %bb.855:                              ;   in Loop: Header=BB4_356 Depth=4
	v_cmp_lt_u32_e32 vcc_lo, 0xffffff, v92
	v_sub_nc_u32_e32 v90, v93, v94
	v_cndmask_b32_e64 v93, 0, 1, vcc_lo
	v_add_co_ci_u32_e64 v90, null, 0, v90, vcc_lo
	v_lshrrev_b32_e32 v92, v93, v92
; %bb.856:                              ;   in Loop: Header=BB4_356 Depth=4
	s_andn2_saveexec_b32 s16, s16
; %bb.857:                              ;   in Loop: Header=BB4_356 Depth=4
	v_bfe_u32 v90, v92, 23, 1
; %bb.858:                              ;   in Loop: Header=BB4_356 Depth=4
	s_or_b32 exec_lo, exec_lo, s16
	v_lshrrev_b32_e32 v92, 20, v92
	v_min_i32_e32 v93, 15, v90
	v_cmp_gt_i32_e32 vcc_lo, 16, v90
	v_and_b32_sdwa v91, v91, v118 dst_sel:DWORD dst_unused:UNUSED_PAD src0_sel:BYTE_3 src1_sel:DWORD
	v_lshlrev_b32_e32 v93, 3, v93
	v_cndmask_b32_e32 v92, 7, v92, vcc_lo
	v_and_b32_e32 v93, 0xf8, v93
	v_and_b32_e32 v94, 7, v92
	v_or_b32_e32 v90, v90, v92
	v_or3_b32 v91, v91, v93, v94
	v_cmp_ne_u32_e32 vcc_lo, 0, v90
	v_lshlrev_b32_e32 v91, 8, v91
	v_cndmask_b32_e32 v90, 0, v91, vcc_lo
.LBB4_859:                              ;   in Loop: Header=BB4_356 Depth=4
	s_or_b32 exec_lo, exec_lo, s73
.LBB4_860:                              ;   in Loop: Header=BB4_356 Depth=4
	s_or_b32 exec_lo, exec_lo, s72
	v_and_b32_sdwa v91, v23, v40 dst_sel:DWORD dst_unused:UNUSED_PAD src0_sel:WORD_1 src1_sel:DWORD
	s_and_b32 vcc_lo, exec_lo, s63
	s_mov_b32 s72, -1
                                        ; implicit-def: $vgpr92
	v_cmp_lt_i16_e64 s16, 0x7f, v91
	s_cbranch_vccz .LBB4_874
; %bb.861:                              ;   in Loop: Header=BB4_356 Depth=4
	s_mov_b32 s72, 0
	s_and_saveexec_b32 s73, s16
	s_xor_b32 s16, exec_lo, s73
	s_cbranch_execz .LBB4_1618
; %bb.862:                              ;   in Loop: Header=BB4_356 Depth=4
	s_mov_b32 s72, -1
	s_mov_b32 s73, exec_lo
	v_cmpx_eq_u16_e32 0x80, v91
; %bb.863:                              ;   in Loop: Header=BB4_356 Depth=4
	s_xor_b32 s72, exec_lo, -1
; %bb.864:                              ;   in Loop: Header=BB4_356 Depth=4
	s_or_b32 exec_lo, exec_lo, s73
	s_and_b32 s72, s72, exec_lo
	s_or_saveexec_b32 s16, s16
	v_mov_b32_e32 v92, 0x7f800001
	s_xor_b32 exec_lo, exec_lo, s16
	s_cbranch_execnz .LBB4_1619
.LBB4_865:                              ;   in Loop: Header=BB4_356 Depth=4
	s_or_b32 exec_lo, exec_lo, s16
	s_and_saveexec_b32 s16, s72
	s_cbranch_execz .LBB4_867
.LBB4_866:                              ;   in Loop: Header=BB4_356 Depth=4
	v_bfe_u32 v92, v23, 16, 3
	v_bfe_u32 v95, v23, 19, 4
	v_lshlrev_b32_sdwa v104, v41, v23 dst_sel:DWORD dst_unused:UNUSED_PAD src0_sel:DWORD src1_sel:WORD_1
	v_ffbh_u32_e32 v93, v92
	v_cmp_eq_u32_e32 vcc_lo, 0, v95
	v_min_u32_e32 v93, 32, v93
	v_subrev_nc_u32_e32 v94, 28, v93
	v_sub_nc_u32_e32 v93, 29, v93
	v_lshlrev_b32_sdwa v94, v94, v23 dst_sel:DWORD dst_unused:UNUSED_PAD src0_sel:DWORD src1_sel:WORD_1
	v_cndmask_b32_e32 v93, v95, v93, vcc_lo
	v_and_b32_e32 v94, 7, v94
	v_lshl_add_u32 v93, v93, 23, 0x3b800000
	v_cndmask_b32_e32 v92, v92, v94, vcc_lo
	v_and_b32_e32 v94, 0x80000000, v104
	v_lshlrev_b32_e32 v92, 20, v92
	v_or3_b32 v92, v94, v93, v92
.LBB4_867:                              ;   in Loop: Header=BB4_356 Depth=4
	s_or_b32 exec_lo, exec_lo, s16
	v_and_b32_sdwa v94, v19, v40 dst_sel:DWORD dst_unused:UNUSED_PAD src0_sel:WORD_1 src1_sel:DWORD
	s_mov_b32 s16, 0
	s_mov_b32 s72, exec_lo
	v_cmpx_lt_i16_e32 0x7f, v94
	s_xor_b32 s72, exec_lo, s72
	s_cbranch_execz .LBB4_1620
; %bb.868:                              ;   in Loop: Header=BB4_356 Depth=4
	s_mov_b32 s16, -1
	s_mov_b32 s73, exec_lo
	v_cmpx_eq_u16_e32 0x80, v94
; %bb.869:                              ;   in Loop: Header=BB4_356 Depth=4
	s_xor_b32 s16, exec_lo, -1
; %bb.870:                              ;   in Loop: Header=BB4_356 Depth=4
	s_or_b32 exec_lo, exec_lo, s73
	s_and_b32 s16, s16, exec_lo
                                        ; implicit-def: $vgpr94
	s_or_saveexec_b32 s72, s72
	v_mov_b32_e32 v93, 0x7f800001
	s_xor_b32 exec_lo, exec_lo, s72
	s_cbranch_execnz .LBB4_1621
.LBB4_871:                              ;   in Loop: Header=BB4_356 Depth=4
	s_or_b32 exec_lo, exec_lo, s72
	s_and_saveexec_b32 s72, s16
	s_cbranch_execz .LBB4_873
.LBB4_872:                              ;   in Loop: Header=BB4_356 Depth=4
	v_bfe_u32 v93, v19, 16, 3
	v_bfe_u32 v104, v19, 19, 4
	v_lshlrev_b32_sdwa v105, v41, v19 dst_sel:DWORD dst_unused:UNUSED_PAD src0_sel:DWORD src1_sel:WORD_1
	v_ffbh_u32_e32 v94, v93
	v_cmp_eq_u32_e32 vcc_lo, 0, v104
	v_min_u32_e32 v94, 32, v94
	v_subrev_nc_u32_e32 v95, 28, v94
	v_sub_nc_u32_e32 v94, 29, v94
	v_lshlrev_b32_sdwa v95, v95, v19 dst_sel:DWORD dst_unused:UNUSED_PAD src0_sel:DWORD src1_sel:WORD_1
	v_cndmask_b32_e32 v94, v104, v94, vcc_lo
	v_and_b32_e32 v95, 7, v95
	v_lshl_add_u32 v94, v94, 23, 0x3b800000
	v_cndmask_b32_e32 v93, v93, v95, vcc_lo
	v_and_b32_e32 v95, 0x80000000, v105
	v_lshlrev_b32_e32 v93, 20, v93
	v_or3_b32 v93, v95, v94, v93
.LBB4_873:                              ;   in Loop: Header=BB4_356 Depth=4
	s_or_b32 exec_lo, exec_lo, s72
	v_max_f32_e32 v93, v93, v93
	v_max_f32_e32 v92, v92, v92
	s_mov_b32 s72, 0
	v_max_f32_e32 v92, v92, v93
.LBB4_874:                              ;   in Loop: Header=BB4_356 Depth=4
	s_and_b32 vcc_lo, exec_lo, s72
	s_cbranch_vccz .LBB4_888
; %bb.875:                              ;   in Loop: Header=BB4_356 Depth=4
	s_mov_b32 s16, 0
	s_mov_b32 s72, exec_lo
	v_cmpx_lt_i16_e32 0x7f, v91
	s_xor_b32 s72, exec_lo, s72
	s_cbranch_execz .LBB4_1622
; %bb.876:                              ;   in Loop: Header=BB4_356 Depth=4
	s_mov_b32 s16, -1
	s_mov_b32 s73, exec_lo
	v_cmpx_eq_u16_e32 0x80, v91
; %bb.877:                              ;   in Loop: Header=BB4_356 Depth=4
	s_xor_b32 s16, exec_lo, -1
; %bb.878:                              ;   in Loop: Header=BB4_356 Depth=4
	s_or_b32 exec_lo, exec_lo, s73
	s_and_b32 s16, s16, exec_lo
                                        ; implicit-def: $vgpr91
	s_or_saveexec_b32 s72, s72
	v_mov_b32_e32 v92, 0x7f800001
	s_xor_b32 exec_lo, exec_lo, s72
	s_cbranch_execnz .LBB4_1623
.LBB4_879:                              ;   in Loop: Header=BB4_356 Depth=4
	s_or_b32 exec_lo, exec_lo, s72
	s_and_saveexec_b32 s72, s16
	s_cbranch_execz .LBB4_881
.LBB4_880:                              ;   in Loop: Header=BB4_356 Depth=4
	v_bfe_u32 v91, v23, 16, 3
	v_bfe_u32 v94, v23, 19, 4
	v_lshlrev_b32_sdwa v95, v41, v23 dst_sel:DWORD dst_unused:UNUSED_PAD src0_sel:DWORD src1_sel:WORD_1
	v_ffbh_u32_e32 v92, v91
	v_cmp_eq_u32_e32 vcc_lo, 0, v94
	v_min_u32_e32 v92, 32, v92
	v_subrev_nc_u32_e32 v93, 28, v92
	v_sub_nc_u32_e32 v92, 29, v92
	v_lshlrev_b32_sdwa v93, v93, v23 dst_sel:DWORD dst_unused:UNUSED_PAD src0_sel:DWORD src1_sel:WORD_1
	v_cndmask_b32_e32 v92, v94, v92, vcc_lo
	v_and_b32_e32 v93, 7, v93
	v_lshl_add_u32 v92, v92, 23, 0x3b800000
	v_cndmask_b32_e32 v91, v91, v93, vcc_lo
	v_and_b32_e32 v93, 0x80000000, v95
	v_lshlrev_b32_e32 v91, 20, v91
	v_or3_b32 v92, v93, v92, v91
.LBB4_881:                              ;   in Loop: Header=BB4_356 Depth=4
	s_or_b32 exec_lo, exec_lo, s72
	v_and_b32_sdwa v93, v19, v40 dst_sel:DWORD dst_unused:UNUSED_PAD src0_sel:WORD_1 src1_sel:DWORD
	s_mov_b32 s16, 0
	s_mov_b32 s72, exec_lo
	v_cmpx_lt_i16_e32 0x7f, v93
	s_xor_b32 s72, exec_lo, s72
	s_cbranch_execz .LBB4_1624
; %bb.882:                              ;   in Loop: Header=BB4_356 Depth=4
	s_mov_b32 s16, -1
	s_mov_b32 s73, exec_lo
	v_cmpx_eq_u16_e32 0x80, v93
; %bb.883:                              ;   in Loop: Header=BB4_356 Depth=4
	s_xor_b32 s16, exec_lo, -1
; %bb.884:                              ;   in Loop: Header=BB4_356 Depth=4
	s_or_b32 exec_lo, exec_lo, s73
	s_and_b32 s16, s16, exec_lo
                                        ; implicit-def: $vgpr93
	s_or_saveexec_b32 s72, s72
	v_mov_b32_e32 v91, 0x7f800001
	s_xor_b32 exec_lo, exec_lo, s72
	s_cbranch_execnz .LBB4_1625
.LBB4_885:                              ;   in Loop: Header=BB4_356 Depth=4
	s_or_b32 exec_lo, exec_lo, s72
	s_and_saveexec_b32 s72, s16
	s_cbranch_execz .LBB4_887
.LBB4_886:                              ;   in Loop: Header=BB4_356 Depth=4
	v_bfe_u32 v91, v19, 16, 3
	v_bfe_u32 v95, v19, 19, 4
	v_lshlrev_b32_sdwa v104, v41, v19 dst_sel:DWORD dst_unused:UNUSED_PAD src0_sel:DWORD src1_sel:WORD_1
	v_ffbh_u32_e32 v93, v91
	v_cmp_eq_u32_e32 vcc_lo, 0, v95
	v_min_u32_e32 v93, 32, v93
	v_subrev_nc_u32_e32 v94, 28, v93
	v_sub_nc_u32_e32 v93, 29, v93
	v_lshlrev_b32_sdwa v94, v94, v19 dst_sel:DWORD dst_unused:UNUSED_PAD src0_sel:DWORD src1_sel:WORD_1
	v_cndmask_b32_e32 v93, v95, v93, vcc_lo
	v_and_b32_e32 v94, 7, v94
	v_lshl_add_u32 v93, v93, 23, 0x3b800000
	v_cndmask_b32_e32 v91, v91, v94, vcc_lo
	v_and_b32_e32 v94, 0x80000000, v104
	v_lshlrev_b32_e32 v91, 20, v91
	v_or3_b32 v91, v94, v93, v91
.LBB4_887:                              ;   in Loop: Header=BB4_356 Depth=4
	s_or_b32 exec_lo, exec_lo, s72
	v_max_f32_e32 v91, v91, v91
	v_max_f32_e32 v92, v92, v92
	v_min_f32_e32 v92, v92, v91
.LBB4_888:                              ;   in Loop: Header=BB4_356 Depth=4
	v_and_b32_e32 v91, 0x7f800000, v92
	v_cmp_ne_u32_e32 vcc_lo, 0x7f800000, v91
	v_mov_b32_e32 v91, 0x80
	s_and_saveexec_b32 s72, vcc_lo
	s_cbranch_execz .LBB4_896
; %bb.889:                              ;   in Loop: Header=BB4_356 Depth=4
	v_mov_b32_e32 v91, 0
	s_mov_b32 s73, exec_lo
	v_cmpx_ne_u32_e32 0, v92
	s_cbranch_execz .LBB4_895
; %bb.890:                              ;   in Loop: Header=BB4_356 Depth=4
	v_bfe_u32 v91, v92, 23, 8
	v_and_b32_e32 v93, 0x7fffff, v92
	v_sub_nc_u32_e32 v94, 0x78, v91
	v_cmp_gt_u32_e32 vcc_lo, 0x79, v91
	v_or_b32_e32 v95, 0x800000, v93
	v_cndmask_b32_e32 v94, 0, v94, vcc_lo
	v_cmp_eq_u32_e32 vcc_lo, 0, v91
	v_add_nc_u32_e32 v91, 0xffffff89, v91
	v_cndmask_b32_e64 v94, v94, 0x77, vcc_lo
	v_cndmask_b32_e32 v93, v95, v93, vcc_lo
	v_cndmask_b32_e64 v91, v91, 0xffffff8a, vcc_lo
	v_lshl_add_u32 v95, 0x100000, v94, -1
	v_lshrrev_b32_e32 v104, v94, v93
	v_lshlrev_b32_e64 v106, v94, 0x80000
	v_add_nc_u32_e32 v94, v94, v91
	v_and_b32_e32 v93, v95, v93
	v_bfe_u32 v105, v104, 20, 1
	v_cmp_eq_u32_e64 s16, v93, v106
	v_add_nc_u32_e32 v95, -1, v105
	v_cndmask_b32_e64 v93, 0, v95, s16
	v_lshrrev_b32_e32 v95, 23, v104
	s_mov_b32 s16, exec_lo
	v_add_nc_u32_e32 v93, v93, v104
	v_xor_b32_e32 v95, 1, v95
	v_and_b32_e32 v91, 0xfffff, v93
	v_add_nc_u32_e32 v93, v91, v104
                                        ; implicit-def: $vgpr91
	v_cmpx_ne_u32_e64 v94, v95
	s_xor_b32 s16, exec_lo, s16
; %bb.891:                              ;   in Loop: Header=BB4_356 Depth=4
	v_cmp_lt_u32_e32 vcc_lo, 0xffffff, v93
	v_sub_nc_u32_e32 v91, v94, v95
	v_cndmask_b32_e64 v94, 0, 1, vcc_lo
	v_add_co_ci_u32_e64 v91, null, 0, v91, vcc_lo
	v_lshrrev_b32_e32 v93, v94, v93
; %bb.892:                              ;   in Loop: Header=BB4_356 Depth=4
	s_andn2_saveexec_b32 s16, s16
; %bb.893:                              ;   in Loop: Header=BB4_356 Depth=4
	v_bfe_u32 v91, v93, 23, 1
; %bb.894:                              ;   in Loop: Header=BB4_356 Depth=4
	s_or_b32 exec_lo, exec_lo, s16
	v_lshrrev_b32_e32 v93, 20, v93
	v_min_i32_e32 v94, 15, v91
	v_cmp_gt_i32_e32 vcc_lo, 16, v91
	v_and_b32_sdwa v92, v92, v118 dst_sel:DWORD dst_unused:UNUSED_PAD src0_sel:BYTE_3 src1_sel:DWORD
	v_lshlrev_b32_e32 v94, 3, v94
	v_cndmask_b32_e32 v93, 7, v93, vcc_lo
	v_and_b32_e32 v94, 0xf8, v94
	v_and_b32_e32 v95, 7, v93
	v_or_b32_e32 v91, v91, v93
	v_or3_b32 v92, v94, v92, v95
	v_cmp_ne_u32_e32 vcc_lo, 0, v91
	v_cndmask_b32_e32 v91, 0, v92, vcc_lo
.LBB4_895:                              ;   in Loop: Header=BB4_356 Depth=4
	s_or_b32 exec_lo, exec_lo, s73
.LBB4_896:                              ;   in Loop: Header=BB4_356 Depth=4
	s_or_b32 exec_lo, exec_lo, s72
	v_cmp_gt_i16_sdwa s72, v23, v117 src0_sel:BYTE_3 src1_sel:DWORD
	s_and_b32 vcc_lo, exec_lo, s63
	s_mov_b32 s16, -1
                                        ; implicit-def: $vgpr92
	s_cbranch_vccz .LBB4_910
; %bb.897:                              ;   in Loop: Header=BB4_356 Depth=4
	s_mov_b32 s16, 0
	s_and_saveexec_b32 s73, s72
	s_xor_b32 s72, exec_lo, s73
	s_cbranch_execz .LBB4_1626
; %bb.898:                              ;   in Loop: Header=BB4_356 Depth=4
	v_cmp_eq_u16_sdwa s74, v23, v118 src0_sel:BYTE_3 src1_sel:DWORD
	s_mov_b32 s16, -1
	s_and_saveexec_b32 s73, s74
; %bb.899:                              ;   in Loop: Header=BB4_356 Depth=4
	s_xor_b32 s16, exec_lo, -1
; %bb.900:                              ;   in Loop: Header=BB4_356 Depth=4
	s_or_b32 exec_lo, exec_lo, s73
	s_and_b32 s16, s16, exec_lo
	s_or_saveexec_b32 s72, s72
	v_mov_b32_e32 v92, 0x7f800001
	s_xor_b32 exec_lo, exec_lo, s72
	s_cbranch_execnz .LBB4_1627
.LBB4_901:                              ;   in Loop: Header=BB4_356 Depth=4
	s_or_b32 exec_lo, exec_lo, s72
	s_and_saveexec_b32 s72, s16
	s_cbranch_execz .LBB4_903
.LBB4_902:                              ;   in Loop: Header=BB4_356 Depth=4
	v_bfe_u32 v92, v23, 24, 3
	v_bfe_u32 v95, v23, 27, 4
	v_ffbh_u32_e32 v93, v92
	v_cmp_eq_u32_e32 vcc_lo, 0, v95
	v_min_u32_e32 v93, 32, v93
	v_subrev_nc_u32_e32 v94, 28, v93
	v_sub_nc_u32_e32 v93, 29, v93
	v_lshlrev_b32_sdwa v94, v94, v23 dst_sel:DWORD dst_unused:UNUSED_PAD src0_sel:DWORD src1_sel:BYTE_3
	v_cndmask_b32_e32 v93, v95, v93, vcc_lo
	v_and_b32_e32 v94, 7, v94
	v_lshl_add_u32 v93, v93, 23, 0x3b800000
	v_cndmask_b32_e32 v92, v92, v94, vcc_lo
	v_and_b32_e32 v94, 0x80000000, v23
	v_lshlrev_b32_e32 v92, 20, v92
	v_or3_b32 v92, v94, v93, v92
.LBB4_903:                              ;   in Loop: Header=BB4_356 Depth=4
	s_or_b32 exec_lo, exec_lo, s72
	v_cmp_gt_i16_sdwa s72, v19, v117 src0_sel:BYTE_3 src1_sel:DWORD
	s_mov_b32 s16, 0
	s_and_saveexec_b32 s73, s72
	s_xor_b32 s72, exec_lo, s73
	s_cbranch_execz .LBB4_1628
; %bb.904:                              ;   in Loop: Header=BB4_356 Depth=4
	v_cmp_eq_u16_sdwa s74, v19, v118 src0_sel:BYTE_3 src1_sel:DWORD
	s_mov_b32 s16, -1
	s_and_saveexec_b32 s73, s74
; %bb.905:                              ;   in Loop: Header=BB4_356 Depth=4
	s_xor_b32 s16, exec_lo, -1
; %bb.906:                              ;   in Loop: Header=BB4_356 Depth=4
	s_or_b32 exec_lo, exec_lo, s73
	s_and_b32 s16, s16, exec_lo
	s_or_saveexec_b32 s72, s72
	v_mov_b32_e32 v93, 0x7f800001
	s_xor_b32 exec_lo, exec_lo, s72
	s_cbranch_execnz .LBB4_1629
.LBB4_907:                              ;   in Loop: Header=BB4_356 Depth=4
	s_or_b32 exec_lo, exec_lo, s72
	s_and_saveexec_b32 s72, s16
	s_cbranch_execz .LBB4_909
.LBB4_908:                              ;   in Loop: Header=BB4_356 Depth=4
	v_bfe_u32 v93, v19, 24, 3
	v_bfe_u32 v104, v19, 27, 4
	v_ffbh_u32_e32 v94, v93
	v_cmp_eq_u32_e32 vcc_lo, 0, v104
	v_min_u32_e32 v94, 32, v94
	v_subrev_nc_u32_e32 v95, 28, v94
	v_sub_nc_u32_e32 v94, 29, v94
	v_lshlrev_b32_sdwa v95, v95, v19 dst_sel:DWORD dst_unused:UNUSED_PAD src0_sel:DWORD src1_sel:BYTE_3
	v_cndmask_b32_e32 v94, v104, v94, vcc_lo
	v_and_b32_e32 v95, 7, v95
	v_lshl_add_u32 v94, v94, 23, 0x3b800000
	v_cndmask_b32_e32 v93, v93, v95, vcc_lo
	v_and_b32_e32 v95, 0x80000000, v19
	v_lshlrev_b32_e32 v93, 20, v93
	v_or3_b32 v93, v95, v94, v93
.LBB4_909:                              ;   in Loop: Header=BB4_356 Depth=4
	s_or_b32 exec_lo, exec_lo, s72
	v_max_f32_e32 v93, v93, v93
	v_max_f32_e32 v92, v92, v92
	s_mov_b32 s16, 0
	v_max_f32_e32 v92, v92, v93
.LBB4_910:                              ;   in Loop: Header=BB4_356 Depth=4
	s_and_b32 vcc_lo, exec_lo, s16
	s_cbranch_vccz .LBB4_924
; %bb.911:                              ;   in Loop: Header=BB4_356 Depth=4
	v_cmp_gt_i16_sdwa s72, v23, v117 src0_sel:BYTE_3 src1_sel:DWORD
	s_mov_b32 s16, 0
	s_and_saveexec_b32 s73, s72
	s_xor_b32 s72, exec_lo, s73
	s_cbranch_execz .LBB4_1630
; %bb.912:                              ;   in Loop: Header=BB4_356 Depth=4
	v_cmp_eq_u16_sdwa s74, v23, v118 src0_sel:BYTE_3 src1_sel:DWORD
	s_mov_b32 s16, -1
	s_and_saveexec_b32 s73, s74
; %bb.913:                              ;   in Loop: Header=BB4_356 Depth=4
	s_xor_b32 s16, exec_lo, -1
; %bb.914:                              ;   in Loop: Header=BB4_356 Depth=4
	s_or_b32 exec_lo, exec_lo, s73
	s_and_b32 s16, s16, exec_lo
	s_or_saveexec_b32 s72, s72
	v_mov_b32_e32 v92, 0x7f800001
	s_xor_b32 exec_lo, exec_lo, s72
	s_cbranch_execnz .LBB4_1631
.LBB4_915:                              ;   in Loop: Header=BB4_356 Depth=4
	s_or_b32 exec_lo, exec_lo, s72
	s_and_saveexec_b32 s72, s16
	s_cbranch_execz .LBB4_917
.LBB4_916:                              ;   in Loop: Header=BB4_356 Depth=4
	v_bfe_u32 v92, v23, 24, 3
	v_bfe_u32 v95, v23, 27, 4
	v_ffbh_u32_e32 v93, v92
	v_cmp_eq_u32_e32 vcc_lo, 0, v95
	v_min_u32_e32 v93, 32, v93
	v_subrev_nc_u32_e32 v94, 28, v93
	v_sub_nc_u32_e32 v93, 29, v93
	v_lshlrev_b32_sdwa v94, v94, v23 dst_sel:DWORD dst_unused:UNUSED_PAD src0_sel:DWORD src1_sel:BYTE_3
	v_cndmask_b32_e32 v93, v95, v93, vcc_lo
	v_and_b32_e32 v23, 0x80000000, v23
	v_and_b32_e32 v94, 7, v94
	v_lshl_add_u32 v93, v93, 23, 0x3b800000
	v_cndmask_b32_e32 v92, v92, v94, vcc_lo
	v_lshlrev_b32_e32 v92, 20, v92
	v_or3_b32 v92, v23, v93, v92
.LBB4_917:                              ;   in Loop: Header=BB4_356 Depth=4
	s_or_b32 exec_lo, exec_lo, s72
	v_cmp_gt_i16_sdwa s72, v19, v117 src0_sel:BYTE_3 src1_sel:DWORD
	s_mov_b32 s16, 0
	s_and_saveexec_b32 s73, s72
	s_xor_b32 s72, exec_lo, s73
	s_cbranch_execz .LBB4_1632
; %bb.918:                              ;   in Loop: Header=BB4_356 Depth=4
	v_cmp_eq_u16_sdwa s74, v19, v118 src0_sel:BYTE_3 src1_sel:DWORD
	s_mov_b32 s16, -1
	s_and_saveexec_b32 s73, s74
; %bb.919:                              ;   in Loop: Header=BB4_356 Depth=4
	s_xor_b32 s16, exec_lo, -1
; %bb.920:                              ;   in Loop: Header=BB4_356 Depth=4
	s_or_b32 exec_lo, exec_lo, s73
	s_and_b32 s16, s16, exec_lo
	s_or_saveexec_b32 s72, s72
	v_mov_b32_e32 v23, 0x7f800001
	s_xor_b32 exec_lo, exec_lo, s72
	s_cbranch_execnz .LBB4_1633
.LBB4_921:                              ;   in Loop: Header=BB4_356 Depth=4
	s_or_b32 exec_lo, exec_lo, s72
	s_and_saveexec_b32 s72, s16
	s_cbranch_execz .LBB4_923
.LBB4_922:                              ;   in Loop: Header=BB4_356 Depth=4
	v_bfe_u32 v23, v19, 24, 3
	v_bfe_u32 v95, v19, 27, 4
	v_ffbh_u32_e32 v93, v23
	v_cmp_eq_u32_e32 vcc_lo, 0, v95
	v_min_u32_e32 v93, 32, v93
	v_subrev_nc_u32_e32 v94, 28, v93
	v_sub_nc_u32_e32 v93, 29, v93
	v_lshlrev_b32_sdwa v94, v94, v19 dst_sel:DWORD dst_unused:UNUSED_PAD src0_sel:DWORD src1_sel:BYTE_3
	v_cndmask_b32_e32 v93, v95, v93, vcc_lo
	v_and_b32_e32 v19, 0x80000000, v19
	v_and_b32_e32 v94, 7, v94
	v_lshl_add_u32 v93, v93, 23, 0x3b800000
	v_cndmask_b32_e32 v23, v23, v94, vcc_lo
	v_lshlrev_b32_e32 v23, 20, v23
	v_or3_b32 v23, v19, v93, v23
.LBB4_923:                              ;   in Loop: Header=BB4_356 Depth=4
	s_or_b32 exec_lo, exec_lo, s72
	v_max_f32_e32 v19, v23, v23
	v_max_f32_e32 v23, v92, v92
	v_min_f32_e32 v92, v23, v19
.LBB4_924:                              ;   in Loop: Header=BB4_356 Depth=4
	v_and_b32_e32 v19, 0x7f800000, v92
	v_cmp_ne_u32_e32 vcc_lo, 0x7f800000, v19
	v_mov_b32_e32 v19, 0x8000
	s_and_saveexec_b32 s72, vcc_lo
	s_cbranch_execz .LBB4_932
; %bb.925:                              ;   in Loop: Header=BB4_356 Depth=4
	v_mov_b32_e32 v19, 0
	s_mov_b32 s73, exec_lo
	v_cmpx_ne_u32_e32 0, v92
	s_cbranch_execz .LBB4_931
; %bb.926:                              ;   in Loop: Header=BB4_356 Depth=4
	v_bfe_u32 v19, v92, 23, 8
	v_and_b32_e32 v23, 0x7fffff, v92
	v_sub_nc_u32_e32 v93, 0x78, v19
	v_cmp_gt_u32_e32 vcc_lo, 0x79, v19
	v_or_b32_e32 v94, 0x800000, v23
	v_cndmask_b32_e32 v93, 0, v93, vcc_lo
	v_cmp_eq_u32_e32 vcc_lo, 0, v19
	v_add_nc_u32_e32 v19, 0xffffff89, v19
	v_cndmask_b32_e64 v93, v93, 0x77, vcc_lo
	v_cndmask_b32_e32 v23, v94, v23, vcc_lo
	v_cndmask_b32_e64 v19, v19, 0xffffff8a, vcc_lo
	v_lshl_add_u32 v94, 0x100000, v93, -1
	v_lshrrev_b32_e32 v95, v93, v23
	v_lshlrev_b32_e64 v105, v93, 0x80000
	v_add_nc_u32_e32 v93, v93, v19
	v_and_b32_e32 v23, v94, v23
	v_bfe_u32 v104, v95, 20, 1
	v_cmp_eq_u32_e64 s16, v23, v105
	v_add_nc_u32_e32 v94, -1, v104
	v_cndmask_b32_e64 v23, 0, v94, s16
	v_lshrrev_b32_e32 v94, 23, v95
	s_mov_b32 s16, exec_lo
	v_add_nc_u32_e32 v23, v23, v95
	v_xor_b32_e32 v94, 1, v94
	v_and_b32_e32 v19, 0xfffff, v23
	v_add_nc_u32_e32 v23, v19, v95
                                        ; implicit-def: $vgpr19
	v_cmpx_ne_u32_e64 v93, v94
	s_xor_b32 s16, exec_lo, s16
; %bb.927:                              ;   in Loop: Header=BB4_356 Depth=4
	v_cmp_lt_u32_e32 vcc_lo, 0xffffff, v23
	v_sub_nc_u32_e32 v19, v93, v94
	v_cndmask_b32_e64 v93, 0, 1, vcc_lo
	v_add_co_ci_u32_e64 v19, null, 0, v19, vcc_lo
	v_lshrrev_b32_e32 v23, v93, v23
; %bb.928:                              ;   in Loop: Header=BB4_356 Depth=4
	s_andn2_saveexec_b32 s16, s16
; %bb.929:                              ;   in Loop: Header=BB4_356 Depth=4
	v_bfe_u32 v19, v23, 23, 1
; %bb.930:                              ;   in Loop: Header=BB4_356 Depth=4
	s_or_b32 exec_lo, exec_lo, s16
	v_lshrrev_b32_e32 v23, 20, v23
	v_min_i32_e32 v93, 15, v19
	v_cmp_gt_i32_e32 vcc_lo, 16, v19
	v_and_b32_sdwa v92, v92, v118 dst_sel:DWORD dst_unused:UNUSED_PAD src0_sel:BYTE_3 src1_sel:DWORD
	v_lshlrev_b32_e32 v93, 3, v93
	v_cndmask_b32_e32 v23, 7, v23, vcc_lo
	v_and_b32_e32 v93, 0xf8, v93
	v_and_b32_e32 v94, 7, v23
	v_or_b32_e32 v19, v19, v23
	v_or3_b32 v92, v92, v93, v94
	v_cmp_ne_u32_e32 vcc_lo, 0, v19
	v_lshlrev_b32_e32 v23, 8, v92
	v_cndmask_b32_e32 v19, 0, v23, vcc_lo
.LBB4_931:                              ;   in Loop: Header=BB4_356 Depth=4
	s_or_b32 exec_lo, exec_lo, s73
.LBB4_932:                              ;   in Loop: Header=BB4_356 Depth=4
	s_or_b32 exec_lo, exec_lo, s72
	v_cmp_gt_i16_sdwa s72, v12, v117 src0_sel:BYTE_0 src1_sel:DWORD
	s_andn2_b32 vcc_lo, exec_lo, s63
	s_mov_b32 s16, -1
                                        ; implicit-def: $vgpr92
	s_cbranch_vccnz .LBB4_946
; %bb.933:                              ;   in Loop: Header=BB4_356 Depth=4
	s_mov_b32 s16, 0
	s_and_saveexec_b32 s73, s72
	s_xor_b32 s72, exec_lo, s73
	s_cbranch_execz .LBB4_1634
; %bb.934:                              ;   in Loop: Header=BB4_356 Depth=4
	v_cmp_eq_u16_sdwa s74, v12, v118 src0_sel:BYTE_0 src1_sel:DWORD
	s_mov_b32 s16, -1
	s_and_saveexec_b32 s73, s74
; %bb.935:                              ;   in Loop: Header=BB4_356 Depth=4
	s_xor_b32 s16, exec_lo, -1
; %bb.936:                              ;   in Loop: Header=BB4_356 Depth=4
	s_or_b32 exec_lo, exec_lo, s73
	s_and_b32 s16, s16, exec_lo
	s_or_saveexec_b32 s72, s72
	v_mov_b32_e32 v23, 0x7f800001
	s_xor_b32 exec_lo, exec_lo, s72
	s_cbranch_execnz .LBB4_1635
.LBB4_937:                              ;   in Loop: Header=BB4_356 Depth=4
	s_or_b32 exec_lo, exec_lo, s72
	s_and_saveexec_b32 s72, s16
	s_cbranch_execz .LBB4_939
.LBB4_938:                              ;   in Loop: Header=BB4_356 Depth=4
	v_and_b32_e32 v23, 7, v12
	v_bfe_u32 v94, v12, 3, 4
	v_lshlrev_b32_e32 v95, 24, v12
	v_ffbh_u32_e32 v92, v23
	v_cmp_eq_u32_e32 vcc_lo, 0, v94
	v_min_u32_e32 v92, 32, v92
	v_subrev_nc_u32_e32 v93, 28, v92
	v_sub_nc_u32_e32 v92, 29, v92
	v_lshlrev_b32_e32 v93, v93, v12
	v_cndmask_b32_e32 v92, v94, v92, vcc_lo
	v_and_b32_e32 v93, 7, v93
	v_lshl_add_u32 v92, v92, 23, 0x3b800000
	v_cndmask_b32_e32 v23, v23, v93, vcc_lo
	v_and_b32_e32 v93, 0x80000000, v95
	v_lshlrev_b32_e32 v23, 20, v23
	v_or3_b32 v23, v93, v92, v23
.LBB4_939:                              ;   in Loop: Header=BB4_356 Depth=4
	s_or_b32 exec_lo, exec_lo, s72
	s_waitcnt vmcnt(0)
	v_cmp_gt_i16_sdwa s72, v8, v117 src0_sel:BYTE_0 src1_sel:DWORD
	s_mov_b32 s16, 0
	s_and_saveexec_b32 s73, s72
	s_xor_b32 s72, exec_lo, s73
	s_cbranch_execz .LBB4_1636
; %bb.940:                              ;   in Loop: Header=BB4_356 Depth=4
	v_cmp_eq_u16_sdwa s74, v8, v118 src0_sel:BYTE_0 src1_sel:DWORD
	s_mov_b32 s16, -1
	s_and_saveexec_b32 s73, s74
; %bb.941:                              ;   in Loop: Header=BB4_356 Depth=4
	s_xor_b32 s16, exec_lo, -1
; %bb.942:                              ;   in Loop: Header=BB4_356 Depth=4
	s_or_b32 exec_lo, exec_lo, s73
	s_and_b32 s16, s16, exec_lo
	s_or_saveexec_b32 s72, s72
	v_mov_b32_e32 v92, 0x7f800001
	s_xor_b32 exec_lo, exec_lo, s72
	s_cbranch_execnz .LBB4_1637
.LBB4_943:                              ;   in Loop: Header=BB4_356 Depth=4
	s_or_b32 exec_lo, exec_lo, s72
	s_and_saveexec_b32 s72, s16
	s_cbranch_execz .LBB4_945
.LBB4_944:                              ;   in Loop: Header=BB4_356 Depth=4
	v_and_b32_e32 v92, 7, v8
	v_bfe_u32 v95, v8, 3, 4
	v_lshlrev_b32_e32 v104, 24, v8
	v_ffbh_u32_e32 v93, v92
	v_cmp_eq_u32_e32 vcc_lo, 0, v95
	v_min_u32_e32 v93, 32, v93
	v_subrev_nc_u32_e32 v94, 28, v93
	v_sub_nc_u32_e32 v93, 29, v93
	v_lshlrev_b32_e32 v94, v94, v8
	v_cndmask_b32_e32 v93, v95, v93, vcc_lo
	v_and_b32_e32 v94, 7, v94
	v_lshl_add_u32 v93, v93, 23, 0x3b800000
	v_cndmask_b32_e32 v92, v92, v94, vcc_lo
	v_and_b32_e32 v94, 0x80000000, v104
	v_lshlrev_b32_e32 v92, 20, v92
	v_or3_b32 v92, v94, v93, v92
.LBB4_945:                              ;   in Loop: Header=BB4_356 Depth=4
	s_or_b32 exec_lo, exec_lo, s72
	v_max_f32_e32 v92, v92, v92
	v_max_f32_e32 v23, v23, v23
	s_mov_b32 s16, 0
	v_max_f32_e32 v92, v23, v92
.LBB4_946:                              ;   in Loop: Header=BB4_356 Depth=4
	s_and_b32 vcc_lo, exec_lo, s16
	s_cbranch_vccz .LBB4_960
; %bb.947:                              ;   in Loop: Header=BB4_356 Depth=4
	v_cmp_gt_i16_sdwa s72, v12, v117 src0_sel:BYTE_0 src1_sel:DWORD
	s_mov_b32 s16, 0
	s_and_saveexec_b32 s73, s72
	s_xor_b32 s72, exec_lo, s73
	s_cbranch_execz .LBB4_1638
; %bb.948:                              ;   in Loop: Header=BB4_356 Depth=4
	v_cmp_eq_u16_sdwa s74, v12, v118 src0_sel:BYTE_0 src1_sel:DWORD
	s_mov_b32 s16, -1
	s_and_saveexec_b32 s73, s74
; %bb.949:                              ;   in Loop: Header=BB4_356 Depth=4
	s_xor_b32 s16, exec_lo, -1
; %bb.950:                              ;   in Loop: Header=BB4_356 Depth=4
	s_or_b32 exec_lo, exec_lo, s73
	s_and_b32 s16, s16, exec_lo
	s_or_saveexec_b32 s72, s72
	v_mov_b32_e32 v23, 0x7f800001
	s_xor_b32 exec_lo, exec_lo, s72
	s_cbranch_execnz .LBB4_1639
.LBB4_951:                              ;   in Loop: Header=BB4_356 Depth=4
	s_or_b32 exec_lo, exec_lo, s72
	s_and_saveexec_b32 s72, s16
	s_cbranch_execz .LBB4_953
.LBB4_952:                              ;   in Loop: Header=BB4_356 Depth=4
	v_and_b32_e32 v23, 7, v12
	v_bfe_u32 v94, v12, 3, 4
	v_lshlrev_b32_e32 v95, 24, v12
	v_ffbh_u32_e32 v92, v23
	v_cmp_eq_u32_e32 vcc_lo, 0, v94
	v_min_u32_e32 v92, 32, v92
	v_subrev_nc_u32_e32 v93, 28, v92
	v_sub_nc_u32_e32 v92, 29, v92
	v_lshlrev_b32_e32 v93, v93, v12
	v_cndmask_b32_e32 v92, v94, v92, vcc_lo
	v_and_b32_e32 v93, 7, v93
	v_lshl_add_u32 v92, v92, 23, 0x3b800000
	v_cndmask_b32_e32 v23, v23, v93, vcc_lo
	v_and_b32_e32 v93, 0x80000000, v95
	v_lshlrev_b32_e32 v23, 20, v23
	v_or3_b32 v23, v93, v92, v23
.LBB4_953:                              ;   in Loop: Header=BB4_356 Depth=4
	s_or_b32 exec_lo, exec_lo, s72
	s_waitcnt vmcnt(0)
	v_cmp_gt_i16_sdwa s72, v8, v117 src0_sel:BYTE_0 src1_sel:DWORD
	s_mov_b32 s16, 0
	s_and_saveexec_b32 s73, s72
	s_xor_b32 s72, exec_lo, s73
	s_cbranch_execz .LBB4_1640
; %bb.954:                              ;   in Loop: Header=BB4_356 Depth=4
	v_cmp_eq_u16_sdwa s74, v8, v118 src0_sel:BYTE_0 src1_sel:DWORD
	s_mov_b32 s16, -1
	s_and_saveexec_b32 s73, s74
; %bb.955:                              ;   in Loop: Header=BB4_356 Depth=4
	s_xor_b32 s16, exec_lo, -1
; %bb.956:                              ;   in Loop: Header=BB4_356 Depth=4
	s_or_b32 exec_lo, exec_lo, s73
	s_and_b32 s16, s16, exec_lo
	s_or_saveexec_b32 s72, s72
	v_mov_b32_e32 v92, 0x7f800001
	s_xor_b32 exec_lo, exec_lo, s72
	s_cbranch_execnz .LBB4_1641
.LBB4_957:                              ;   in Loop: Header=BB4_356 Depth=4
	s_or_b32 exec_lo, exec_lo, s72
	s_and_saveexec_b32 s72, s16
	s_cbranch_execz .LBB4_959
.LBB4_958:                              ;   in Loop: Header=BB4_356 Depth=4
	v_and_b32_e32 v92, 7, v8
	v_bfe_u32 v95, v8, 3, 4
	v_lshlrev_b32_e32 v104, 24, v8
	v_ffbh_u32_e32 v93, v92
	v_cmp_eq_u32_e32 vcc_lo, 0, v95
	v_min_u32_e32 v93, 32, v93
	v_subrev_nc_u32_e32 v94, 28, v93
	v_sub_nc_u32_e32 v93, 29, v93
	v_lshlrev_b32_e32 v94, v94, v8
	v_cndmask_b32_e32 v93, v95, v93, vcc_lo
	v_and_b32_e32 v94, 7, v94
	v_lshl_add_u32 v93, v93, 23, 0x3b800000
	v_cndmask_b32_e32 v92, v92, v94, vcc_lo
	v_and_b32_e32 v94, 0x80000000, v104
	v_lshlrev_b32_e32 v92, 20, v92
	v_or3_b32 v92, v94, v93, v92
.LBB4_959:                              ;   in Loop: Header=BB4_356 Depth=4
	s_or_b32 exec_lo, exec_lo, s72
	v_max_f32_e32 v92, v92, v92
	v_max_f32_e32 v23, v23, v23
	v_min_f32_e32 v92, v23, v92
.LBB4_960:                              ;   in Loop: Header=BB4_356 Depth=4
	v_and_b32_e32 v23, 0x7f800000, v92
	v_cmp_ne_u32_e32 vcc_lo, 0x7f800000, v23
	v_mov_b32_e32 v23, 0x80
	s_and_saveexec_b32 s72, vcc_lo
	s_cbranch_execz .LBB4_968
; %bb.961:                              ;   in Loop: Header=BB4_356 Depth=4
	v_mov_b32_e32 v23, 0
	s_mov_b32 s73, exec_lo
	v_cmpx_ne_u32_e32 0, v92
	s_cbranch_execz .LBB4_967
; %bb.962:                              ;   in Loop: Header=BB4_356 Depth=4
	v_bfe_u32 v23, v92, 23, 8
	v_and_b32_e32 v93, 0x7fffff, v92
	v_sub_nc_u32_e32 v94, 0x78, v23
	v_cmp_gt_u32_e32 vcc_lo, 0x79, v23
	v_or_b32_e32 v95, 0x800000, v93
	v_cndmask_b32_e32 v94, 0, v94, vcc_lo
	v_cmp_eq_u32_e32 vcc_lo, 0, v23
	v_add_nc_u32_e32 v23, 0xffffff89, v23
	v_cndmask_b32_e64 v94, v94, 0x77, vcc_lo
	v_cndmask_b32_e32 v93, v95, v93, vcc_lo
	v_cndmask_b32_e64 v23, v23, 0xffffff8a, vcc_lo
	v_lshl_add_u32 v95, 0x100000, v94, -1
	v_lshrrev_b32_e32 v104, v94, v93
	v_lshlrev_b32_e64 v106, v94, 0x80000
	v_add_nc_u32_e32 v94, v94, v23
	v_and_b32_e32 v93, v95, v93
	v_bfe_u32 v105, v104, 20, 1
	v_cmp_eq_u32_e64 s16, v93, v106
	v_add_nc_u32_e32 v95, -1, v105
	v_cndmask_b32_e64 v93, 0, v95, s16
	v_lshrrev_b32_e32 v95, 23, v104
	s_mov_b32 s16, exec_lo
	v_add_nc_u32_e32 v93, v93, v104
	v_xor_b32_e32 v95, 1, v95
	v_and_b32_e32 v23, 0xfffff, v93
	v_add_nc_u32_e32 v93, v23, v104
                                        ; implicit-def: $vgpr23
	v_cmpx_ne_u32_e64 v94, v95
	s_xor_b32 s16, exec_lo, s16
; %bb.963:                              ;   in Loop: Header=BB4_356 Depth=4
	v_cmp_lt_u32_e32 vcc_lo, 0xffffff, v93
	v_sub_nc_u32_e32 v23, v94, v95
	v_cndmask_b32_e64 v94, 0, 1, vcc_lo
	v_add_co_ci_u32_e64 v23, null, 0, v23, vcc_lo
	v_lshrrev_b32_e32 v93, v94, v93
; %bb.964:                              ;   in Loop: Header=BB4_356 Depth=4
	s_andn2_saveexec_b32 s16, s16
; %bb.965:                              ;   in Loop: Header=BB4_356 Depth=4
	v_bfe_u32 v23, v93, 23, 1
; %bb.966:                              ;   in Loop: Header=BB4_356 Depth=4
	s_or_b32 exec_lo, exec_lo, s16
	v_lshrrev_b32_e32 v93, 20, v93
	v_min_i32_e32 v94, 15, v23
	v_cmp_gt_i32_e32 vcc_lo, 16, v23
	v_and_b32_sdwa v92, v92, v118 dst_sel:DWORD dst_unused:UNUSED_PAD src0_sel:BYTE_3 src1_sel:DWORD
	v_lshlrev_b32_e32 v94, 3, v94
	v_cndmask_b32_e32 v93, 7, v93, vcc_lo
	v_and_b32_e32 v94, 0xf8, v94
	v_and_b32_e32 v95, 7, v93
	v_or_b32_e32 v23, v23, v93
	v_or3_b32 v92, v94, v92, v95
	v_cmp_ne_u32_e32 vcc_lo, 0, v23
	v_cndmask_b32_e32 v23, 0, v92, vcc_lo
.LBB4_967:                              ;   in Loop: Header=BB4_356 Depth=4
	s_or_b32 exec_lo, exec_lo, s73
.LBB4_968:                              ;   in Loop: Header=BB4_356 Depth=4
	s_or_b32 exec_lo, exec_lo, s72
	v_cmp_gt_i16_sdwa s72, v12, v117 src0_sel:BYTE_1 src1_sel:DWORD
	s_andn2_b32 vcc_lo, exec_lo, s63
	s_mov_b32 s16, -1
                                        ; implicit-def: $vgpr93
	s_cbranch_vccnz .LBB4_982
; %bb.969:                              ;   in Loop: Header=BB4_356 Depth=4
	s_mov_b32 s16, 0
	s_and_saveexec_b32 s73, s72
	s_xor_b32 s72, exec_lo, s73
	s_cbranch_execz .LBB4_1642
; %bb.970:                              ;   in Loop: Header=BB4_356 Depth=4
	v_cmp_eq_u16_sdwa s74, v12, v118 src0_sel:BYTE_1 src1_sel:DWORD
	s_mov_b32 s16, -1
	s_and_saveexec_b32 s73, s74
; %bb.971:                              ;   in Loop: Header=BB4_356 Depth=4
	s_xor_b32 s16, exec_lo, -1
; %bb.972:                              ;   in Loop: Header=BB4_356 Depth=4
	s_or_b32 exec_lo, exec_lo, s73
	s_and_b32 s16, s16, exec_lo
	s_or_saveexec_b32 s72, s72
	v_mov_b32_e32 v92, 0x7f800001
	s_xor_b32 exec_lo, exec_lo, s72
	s_cbranch_execnz .LBB4_1643
.LBB4_973:                              ;   in Loop: Header=BB4_356 Depth=4
	s_or_b32 exec_lo, exec_lo, s72
	s_and_saveexec_b32 s72, s16
	s_cbranch_execz .LBB4_975
.LBB4_974:                              ;   in Loop: Header=BB4_356 Depth=4
	v_and_b32_sdwa v92, v119, v12 dst_sel:DWORD dst_unused:UNUSED_PAD src0_sel:DWORD src1_sel:BYTE_1
	v_and_b32_e32 v93, 7, v92
	v_bfe_u32 v104, v92, 3, 4
	v_ffbh_u32_e32 v94, v93
	v_cmp_eq_u32_e32 vcc_lo, 0, v104
	v_min_u32_e32 v94, 32, v94
	v_subrev_nc_u32_e32 v95, 28, v94
	v_sub_nc_u32_e32 v94, 29, v94
	v_lshlrev_b32_e32 v92, v95, v92
	v_lshlrev_b32_e32 v95, 16, v12
	v_cndmask_b32_e32 v94, v104, v94, vcc_lo
	v_and_b32_e32 v92, 7, v92
	v_lshl_add_u32 v94, v94, 23, 0x3b800000
	v_cndmask_b32_e32 v92, v93, v92, vcc_lo
	v_and_b32_e32 v93, 0x80000000, v95
	v_lshlrev_b32_e32 v92, 20, v92
	v_or3_b32 v92, v93, v94, v92
.LBB4_975:                              ;   in Loop: Header=BB4_356 Depth=4
	s_or_b32 exec_lo, exec_lo, s72
	s_waitcnt vmcnt(0)
	v_cmp_gt_i16_sdwa s72, v8, v117 src0_sel:BYTE_1 src1_sel:DWORD
	s_mov_b32 s16, 0
	s_and_saveexec_b32 s73, s72
	s_xor_b32 s72, exec_lo, s73
	s_cbranch_execz .LBB4_1644
; %bb.976:                              ;   in Loop: Header=BB4_356 Depth=4
	v_cmp_eq_u16_sdwa s74, v8, v118 src0_sel:BYTE_1 src1_sel:DWORD
	s_mov_b32 s16, -1
	s_and_saveexec_b32 s73, s74
; %bb.977:                              ;   in Loop: Header=BB4_356 Depth=4
	s_xor_b32 s16, exec_lo, -1
; %bb.978:                              ;   in Loop: Header=BB4_356 Depth=4
	s_or_b32 exec_lo, exec_lo, s73
	s_and_b32 s16, s16, exec_lo
	s_or_saveexec_b32 s72, s72
	v_mov_b32_e32 v93, 0x7f800001
	s_xor_b32 exec_lo, exec_lo, s72
	s_cbranch_execnz .LBB4_1645
.LBB4_979:                              ;   in Loop: Header=BB4_356 Depth=4
	s_or_b32 exec_lo, exec_lo, s72
	s_and_saveexec_b32 s72, s16
	s_cbranch_execz .LBB4_981
.LBB4_980:                              ;   in Loop: Header=BB4_356 Depth=4
	v_and_b32_sdwa v93, v119, v8 dst_sel:DWORD dst_unused:UNUSED_PAD src0_sel:DWORD src1_sel:BYTE_1
	v_and_b32_e32 v94, 7, v93
	v_bfe_u32 v105, v93, 3, 4
	v_ffbh_u32_e32 v95, v94
	v_cmp_eq_u32_e32 vcc_lo, 0, v105
	v_min_u32_e32 v95, 32, v95
	v_subrev_nc_u32_e32 v104, 28, v95
	v_sub_nc_u32_e32 v95, 29, v95
	v_lshlrev_b32_e32 v93, v104, v93
	v_lshlrev_b32_e32 v104, 16, v8
	v_cndmask_b32_e32 v95, v105, v95, vcc_lo
	v_and_b32_e32 v93, 7, v93
	v_lshl_add_u32 v95, v95, 23, 0x3b800000
	v_cndmask_b32_e32 v93, v94, v93, vcc_lo
	v_and_b32_e32 v94, 0x80000000, v104
	v_lshlrev_b32_e32 v93, 20, v93
	v_or3_b32 v93, v94, v95, v93
.LBB4_981:                              ;   in Loop: Header=BB4_356 Depth=4
	s_or_b32 exec_lo, exec_lo, s72
	v_max_f32_e32 v93, v93, v93
	v_max_f32_e32 v92, v92, v92
	s_mov_b32 s16, 0
	v_max_f32_e32 v93, v92, v93
.LBB4_982:                              ;   in Loop: Header=BB4_356 Depth=4
	s_and_b32 vcc_lo, exec_lo, s16
	s_cbranch_vccz .LBB4_996
; %bb.983:                              ;   in Loop: Header=BB4_356 Depth=4
	v_cmp_gt_i16_sdwa s72, v12, v117 src0_sel:BYTE_1 src1_sel:DWORD
	s_mov_b32 s16, 0
	s_and_saveexec_b32 s73, s72
	s_xor_b32 s72, exec_lo, s73
	s_cbranch_execz .LBB4_1646
; %bb.984:                              ;   in Loop: Header=BB4_356 Depth=4
	v_cmp_eq_u16_sdwa s74, v12, v118 src0_sel:BYTE_1 src1_sel:DWORD
	s_mov_b32 s16, -1
	s_and_saveexec_b32 s73, s74
; %bb.985:                              ;   in Loop: Header=BB4_356 Depth=4
	s_xor_b32 s16, exec_lo, -1
; %bb.986:                              ;   in Loop: Header=BB4_356 Depth=4
	s_or_b32 exec_lo, exec_lo, s73
	s_and_b32 s16, s16, exec_lo
	s_or_saveexec_b32 s72, s72
	v_mov_b32_e32 v92, 0x7f800001
	s_xor_b32 exec_lo, exec_lo, s72
	s_cbranch_execnz .LBB4_1647
.LBB4_987:                              ;   in Loop: Header=BB4_356 Depth=4
	s_or_b32 exec_lo, exec_lo, s72
	s_and_saveexec_b32 s72, s16
	s_cbranch_execz .LBB4_989
.LBB4_988:                              ;   in Loop: Header=BB4_356 Depth=4
	v_and_b32_sdwa v92, v119, v12 dst_sel:DWORD dst_unused:UNUSED_PAD src0_sel:DWORD src1_sel:BYTE_1
	v_and_b32_e32 v93, 7, v92
	v_bfe_u32 v104, v92, 3, 4
	v_ffbh_u32_e32 v94, v93
	v_cmp_eq_u32_e32 vcc_lo, 0, v104
	v_min_u32_e32 v94, 32, v94
	v_subrev_nc_u32_e32 v95, 28, v94
	v_sub_nc_u32_e32 v94, 29, v94
	v_lshlrev_b32_e32 v92, v95, v92
	v_lshlrev_b32_e32 v95, 16, v12
	v_cndmask_b32_e32 v94, v104, v94, vcc_lo
	v_and_b32_e32 v92, 7, v92
	v_lshl_add_u32 v94, v94, 23, 0x3b800000
	v_cndmask_b32_e32 v92, v93, v92, vcc_lo
	v_and_b32_e32 v93, 0x80000000, v95
	v_lshlrev_b32_e32 v92, 20, v92
	v_or3_b32 v92, v93, v94, v92
.LBB4_989:                              ;   in Loop: Header=BB4_356 Depth=4
	s_or_b32 exec_lo, exec_lo, s72
	s_waitcnt vmcnt(0)
	v_cmp_gt_i16_sdwa s72, v8, v117 src0_sel:BYTE_1 src1_sel:DWORD
	s_mov_b32 s16, 0
	s_and_saveexec_b32 s73, s72
	s_xor_b32 s72, exec_lo, s73
	s_cbranch_execz .LBB4_1648
; %bb.990:                              ;   in Loop: Header=BB4_356 Depth=4
	v_cmp_eq_u16_sdwa s74, v8, v118 src0_sel:BYTE_1 src1_sel:DWORD
	s_mov_b32 s16, -1
	s_and_saveexec_b32 s73, s74
; %bb.991:                              ;   in Loop: Header=BB4_356 Depth=4
	s_xor_b32 s16, exec_lo, -1
; %bb.992:                              ;   in Loop: Header=BB4_356 Depth=4
	s_or_b32 exec_lo, exec_lo, s73
	s_and_b32 s16, s16, exec_lo
	s_or_saveexec_b32 s72, s72
	v_mov_b32_e32 v93, 0x7f800001
	s_xor_b32 exec_lo, exec_lo, s72
	s_cbranch_execnz .LBB4_1649
.LBB4_993:                              ;   in Loop: Header=BB4_356 Depth=4
	s_or_b32 exec_lo, exec_lo, s72
	s_and_saveexec_b32 s72, s16
	s_cbranch_execz .LBB4_995
.LBB4_994:                              ;   in Loop: Header=BB4_356 Depth=4
	v_and_b32_sdwa v93, v119, v8 dst_sel:DWORD dst_unused:UNUSED_PAD src0_sel:DWORD src1_sel:BYTE_1
	v_and_b32_e32 v94, 7, v93
	v_bfe_u32 v105, v93, 3, 4
	v_ffbh_u32_e32 v95, v94
	v_cmp_eq_u32_e32 vcc_lo, 0, v105
	v_min_u32_e32 v95, 32, v95
	v_subrev_nc_u32_e32 v104, 28, v95
	v_sub_nc_u32_e32 v95, 29, v95
	v_lshlrev_b32_e32 v93, v104, v93
	v_lshlrev_b32_e32 v104, 16, v8
	v_cndmask_b32_e32 v95, v105, v95, vcc_lo
	v_and_b32_e32 v93, 7, v93
	v_lshl_add_u32 v95, v95, 23, 0x3b800000
	v_cndmask_b32_e32 v93, v94, v93, vcc_lo
	v_and_b32_e32 v94, 0x80000000, v104
	v_lshlrev_b32_e32 v93, 20, v93
	v_or3_b32 v93, v94, v95, v93
.LBB4_995:                              ;   in Loop: Header=BB4_356 Depth=4
	s_or_b32 exec_lo, exec_lo, s72
	v_max_f32_e32 v93, v93, v93
	v_max_f32_e32 v92, v92, v92
	v_min_f32_e32 v93, v92, v93
.LBB4_996:                              ;   in Loop: Header=BB4_356 Depth=4
	v_and_b32_e32 v92, 0x7f800000, v93
	v_cmp_ne_u32_e32 vcc_lo, 0x7f800000, v92
	v_mov_b32_e32 v92, 0x8000
	s_and_saveexec_b32 s72, vcc_lo
	s_cbranch_execz .LBB4_1004
; %bb.997:                              ;   in Loop: Header=BB4_356 Depth=4
	v_mov_b32_e32 v92, 0
	s_mov_b32 s73, exec_lo
	v_cmpx_ne_u32_e32 0, v93
	s_cbranch_execz .LBB4_1003
; %bb.998:                              ;   in Loop: Header=BB4_356 Depth=4
	v_bfe_u32 v92, v93, 23, 8
	v_and_b32_e32 v94, 0x7fffff, v93
	v_sub_nc_u32_e32 v95, 0x78, v92
	v_cmp_gt_u32_e32 vcc_lo, 0x79, v92
	v_or_b32_e32 v104, 0x800000, v94
	v_cndmask_b32_e32 v95, 0, v95, vcc_lo
	v_cmp_eq_u32_e32 vcc_lo, 0, v92
	v_add_nc_u32_e32 v92, 0xffffff89, v92
	v_cndmask_b32_e64 v95, v95, 0x77, vcc_lo
	v_cndmask_b32_e32 v94, v104, v94, vcc_lo
	v_cndmask_b32_e64 v92, v92, 0xffffff8a, vcc_lo
	v_lshl_add_u32 v104, 0x100000, v95, -1
	v_lshrrev_b32_e32 v105, v95, v94
	v_lshlrev_b32_e64 v107, v95, 0x80000
	v_add_nc_u32_e32 v95, v95, v92
	v_and_b32_e32 v94, v104, v94
	v_bfe_u32 v106, v105, 20, 1
	v_cmp_eq_u32_e64 s16, v94, v107
	v_add_nc_u32_e32 v104, -1, v106
	v_cndmask_b32_e64 v94, 0, v104, s16
	v_lshrrev_b32_e32 v104, 23, v105
	s_mov_b32 s16, exec_lo
	v_add_nc_u32_e32 v94, v94, v105
	v_xor_b32_e32 v104, 1, v104
	v_and_b32_e32 v92, 0xfffff, v94
	v_add_nc_u32_e32 v94, v92, v105
                                        ; implicit-def: $vgpr92
	v_cmpx_ne_u32_e64 v95, v104
	s_xor_b32 s16, exec_lo, s16
; %bb.999:                              ;   in Loop: Header=BB4_356 Depth=4
	v_cmp_lt_u32_e32 vcc_lo, 0xffffff, v94
	v_sub_nc_u32_e32 v92, v95, v104
	v_cndmask_b32_e64 v95, 0, 1, vcc_lo
	v_add_co_ci_u32_e64 v92, null, 0, v92, vcc_lo
	v_lshrrev_b32_e32 v94, v95, v94
; %bb.1000:                             ;   in Loop: Header=BB4_356 Depth=4
	s_andn2_saveexec_b32 s16, s16
; %bb.1001:                             ;   in Loop: Header=BB4_356 Depth=4
	v_bfe_u32 v92, v94, 23, 1
; %bb.1002:                             ;   in Loop: Header=BB4_356 Depth=4
	s_or_b32 exec_lo, exec_lo, s16
	v_lshrrev_b32_e32 v94, 20, v94
	v_min_i32_e32 v95, 15, v92
	v_cmp_gt_i32_e32 vcc_lo, 16, v92
	v_and_b32_sdwa v93, v93, v118 dst_sel:DWORD dst_unused:UNUSED_PAD src0_sel:BYTE_3 src1_sel:DWORD
	v_lshlrev_b32_e32 v95, 3, v95
	v_cndmask_b32_e32 v94, 7, v94, vcc_lo
	v_and_b32_e32 v95, 0xf8, v95
	v_and_b32_e32 v104, 7, v94
	v_or_b32_e32 v92, v92, v94
	v_or3_b32 v93, v93, v95, v104
	v_cmp_ne_u32_e32 vcc_lo, 0, v92
	v_lshlrev_b32_e32 v93, 8, v93
	v_cndmask_b32_e32 v92, 0, v93, vcc_lo
.LBB4_1003:                             ;   in Loop: Header=BB4_356 Depth=4
	s_or_b32 exec_lo, exec_lo, s73
.LBB4_1004:                             ;   in Loop: Header=BB4_356 Depth=4
	s_or_b32 exec_lo, exec_lo, s72
	v_and_b32_sdwa v93, v12, v40 dst_sel:DWORD dst_unused:UNUSED_PAD src0_sel:WORD_1 src1_sel:DWORD
	s_andn2_b32 vcc_lo, exec_lo, s63
	s_mov_b32 s72, -1
                                        ; implicit-def: $vgpr94
	v_cmp_lt_i16_e64 s16, 0x7f, v93
	s_cbranch_vccnz .LBB4_1018
; %bb.1005:                             ;   in Loop: Header=BB4_356 Depth=4
	s_mov_b32 s72, 0
	s_and_saveexec_b32 s73, s16
	s_xor_b32 s16, exec_lo, s73
	s_cbranch_execz .LBB4_1650
; %bb.1006:                             ;   in Loop: Header=BB4_356 Depth=4
	s_mov_b32 s72, -1
	s_mov_b32 s73, exec_lo
	v_cmpx_eq_u16_e32 0x80, v93
; %bb.1007:                             ;   in Loop: Header=BB4_356 Depth=4
	s_xor_b32 s72, exec_lo, -1
; %bb.1008:                             ;   in Loop: Header=BB4_356 Depth=4
	s_or_b32 exec_lo, exec_lo, s73
	s_and_b32 s72, s72, exec_lo
	s_or_saveexec_b32 s16, s16
	v_mov_b32_e32 v94, 0x7f800001
	s_xor_b32 exec_lo, exec_lo, s16
	s_cbranch_execnz .LBB4_1651
.LBB4_1009:                             ;   in Loop: Header=BB4_356 Depth=4
	s_or_b32 exec_lo, exec_lo, s16
	s_and_saveexec_b32 s16, s72
	s_cbranch_execz .LBB4_1011
.LBB4_1010:                             ;   in Loop: Header=BB4_356 Depth=4
	v_bfe_u32 v94, v12, 16, 3
	v_bfe_u32 v105, v12, 19, 4
	v_lshlrev_b32_sdwa v106, v41, v12 dst_sel:DWORD dst_unused:UNUSED_PAD src0_sel:DWORD src1_sel:WORD_1
	v_ffbh_u32_e32 v95, v94
	v_cmp_eq_u32_e32 vcc_lo, 0, v105
	v_min_u32_e32 v95, 32, v95
	v_subrev_nc_u32_e32 v104, 28, v95
	v_sub_nc_u32_e32 v95, 29, v95
	v_lshlrev_b32_sdwa v104, v104, v12 dst_sel:DWORD dst_unused:UNUSED_PAD src0_sel:DWORD src1_sel:WORD_1
	v_cndmask_b32_e32 v95, v105, v95, vcc_lo
	v_and_b32_e32 v104, 7, v104
	v_lshl_add_u32 v95, v95, 23, 0x3b800000
	v_cndmask_b32_e32 v94, v94, v104, vcc_lo
	v_and_b32_e32 v104, 0x80000000, v106
	v_lshlrev_b32_e32 v94, 20, v94
	v_or3_b32 v94, v104, v95, v94
.LBB4_1011:                             ;   in Loop: Header=BB4_356 Depth=4
	s_or_b32 exec_lo, exec_lo, s16
	s_waitcnt vmcnt(0)
	v_and_b32_sdwa v104, v8, v40 dst_sel:DWORD dst_unused:UNUSED_PAD src0_sel:WORD_1 src1_sel:DWORD
	s_mov_b32 s16, 0
	s_mov_b32 s72, exec_lo
	v_cmpx_lt_i16_e32 0x7f, v104
	s_xor_b32 s72, exec_lo, s72
	s_cbranch_execz .LBB4_1652
; %bb.1012:                             ;   in Loop: Header=BB4_356 Depth=4
	s_mov_b32 s16, -1
	s_mov_b32 s73, exec_lo
	v_cmpx_eq_u16_e32 0x80, v104
; %bb.1013:                             ;   in Loop: Header=BB4_356 Depth=4
	s_xor_b32 s16, exec_lo, -1
; %bb.1014:                             ;   in Loop: Header=BB4_356 Depth=4
	s_or_b32 exec_lo, exec_lo, s73
	s_and_b32 s16, s16, exec_lo
                                        ; implicit-def: $vgpr104
	s_or_saveexec_b32 s72, s72
	v_mov_b32_e32 v95, 0x7f800001
	s_xor_b32 exec_lo, exec_lo, s72
	s_cbranch_execnz .LBB4_1653
.LBB4_1015:                             ;   in Loop: Header=BB4_356 Depth=4
	s_or_b32 exec_lo, exec_lo, s72
	s_and_saveexec_b32 s72, s16
	s_cbranch_execz .LBB4_1017
.LBB4_1016:                             ;   in Loop: Header=BB4_356 Depth=4
	v_bfe_u32 v95, v8, 16, 3
	v_bfe_u32 v106, v8, 19, 4
	v_lshlrev_b32_sdwa v107, v41, v8 dst_sel:DWORD dst_unused:UNUSED_PAD src0_sel:DWORD src1_sel:WORD_1
	v_ffbh_u32_e32 v104, v95
	v_cmp_eq_u32_e32 vcc_lo, 0, v106
	v_min_u32_e32 v104, 32, v104
	v_subrev_nc_u32_e32 v105, 28, v104
	v_sub_nc_u32_e32 v104, 29, v104
	v_lshlrev_b32_sdwa v105, v105, v8 dst_sel:DWORD dst_unused:UNUSED_PAD src0_sel:DWORD src1_sel:WORD_1
	v_cndmask_b32_e32 v104, v106, v104, vcc_lo
	v_and_b32_e32 v105, 7, v105
	v_lshl_add_u32 v104, v104, 23, 0x3b800000
	v_cndmask_b32_e32 v95, v95, v105, vcc_lo
	v_and_b32_e32 v105, 0x80000000, v107
	v_lshlrev_b32_e32 v95, 20, v95
	v_or3_b32 v95, v105, v104, v95
.LBB4_1017:                             ;   in Loop: Header=BB4_356 Depth=4
	s_or_b32 exec_lo, exec_lo, s72
	v_max_f32_e32 v95, v95, v95
	v_max_f32_e32 v94, v94, v94
	s_mov_b32 s72, 0
	v_max_f32_e32 v94, v94, v95
.LBB4_1018:                             ;   in Loop: Header=BB4_356 Depth=4
	s_and_b32 vcc_lo, exec_lo, s72
	s_cbranch_vccz .LBB4_1032
; %bb.1019:                             ;   in Loop: Header=BB4_356 Depth=4
	s_mov_b32 s16, 0
	s_mov_b32 s72, exec_lo
	v_cmpx_lt_i16_e32 0x7f, v93
	s_xor_b32 s72, exec_lo, s72
	s_cbranch_execz .LBB4_1654
; %bb.1020:                             ;   in Loop: Header=BB4_356 Depth=4
	s_mov_b32 s16, -1
	s_mov_b32 s73, exec_lo
	v_cmpx_eq_u16_e32 0x80, v93
; %bb.1021:                             ;   in Loop: Header=BB4_356 Depth=4
	s_xor_b32 s16, exec_lo, -1
; %bb.1022:                             ;   in Loop: Header=BB4_356 Depth=4
	s_or_b32 exec_lo, exec_lo, s73
	s_and_b32 s16, s16, exec_lo
                                        ; implicit-def: $vgpr93
	s_or_saveexec_b32 s72, s72
	v_mov_b32_e32 v94, 0x7f800001
	s_xor_b32 exec_lo, exec_lo, s72
	s_cbranch_execnz .LBB4_1655
.LBB4_1023:                             ;   in Loop: Header=BB4_356 Depth=4
	s_or_b32 exec_lo, exec_lo, s72
	s_and_saveexec_b32 s72, s16
	s_cbranch_execz .LBB4_1025
.LBB4_1024:                             ;   in Loop: Header=BB4_356 Depth=4
	v_bfe_u32 v93, v12, 16, 3
	v_bfe_u32 v104, v12, 19, 4
	v_lshlrev_b32_sdwa v105, v41, v12 dst_sel:DWORD dst_unused:UNUSED_PAD src0_sel:DWORD src1_sel:WORD_1
	v_ffbh_u32_e32 v94, v93
	v_cmp_eq_u32_e32 vcc_lo, 0, v104
	v_min_u32_e32 v94, 32, v94
	v_subrev_nc_u32_e32 v95, 28, v94
	v_sub_nc_u32_e32 v94, 29, v94
	v_lshlrev_b32_sdwa v95, v95, v12 dst_sel:DWORD dst_unused:UNUSED_PAD src0_sel:DWORD src1_sel:WORD_1
	v_cndmask_b32_e32 v94, v104, v94, vcc_lo
	v_and_b32_e32 v95, 7, v95
	v_lshl_add_u32 v94, v94, 23, 0x3b800000
	v_cndmask_b32_e32 v93, v93, v95, vcc_lo
	v_and_b32_e32 v95, 0x80000000, v105
	v_lshlrev_b32_e32 v93, 20, v93
	v_or3_b32 v94, v95, v94, v93
.LBB4_1025:                             ;   in Loop: Header=BB4_356 Depth=4
	s_or_b32 exec_lo, exec_lo, s72
	s_waitcnt vmcnt(0)
	v_and_b32_sdwa v95, v8, v40 dst_sel:DWORD dst_unused:UNUSED_PAD src0_sel:WORD_1 src1_sel:DWORD
	s_mov_b32 s16, 0
	s_mov_b32 s72, exec_lo
	v_cmpx_lt_i16_e32 0x7f, v95
	s_xor_b32 s72, exec_lo, s72
	s_cbranch_execz .LBB4_1656
; %bb.1026:                             ;   in Loop: Header=BB4_356 Depth=4
	s_mov_b32 s16, -1
	s_mov_b32 s73, exec_lo
	v_cmpx_eq_u16_e32 0x80, v95
; %bb.1027:                             ;   in Loop: Header=BB4_356 Depth=4
	s_xor_b32 s16, exec_lo, -1
; %bb.1028:                             ;   in Loop: Header=BB4_356 Depth=4
	s_or_b32 exec_lo, exec_lo, s73
	s_and_b32 s16, s16, exec_lo
                                        ; implicit-def: $vgpr95
	s_or_saveexec_b32 s72, s72
	v_mov_b32_e32 v93, 0x7f800001
	s_xor_b32 exec_lo, exec_lo, s72
	s_cbranch_execnz .LBB4_1657
.LBB4_1029:                             ;   in Loop: Header=BB4_356 Depth=4
	s_or_b32 exec_lo, exec_lo, s72
	s_and_saveexec_b32 s72, s16
	s_cbranch_execz .LBB4_1031
.LBB4_1030:                             ;   in Loop: Header=BB4_356 Depth=4
	v_bfe_u32 v93, v8, 16, 3
	v_bfe_u32 v105, v8, 19, 4
	v_lshlrev_b32_sdwa v106, v41, v8 dst_sel:DWORD dst_unused:UNUSED_PAD src0_sel:DWORD src1_sel:WORD_1
	v_ffbh_u32_e32 v95, v93
	v_cmp_eq_u32_e32 vcc_lo, 0, v105
	v_min_u32_e32 v95, 32, v95
	v_subrev_nc_u32_e32 v104, 28, v95
	v_sub_nc_u32_e32 v95, 29, v95
	v_lshlrev_b32_sdwa v104, v104, v8 dst_sel:DWORD dst_unused:UNUSED_PAD src0_sel:DWORD src1_sel:WORD_1
	v_cndmask_b32_e32 v95, v105, v95, vcc_lo
	v_and_b32_e32 v104, 7, v104
	v_lshl_add_u32 v95, v95, 23, 0x3b800000
	v_cndmask_b32_e32 v93, v93, v104, vcc_lo
	v_and_b32_e32 v104, 0x80000000, v106
	v_lshlrev_b32_e32 v93, 20, v93
	v_or3_b32 v93, v104, v95, v93
.LBB4_1031:                             ;   in Loop: Header=BB4_356 Depth=4
	s_or_b32 exec_lo, exec_lo, s72
	v_max_f32_e32 v93, v93, v93
	v_max_f32_e32 v94, v94, v94
	v_min_f32_e32 v94, v94, v93
.LBB4_1032:                             ;   in Loop: Header=BB4_356 Depth=4
	v_and_b32_e32 v93, 0x7f800000, v94
	v_cmp_ne_u32_e32 vcc_lo, 0x7f800000, v93
	v_mov_b32_e32 v93, 0x80
	s_and_saveexec_b32 s72, vcc_lo
	s_cbranch_execz .LBB4_1040
; %bb.1033:                             ;   in Loop: Header=BB4_356 Depth=4
	v_mov_b32_e32 v93, 0
	s_mov_b32 s73, exec_lo
	v_cmpx_ne_u32_e32 0, v94
	s_cbranch_execz .LBB4_1039
; %bb.1034:                             ;   in Loop: Header=BB4_356 Depth=4
	v_bfe_u32 v93, v94, 23, 8
	v_and_b32_e32 v95, 0x7fffff, v94
	v_sub_nc_u32_e32 v104, 0x78, v93
	v_cmp_gt_u32_e32 vcc_lo, 0x79, v93
	v_or_b32_e32 v105, 0x800000, v95
	v_cndmask_b32_e32 v104, 0, v104, vcc_lo
	v_cmp_eq_u32_e32 vcc_lo, 0, v93
	v_add_nc_u32_e32 v93, 0xffffff89, v93
	v_cndmask_b32_e64 v104, v104, 0x77, vcc_lo
	v_cndmask_b32_e32 v95, v105, v95, vcc_lo
	v_cndmask_b32_e64 v93, v93, 0xffffff8a, vcc_lo
	v_lshl_add_u32 v105, 0x100000, v104, -1
	v_lshrrev_b32_e32 v106, v104, v95
	v_lshlrev_b32_e64 v108, v104, 0x80000
	v_add_nc_u32_e32 v104, v104, v93
	v_and_b32_e32 v95, v105, v95
	v_bfe_u32 v107, v106, 20, 1
	v_cmp_eq_u32_e64 s16, v95, v108
	v_add_nc_u32_e32 v105, -1, v107
	v_cndmask_b32_e64 v95, 0, v105, s16
	v_lshrrev_b32_e32 v105, 23, v106
	s_mov_b32 s16, exec_lo
	v_add_nc_u32_e32 v95, v95, v106
	v_xor_b32_e32 v105, 1, v105
	v_and_b32_e32 v93, 0xfffff, v95
	v_add_nc_u32_e32 v95, v93, v106
                                        ; implicit-def: $vgpr93
	v_cmpx_ne_u32_e64 v104, v105
	s_xor_b32 s16, exec_lo, s16
; %bb.1035:                             ;   in Loop: Header=BB4_356 Depth=4
	v_cmp_lt_u32_e32 vcc_lo, 0xffffff, v95
	v_sub_nc_u32_e32 v93, v104, v105
	v_cndmask_b32_e64 v104, 0, 1, vcc_lo
	v_add_co_ci_u32_e64 v93, null, 0, v93, vcc_lo
	v_lshrrev_b32_e32 v95, v104, v95
; %bb.1036:                             ;   in Loop: Header=BB4_356 Depth=4
	s_andn2_saveexec_b32 s16, s16
; %bb.1037:                             ;   in Loop: Header=BB4_356 Depth=4
	v_bfe_u32 v93, v95, 23, 1
; %bb.1038:                             ;   in Loop: Header=BB4_356 Depth=4
	s_or_b32 exec_lo, exec_lo, s16
	v_lshrrev_b32_e32 v95, 20, v95
	v_min_i32_e32 v104, 15, v93
	v_cmp_gt_i32_e32 vcc_lo, 16, v93
	v_and_b32_sdwa v94, v94, v118 dst_sel:DWORD dst_unused:UNUSED_PAD src0_sel:BYTE_3 src1_sel:DWORD
	v_lshlrev_b32_e32 v104, 3, v104
	v_cndmask_b32_e32 v95, 7, v95, vcc_lo
	v_and_b32_e32 v104, 0xf8, v104
	v_and_b32_e32 v105, 7, v95
	v_or_b32_e32 v93, v93, v95
	v_or3_b32 v94, v104, v94, v105
	v_cmp_ne_u32_e32 vcc_lo, 0, v93
	v_cndmask_b32_e32 v93, 0, v94, vcc_lo
.LBB4_1039:                             ;   in Loop: Header=BB4_356 Depth=4
	s_or_b32 exec_lo, exec_lo, s73
.LBB4_1040:                             ;   in Loop: Header=BB4_356 Depth=4
	s_or_b32 exec_lo, exec_lo, s72
	v_cmp_gt_i16_sdwa s72, v12, v117 src0_sel:BYTE_3 src1_sel:DWORD
	s_andn2_b32 vcc_lo, exec_lo, s63
	s_mov_b32 s16, -1
                                        ; implicit-def: $vgpr94
	s_cbranch_vccnz .LBB4_1054
; %bb.1041:                             ;   in Loop: Header=BB4_356 Depth=4
	s_mov_b32 s16, 0
	s_and_saveexec_b32 s73, s72
	s_xor_b32 s72, exec_lo, s73
	s_cbranch_execz .LBB4_1658
; %bb.1042:                             ;   in Loop: Header=BB4_356 Depth=4
	v_cmp_eq_u16_sdwa s74, v12, v118 src0_sel:BYTE_3 src1_sel:DWORD
	s_mov_b32 s16, -1
	s_and_saveexec_b32 s73, s74
; %bb.1043:                             ;   in Loop: Header=BB4_356 Depth=4
	s_xor_b32 s16, exec_lo, -1
; %bb.1044:                             ;   in Loop: Header=BB4_356 Depth=4
	s_or_b32 exec_lo, exec_lo, s73
	s_and_b32 s16, s16, exec_lo
	s_or_saveexec_b32 s72, s72
	v_mov_b32_e32 v94, 0x7f800001
	s_xor_b32 exec_lo, exec_lo, s72
	s_cbranch_execnz .LBB4_1659
.LBB4_1045:                             ;   in Loop: Header=BB4_356 Depth=4
	s_or_b32 exec_lo, exec_lo, s72
	s_and_saveexec_b32 s72, s16
	s_cbranch_execz .LBB4_1047
.LBB4_1046:                             ;   in Loop: Header=BB4_356 Depth=4
	v_bfe_u32 v94, v12, 24, 3
	v_bfe_u32 v105, v12, 27, 4
	v_ffbh_u32_e32 v95, v94
	v_cmp_eq_u32_e32 vcc_lo, 0, v105
	v_min_u32_e32 v95, 32, v95
	v_subrev_nc_u32_e32 v104, 28, v95
	v_sub_nc_u32_e32 v95, 29, v95
	v_lshlrev_b32_sdwa v104, v104, v12 dst_sel:DWORD dst_unused:UNUSED_PAD src0_sel:DWORD src1_sel:BYTE_3
	v_cndmask_b32_e32 v95, v105, v95, vcc_lo
	v_and_b32_e32 v104, 7, v104
	v_lshl_add_u32 v95, v95, 23, 0x3b800000
	v_cndmask_b32_e32 v94, v94, v104, vcc_lo
	v_and_b32_e32 v104, 0x80000000, v12
	v_lshlrev_b32_e32 v94, 20, v94
	v_or3_b32 v94, v104, v95, v94
.LBB4_1047:                             ;   in Loop: Header=BB4_356 Depth=4
	s_or_b32 exec_lo, exec_lo, s72
	s_waitcnt vmcnt(0)
	v_cmp_gt_i16_sdwa s72, v8, v117 src0_sel:BYTE_3 src1_sel:DWORD
	s_mov_b32 s16, 0
	s_and_saveexec_b32 s73, s72
	s_xor_b32 s72, exec_lo, s73
	s_cbranch_execz .LBB4_1660
; %bb.1048:                             ;   in Loop: Header=BB4_356 Depth=4
	v_cmp_eq_u16_sdwa s74, v8, v118 src0_sel:BYTE_3 src1_sel:DWORD
	s_mov_b32 s16, -1
	s_and_saveexec_b32 s73, s74
; %bb.1049:                             ;   in Loop: Header=BB4_356 Depth=4
	s_xor_b32 s16, exec_lo, -1
; %bb.1050:                             ;   in Loop: Header=BB4_356 Depth=4
	s_or_b32 exec_lo, exec_lo, s73
	s_and_b32 s16, s16, exec_lo
	s_or_saveexec_b32 s72, s72
	v_mov_b32_e32 v95, 0x7f800001
	s_xor_b32 exec_lo, exec_lo, s72
	s_cbranch_execnz .LBB4_1661
.LBB4_1051:                             ;   in Loop: Header=BB4_356 Depth=4
	s_or_b32 exec_lo, exec_lo, s72
	s_and_saveexec_b32 s72, s16
	s_cbranch_execz .LBB4_1053
.LBB4_1052:                             ;   in Loop: Header=BB4_356 Depth=4
	v_bfe_u32 v95, v8, 24, 3
	v_bfe_u32 v106, v8, 27, 4
	v_ffbh_u32_e32 v104, v95
	v_cmp_eq_u32_e32 vcc_lo, 0, v106
	v_min_u32_e32 v104, 32, v104
	v_subrev_nc_u32_e32 v105, 28, v104
	v_sub_nc_u32_e32 v104, 29, v104
	v_lshlrev_b32_sdwa v105, v105, v8 dst_sel:DWORD dst_unused:UNUSED_PAD src0_sel:DWORD src1_sel:BYTE_3
	v_cndmask_b32_e32 v104, v106, v104, vcc_lo
	v_and_b32_e32 v105, 7, v105
	v_lshl_add_u32 v104, v104, 23, 0x3b800000
	v_cndmask_b32_e32 v95, v95, v105, vcc_lo
	v_and_b32_e32 v105, 0x80000000, v8
	v_lshlrev_b32_e32 v95, 20, v95
	v_or3_b32 v95, v105, v104, v95
.LBB4_1053:                             ;   in Loop: Header=BB4_356 Depth=4
	s_or_b32 exec_lo, exec_lo, s72
	v_max_f32_e32 v95, v95, v95
	v_max_f32_e32 v94, v94, v94
	s_mov_b32 s16, 0
	v_max_f32_e32 v94, v94, v95
.LBB4_1054:                             ;   in Loop: Header=BB4_356 Depth=4
	s_and_b32 vcc_lo, exec_lo, s16
	s_cbranch_vccz .LBB4_1068
; %bb.1055:                             ;   in Loop: Header=BB4_356 Depth=4
	v_cmp_gt_i16_sdwa s72, v12, v117 src0_sel:BYTE_3 src1_sel:DWORD
	s_mov_b32 s16, 0
	s_and_saveexec_b32 s73, s72
	s_xor_b32 s72, exec_lo, s73
	s_cbranch_execz .LBB4_1662
; %bb.1056:                             ;   in Loop: Header=BB4_356 Depth=4
	v_cmp_eq_u16_sdwa s74, v12, v118 src0_sel:BYTE_3 src1_sel:DWORD
	s_mov_b32 s16, -1
	s_and_saveexec_b32 s73, s74
; %bb.1057:                             ;   in Loop: Header=BB4_356 Depth=4
	s_xor_b32 s16, exec_lo, -1
; %bb.1058:                             ;   in Loop: Header=BB4_356 Depth=4
	s_or_b32 exec_lo, exec_lo, s73
	s_and_b32 s16, s16, exec_lo
	s_or_saveexec_b32 s72, s72
	v_mov_b32_e32 v94, 0x7f800001
	s_xor_b32 exec_lo, exec_lo, s72
	s_cbranch_execnz .LBB4_1663
.LBB4_1059:                             ;   in Loop: Header=BB4_356 Depth=4
	s_or_b32 exec_lo, exec_lo, s72
	s_and_saveexec_b32 s72, s16
	s_cbranch_execz .LBB4_1061
.LBB4_1060:                             ;   in Loop: Header=BB4_356 Depth=4
	v_bfe_u32 v94, v12, 24, 3
	v_bfe_u32 v105, v12, 27, 4
	v_ffbh_u32_e32 v95, v94
	v_cmp_eq_u32_e32 vcc_lo, 0, v105
	v_min_u32_e32 v95, 32, v95
	v_subrev_nc_u32_e32 v104, 28, v95
	v_sub_nc_u32_e32 v95, 29, v95
	v_lshlrev_b32_sdwa v104, v104, v12 dst_sel:DWORD dst_unused:UNUSED_PAD src0_sel:DWORD src1_sel:BYTE_3
	v_cndmask_b32_e32 v95, v105, v95, vcc_lo
	v_and_b32_e32 v12, 0x80000000, v12
	v_and_b32_e32 v104, 7, v104
	v_lshl_add_u32 v95, v95, 23, 0x3b800000
	v_cndmask_b32_e32 v94, v94, v104, vcc_lo
	v_lshlrev_b32_e32 v94, 20, v94
	v_or3_b32 v94, v12, v95, v94
.LBB4_1061:                             ;   in Loop: Header=BB4_356 Depth=4
	s_or_b32 exec_lo, exec_lo, s72
	s_waitcnt vmcnt(0)
	v_cmp_gt_i16_sdwa s72, v8, v117 src0_sel:BYTE_3 src1_sel:DWORD
	s_mov_b32 s16, 0
	s_and_saveexec_b32 s73, s72
	s_xor_b32 s72, exec_lo, s73
	s_cbranch_execz .LBB4_1664
; %bb.1062:                             ;   in Loop: Header=BB4_356 Depth=4
	v_cmp_eq_u16_sdwa s74, v8, v118 src0_sel:BYTE_3 src1_sel:DWORD
	s_mov_b32 s16, -1
	s_and_saveexec_b32 s73, s74
; %bb.1063:                             ;   in Loop: Header=BB4_356 Depth=4
	s_xor_b32 s16, exec_lo, -1
; %bb.1064:                             ;   in Loop: Header=BB4_356 Depth=4
	s_or_b32 exec_lo, exec_lo, s73
	s_and_b32 s16, s16, exec_lo
	s_or_saveexec_b32 s72, s72
	v_mov_b32_e32 v12, 0x7f800001
	s_xor_b32 exec_lo, exec_lo, s72
	s_cbranch_execnz .LBB4_1665
.LBB4_1065:                             ;   in Loop: Header=BB4_356 Depth=4
	s_or_b32 exec_lo, exec_lo, s72
	s_and_saveexec_b32 s72, s16
	s_cbranch_execz .LBB4_1067
.LBB4_1066:                             ;   in Loop: Header=BB4_356 Depth=4
	v_bfe_u32 v12, v8, 24, 3
	v_bfe_u32 v105, v8, 27, 4
	v_ffbh_u32_e32 v95, v12
	v_cmp_eq_u32_e32 vcc_lo, 0, v105
	v_min_u32_e32 v95, 32, v95
	v_subrev_nc_u32_e32 v104, 28, v95
	v_sub_nc_u32_e32 v95, 29, v95
	v_lshlrev_b32_sdwa v104, v104, v8 dst_sel:DWORD dst_unused:UNUSED_PAD src0_sel:DWORD src1_sel:BYTE_3
	v_cndmask_b32_e32 v95, v105, v95, vcc_lo
	v_and_b32_e32 v8, 0x80000000, v8
	v_and_b32_e32 v104, 7, v104
	v_lshl_add_u32 v95, v95, 23, 0x3b800000
	v_cndmask_b32_e32 v12, v12, v104, vcc_lo
	v_lshlrev_b32_e32 v12, 20, v12
	v_or3_b32 v12, v8, v95, v12
.LBB4_1067:                             ;   in Loop: Header=BB4_356 Depth=4
	s_or_b32 exec_lo, exec_lo, s72
	v_max_f32_e32 v8, v12, v12
	v_max_f32_e32 v12, v94, v94
	v_min_f32_e32 v94, v12, v8
.LBB4_1068:                             ;   in Loop: Header=BB4_356 Depth=4
	s_waitcnt vmcnt(0)
	v_and_b32_e32 v8, 0x7f800000, v94
	v_cmp_ne_u32_e32 vcc_lo, 0x7f800000, v8
	v_mov_b32_e32 v8, 0x8000
	s_and_saveexec_b32 s72, vcc_lo
	s_cbranch_execz .LBB4_1076
; %bb.1069:                             ;   in Loop: Header=BB4_356 Depth=4
	v_mov_b32_e32 v8, 0
	s_mov_b32 s73, exec_lo
	v_cmpx_ne_u32_e32 0, v94
	s_cbranch_execz .LBB4_1075
; %bb.1070:                             ;   in Loop: Header=BB4_356 Depth=4
	v_bfe_u32 v8, v94, 23, 8
	v_and_b32_e32 v12, 0x7fffff, v94
	v_sub_nc_u32_e32 v95, 0x78, v8
	v_cmp_gt_u32_e32 vcc_lo, 0x79, v8
	v_or_b32_e32 v104, 0x800000, v12
	v_cndmask_b32_e32 v95, 0, v95, vcc_lo
	v_cmp_eq_u32_e32 vcc_lo, 0, v8
	v_add_nc_u32_e32 v8, 0xffffff89, v8
	v_cndmask_b32_e64 v95, v95, 0x77, vcc_lo
	v_cndmask_b32_e32 v12, v104, v12, vcc_lo
	v_cndmask_b32_e64 v8, v8, 0xffffff8a, vcc_lo
	v_lshl_add_u32 v104, 0x100000, v95, -1
	v_lshrrev_b32_e32 v105, v95, v12
	v_lshlrev_b32_e64 v107, v95, 0x80000
	v_add_nc_u32_e32 v95, v95, v8
	v_and_b32_e32 v12, v104, v12
	v_bfe_u32 v106, v105, 20, 1
	v_cmp_eq_u32_e64 s16, v12, v107
	v_add_nc_u32_e32 v104, -1, v106
	v_cndmask_b32_e64 v12, 0, v104, s16
	v_lshrrev_b32_e32 v104, 23, v105
	s_mov_b32 s16, exec_lo
	v_add_nc_u32_e32 v12, v12, v105
	v_xor_b32_e32 v104, 1, v104
	v_and_b32_e32 v8, 0xfffff, v12
	v_add_nc_u32_e32 v12, v8, v105
                                        ; implicit-def: $vgpr8
	v_cmpx_ne_u32_e64 v95, v104
	s_xor_b32 s16, exec_lo, s16
; %bb.1071:                             ;   in Loop: Header=BB4_356 Depth=4
	v_cmp_lt_u32_e32 vcc_lo, 0xffffff, v12
	v_sub_nc_u32_e32 v8, v95, v104
	v_cndmask_b32_e64 v95, 0, 1, vcc_lo
	v_add_co_ci_u32_e64 v8, null, 0, v8, vcc_lo
	v_lshrrev_b32_e32 v12, v95, v12
; %bb.1072:                             ;   in Loop: Header=BB4_356 Depth=4
	s_andn2_saveexec_b32 s16, s16
; %bb.1073:                             ;   in Loop: Header=BB4_356 Depth=4
	v_bfe_u32 v8, v12, 23, 1
; %bb.1074:                             ;   in Loop: Header=BB4_356 Depth=4
	s_or_b32 exec_lo, exec_lo, s16
	v_lshrrev_b32_e32 v12, 20, v12
	v_min_i32_e32 v95, 15, v8
	v_cmp_gt_i32_e32 vcc_lo, 16, v8
	v_and_b32_sdwa v94, v94, v118 dst_sel:DWORD dst_unused:UNUSED_PAD src0_sel:BYTE_3 src1_sel:DWORD
	v_lshlrev_b32_e32 v95, 3, v95
	v_cndmask_b32_e32 v12, 7, v12, vcc_lo
	v_and_b32_e32 v95, 0xf8, v95
	v_and_b32_e32 v104, 7, v12
	v_or_b32_e32 v8, v8, v12
	v_or3_b32 v94, v94, v95, v104
	v_cmp_ne_u32_e32 vcc_lo, 0, v8
	v_lshlrev_b32_e32 v12, 8, v94
	v_cndmask_b32_e32 v8, 0, v12, vcc_lo
.LBB4_1075:                             ;   in Loop: Header=BB4_356 Depth=4
	s_or_b32 exec_lo, exec_lo, s73
.LBB4_1076:                             ;   in Loop: Header=BB4_356 Depth=4
	s_or_b32 exec_lo, exec_lo, s72
	v_cmp_gt_i16_sdwa s72, v13, v117 src0_sel:BYTE_0 src1_sel:DWORD
	s_andn2_b32 vcc_lo, exec_lo, s63
	s_mov_b32 s16, -1
                                        ; implicit-def: $vgpr94
	s_cbranch_vccnz .LBB4_1090
; %bb.1077:                             ;   in Loop: Header=BB4_356 Depth=4
	s_mov_b32 s16, 0
	s_and_saveexec_b32 s73, s72
	s_xor_b32 s72, exec_lo, s73
	s_cbranch_execz .LBB4_1666
; %bb.1078:                             ;   in Loop: Header=BB4_356 Depth=4
	v_cmp_eq_u16_sdwa s74, v13, v118 src0_sel:BYTE_0 src1_sel:DWORD
	s_mov_b32 s16, -1
	s_and_saveexec_b32 s73, s74
; %bb.1079:                             ;   in Loop: Header=BB4_356 Depth=4
	s_xor_b32 s16, exec_lo, -1
; %bb.1080:                             ;   in Loop: Header=BB4_356 Depth=4
	s_or_b32 exec_lo, exec_lo, s73
	s_and_b32 s16, s16, exec_lo
	s_or_saveexec_b32 s72, s72
	v_mov_b32_e32 v12, 0x7f800001
	s_xor_b32 exec_lo, exec_lo, s72
	s_cbranch_execnz .LBB4_1667
.LBB4_1081:                             ;   in Loop: Header=BB4_356 Depth=4
	s_or_b32 exec_lo, exec_lo, s72
	s_and_saveexec_b32 s72, s16
	s_cbranch_execz .LBB4_1083
.LBB4_1082:                             ;   in Loop: Header=BB4_356 Depth=4
	v_and_b32_e32 v12, 7, v13
	v_bfe_u32 v104, v13, 3, 4
	v_lshlrev_b32_e32 v105, 24, v13
	v_ffbh_u32_e32 v94, v12
	v_cmp_eq_u32_e32 vcc_lo, 0, v104
	v_min_u32_e32 v94, 32, v94
	v_subrev_nc_u32_e32 v95, 28, v94
	v_sub_nc_u32_e32 v94, 29, v94
	v_lshlrev_b32_e32 v95, v95, v13
	v_cndmask_b32_e32 v94, v104, v94, vcc_lo
	v_and_b32_e32 v95, 7, v95
	v_lshl_add_u32 v94, v94, 23, 0x3b800000
	v_cndmask_b32_e32 v12, v12, v95, vcc_lo
	v_and_b32_e32 v95, 0x80000000, v105
	v_lshlrev_b32_e32 v12, 20, v12
	v_or3_b32 v12, v95, v94, v12
.LBB4_1083:                             ;   in Loop: Header=BB4_356 Depth=4
	s_or_b32 exec_lo, exec_lo, s72
	v_cmp_gt_i16_sdwa s72, v9, v117 src0_sel:BYTE_0 src1_sel:DWORD
	s_mov_b32 s16, 0
	s_and_saveexec_b32 s73, s72
	s_xor_b32 s72, exec_lo, s73
	s_cbranch_execz .LBB4_1668
; %bb.1084:                             ;   in Loop: Header=BB4_356 Depth=4
	v_cmp_eq_u16_sdwa s74, v9, v118 src0_sel:BYTE_0 src1_sel:DWORD
	s_mov_b32 s16, -1
	s_and_saveexec_b32 s73, s74
; %bb.1085:                             ;   in Loop: Header=BB4_356 Depth=4
	s_xor_b32 s16, exec_lo, -1
; %bb.1086:                             ;   in Loop: Header=BB4_356 Depth=4
	s_or_b32 exec_lo, exec_lo, s73
	s_and_b32 s16, s16, exec_lo
	s_or_saveexec_b32 s72, s72
	v_mov_b32_e32 v94, 0x7f800001
	s_xor_b32 exec_lo, exec_lo, s72
	s_cbranch_execnz .LBB4_1669
.LBB4_1087:                             ;   in Loop: Header=BB4_356 Depth=4
	s_or_b32 exec_lo, exec_lo, s72
	s_and_saveexec_b32 s72, s16
	s_cbranch_execz .LBB4_1089
.LBB4_1088:                             ;   in Loop: Header=BB4_356 Depth=4
	v_and_b32_e32 v94, 7, v9
	v_bfe_u32 v105, v9, 3, 4
	v_lshlrev_b32_e32 v106, 24, v9
	v_ffbh_u32_e32 v95, v94
	v_cmp_eq_u32_e32 vcc_lo, 0, v105
	v_min_u32_e32 v95, 32, v95
	v_subrev_nc_u32_e32 v104, 28, v95
	v_sub_nc_u32_e32 v95, 29, v95
	v_lshlrev_b32_e32 v104, v104, v9
	v_cndmask_b32_e32 v95, v105, v95, vcc_lo
	v_and_b32_e32 v104, 7, v104
	v_lshl_add_u32 v95, v95, 23, 0x3b800000
	v_cndmask_b32_e32 v94, v94, v104, vcc_lo
	v_and_b32_e32 v104, 0x80000000, v106
	v_lshlrev_b32_e32 v94, 20, v94
	v_or3_b32 v94, v104, v95, v94
.LBB4_1089:                             ;   in Loop: Header=BB4_356 Depth=4
	s_or_b32 exec_lo, exec_lo, s72
	v_max_f32_e32 v94, v94, v94
	v_max_f32_e32 v12, v12, v12
	s_mov_b32 s16, 0
	v_max_f32_e32 v94, v12, v94
.LBB4_1090:                             ;   in Loop: Header=BB4_356 Depth=4
	s_and_b32 vcc_lo, exec_lo, s16
	s_cbranch_vccz .LBB4_1104
; %bb.1091:                             ;   in Loop: Header=BB4_356 Depth=4
	v_cmp_gt_i16_sdwa s72, v13, v117 src0_sel:BYTE_0 src1_sel:DWORD
	s_mov_b32 s16, 0
	s_and_saveexec_b32 s73, s72
	s_xor_b32 s72, exec_lo, s73
	s_cbranch_execz .LBB4_1670
; %bb.1092:                             ;   in Loop: Header=BB4_356 Depth=4
	v_cmp_eq_u16_sdwa s74, v13, v118 src0_sel:BYTE_0 src1_sel:DWORD
	s_mov_b32 s16, -1
	s_and_saveexec_b32 s73, s74
; %bb.1093:                             ;   in Loop: Header=BB4_356 Depth=4
	s_xor_b32 s16, exec_lo, -1
; %bb.1094:                             ;   in Loop: Header=BB4_356 Depth=4
	s_or_b32 exec_lo, exec_lo, s73
	s_and_b32 s16, s16, exec_lo
	s_or_saveexec_b32 s72, s72
	v_mov_b32_e32 v12, 0x7f800001
	s_xor_b32 exec_lo, exec_lo, s72
	s_cbranch_execnz .LBB4_1671
.LBB4_1095:                             ;   in Loop: Header=BB4_356 Depth=4
	s_or_b32 exec_lo, exec_lo, s72
	s_and_saveexec_b32 s72, s16
	s_cbranch_execz .LBB4_1097
.LBB4_1096:                             ;   in Loop: Header=BB4_356 Depth=4
	v_and_b32_e32 v12, 7, v13
	v_bfe_u32 v104, v13, 3, 4
	v_lshlrev_b32_e32 v105, 24, v13
	v_ffbh_u32_e32 v94, v12
	v_cmp_eq_u32_e32 vcc_lo, 0, v104
	v_min_u32_e32 v94, 32, v94
	v_subrev_nc_u32_e32 v95, 28, v94
	v_sub_nc_u32_e32 v94, 29, v94
	v_lshlrev_b32_e32 v95, v95, v13
	v_cndmask_b32_e32 v94, v104, v94, vcc_lo
	v_and_b32_e32 v95, 7, v95
	v_lshl_add_u32 v94, v94, 23, 0x3b800000
	v_cndmask_b32_e32 v12, v12, v95, vcc_lo
	v_and_b32_e32 v95, 0x80000000, v105
	v_lshlrev_b32_e32 v12, 20, v12
	v_or3_b32 v12, v95, v94, v12
.LBB4_1097:                             ;   in Loop: Header=BB4_356 Depth=4
	s_or_b32 exec_lo, exec_lo, s72
	v_cmp_gt_i16_sdwa s72, v9, v117 src0_sel:BYTE_0 src1_sel:DWORD
	s_mov_b32 s16, 0
	s_and_saveexec_b32 s73, s72
	s_xor_b32 s72, exec_lo, s73
	s_cbranch_execz .LBB4_1672
; %bb.1098:                             ;   in Loop: Header=BB4_356 Depth=4
	v_cmp_eq_u16_sdwa s74, v9, v118 src0_sel:BYTE_0 src1_sel:DWORD
	s_mov_b32 s16, -1
	s_and_saveexec_b32 s73, s74
; %bb.1099:                             ;   in Loop: Header=BB4_356 Depth=4
	s_xor_b32 s16, exec_lo, -1
; %bb.1100:                             ;   in Loop: Header=BB4_356 Depth=4
	s_or_b32 exec_lo, exec_lo, s73
	s_and_b32 s16, s16, exec_lo
	s_or_saveexec_b32 s72, s72
	v_mov_b32_e32 v94, 0x7f800001
	s_xor_b32 exec_lo, exec_lo, s72
	s_cbranch_execnz .LBB4_1673
.LBB4_1101:                             ;   in Loop: Header=BB4_356 Depth=4
	s_or_b32 exec_lo, exec_lo, s72
	s_and_saveexec_b32 s72, s16
	s_cbranch_execz .LBB4_1103
.LBB4_1102:                             ;   in Loop: Header=BB4_356 Depth=4
	v_and_b32_e32 v94, 7, v9
	v_bfe_u32 v105, v9, 3, 4
	v_lshlrev_b32_e32 v106, 24, v9
	v_ffbh_u32_e32 v95, v94
	v_cmp_eq_u32_e32 vcc_lo, 0, v105
	v_min_u32_e32 v95, 32, v95
	v_subrev_nc_u32_e32 v104, 28, v95
	v_sub_nc_u32_e32 v95, 29, v95
	v_lshlrev_b32_e32 v104, v104, v9
	v_cndmask_b32_e32 v95, v105, v95, vcc_lo
	v_and_b32_e32 v104, 7, v104
	v_lshl_add_u32 v95, v95, 23, 0x3b800000
	v_cndmask_b32_e32 v94, v94, v104, vcc_lo
	v_and_b32_e32 v104, 0x80000000, v106
	v_lshlrev_b32_e32 v94, 20, v94
	v_or3_b32 v94, v104, v95, v94
.LBB4_1103:                             ;   in Loop: Header=BB4_356 Depth=4
	s_or_b32 exec_lo, exec_lo, s72
	v_max_f32_e32 v94, v94, v94
	v_max_f32_e32 v12, v12, v12
	v_min_f32_e32 v94, v12, v94
.LBB4_1104:                             ;   in Loop: Header=BB4_356 Depth=4
	v_and_b32_e32 v12, 0x7f800000, v94
	v_cmp_ne_u32_e32 vcc_lo, 0x7f800000, v12
	v_mov_b32_e32 v12, 0x80
	s_and_saveexec_b32 s72, vcc_lo
	s_cbranch_execz .LBB4_1112
; %bb.1105:                             ;   in Loop: Header=BB4_356 Depth=4
	v_mov_b32_e32 v12, 0
	s_mov_b32 s73, exec_lo
	v_cmpx_ne_u32_e32 0, v94
	s_cbranch_execz .LBB4_1111
; %bb.1106:                             ;   in Loop: Header=BB4_356 Depth=4
	v_bfe_u32 v12, v94, 23, 8
	v_and_b32_e32 v95, 0x7fffff, v94
	v_sub_nc_u32_e32 v104, 0x78, v12
	v_cmp_gt_u32_e32 vcc_lo, 0x79, v12
	v_or_b32_e32 v105, 0x800000, v95
	v_cndmask_b32_e32 v104, 0, v104, vcc_lo
	v_cmp_eq_u32_e32 vcc_lo, 0, v12
	v_add_nc_u32_e32 v12, 0xffffff89, v12
	v_cndmask_b32_e64 v104, v104, 0x77, vcc_lo
	v_cndmask_b32_e32 v95, v105, v95, vcc_lo
	v_cndmask_b32_e64 v12, v12, 0xffffff8a, vcc_lo
	v_lshl_add_u32 v105, 0x100000, v104, -1
	v_lshrrev_b32_e32 v106, v104, v95
	v_lshlrev_b32_e64 v108, v104, 0x80000
	v_add_nc_u32_e32 v104, v104, v12
	v_and_b32_e32 v95, v105, v95
	v_bfe_u32 v107, v106, 20, 1
	v_cmp_eq_u32_e64 s16, v95, v108
	v_add_nc_u32_e32 v105, -1, v107
	v_cndmask_b32_e64 v95, 0, v105, s16
	v_lshrrev_b32_e32 v105, 23, v106
	s_mov_b32 s16, exec_lo
	v_add_nc_u32_e32 v95, v95, v106
	v_xor_b32_e32 v105, 1, v105
	v_and_b32_e32 v12, 0xfffff, v95
	v_add_nc_u32_e32 v95, v12, v106
                                        ; implicit-def: $vgpr12
	v_cmpx_ne_u32_e64 v104, v105
	s_xor_b32 s16, exec_lo, s16
; %bb.1107:                             ;   in Loop: Header=BB4_356 Depth=4
	v_cmp_lt_u32_e32 vcc_lo, 0xffffff, v95
	v_sub_nc_u32_e32 v12, v104, v105
	v_cndmask_b32_e64 v104, 0, 1, vcc_lo
	v_add_co_ci_u32_e64 v12, null, 0, v12, vcc_lo
	v_lshrrev_b32_e32 v95, v104, v95
; %bb.1108:                             ;   in Loop: Header=BB4_356 Depth=4
	s_andn2_saveexec_b32 s16, s16
; %bb.1109:                             ;   in Loop: Header=BB4_356 Depth=4
	v_bfe_u32 v12, v95, 23, 1
; %bb.1110:                             ;   in Loop: Header=BB4_356 Depth=4
	s_or_b32 exec_lo, exec_lo, s16
	v_lshrrev_b32_e32 v95, 20, v95
	v_min_i32_e32 v104, 15, v12
	v_cmp_gt_i32_e32 vcc_lo, 16, v12
	v_and_b32_sdwa v94, v94, v118 dst_sel:DWORD dst_unused:UNUSED_PAD src0_sel:BYTE_3 src1_sel:DWORD
	v_lshlrev_b32_e32 v104, 3, v104
	v_cndmask_b32_e32 v95, 7, v95, vcc_lo
	v_and_b32_e32 v104, 0xf8, v104
	v_and_b32_e32 v105, 7, v95
	v_or_b32_e32 v12, v12, v95
	v_or3_b32 v94, v104, v94, v105
	v_cmp_ne_u32_e32 vcc_lo, 0, v12
	v_cndmask_b32_e32 v12, 0, v94, vcc_lo
.LBB4_1111:                             ;   in Loop: Header=BB4_356 Depth=4
	s_or_b32 exec_lo, exec_lo, s73
.LBB4_1112:                             ;   in Loop: Header=BB4_356 Depth=4
	s_or_b32 exec_lo, exec_lo, s72
	v_cmp_gt_i16_sdwa s72, v13, v117 src0_sel:BYTE_1 src1_sel:DWORD
	s_andn2_b32 vcc_lo, exec_lo, s63
	s_mov_b32 s16, -1
                                        ; implicit-def: $vgpr95
	s_cbranch_vccnz .LBB4_1126
; %bb.1113:                             ;   in Loop: Header=BB4_356 Depth=4
	s_mov_b32 s16, 0
	s_and_saveexec_b32 s73, s72
	s_xor_b32 s72, exec_lo, s73
	s_cbranch_execz .LBB4_1674
; %bb.1114:                             ;   in Loop: Header=BB4_356 Depth=4
	v_cmp_eq_u16_sdwa s74, v13, v118 src0_sel:BYTE_1 src1_sel:DWORD
	s_mov_b32 s16, -1
	s_and_saveexec_b32 s73, s74
; %bb.1115:                             ;   in Loop: Header=BB4_356 Depth=4
	s_xor_b32 s16, exec_lo, -1
; %bb.1116:                             ;   in Loop: Header=BB4_356 Depth=4
	s_or_b32 exec_lo, exec_lo, s73
	s_and_b32 s16, s16, exec_lo
	s_or_saveexec_b32 s72, s72
	v_mov_b32_e32 v94, 0x7f800001
	s_xor_b32 exec_lo, exec_lo, s72
	s_cbranch_execnz .LBB4_1675
.LBB4_1117:                             ;   in Loop: Header=BB4_356 Depth=4
	s_or_b32 exec_lo, exec_lo, s72
	s_and_saveexec_b32 s72, s16
	s_cbranch_execz .LBB4_1119
.LBB4_1118:                             ;   in Loop: Header=BB4_356 Depth=4
	v_and_b32_sdwa v94, v119, v13 dst_sel:DWORD dst_unused:UNUSED_PAD src0_sel:DWORD src1_sel:BYTE_1
	v_and_b32_e32 v95, 7, v94
	v_bfe_u32 v106, v94, 3, 4
	v_ffbh_u32_e32 v104, v95
	v_cmp_eq_u32_e32 vcc_lo, 0, v106
	v_min_u32_e32 v104, 32, v104
	v_subrev_nc_u32_e32 v105, 28, v104
	v_sub_nc_u32_e32 v104, 29, v104
	v_lshlrev_b32_e32 v94, v105, v94
	v_lshlrev_b32_e32 v105, 16, v13
	v_cndmask_b32_e32 v104, v106, v104, vcc_lo
	v_and_b32_e32 v94, 7, v94
	v_lshl_add_u32 v104, v104, 23, 0x3b800000
	v_cndmask_b32_e32 v94, v95, v94, vcc_lo
	v_and_b32_e32 v95, 0x80000000, v105
	v_lshlrev_b32_e32 v94, 20, v94
	v_or3_b32 v94, v95, v104, v94
.LBB4_1119:                             ;   in Loop: Header=BB4_356 Depth=4
	s_or_b32 exec_lo, exec_lo, s72
	v_cmp_gt_i16_sdwa s72, v9, v117 src0_sel:BYTE_1 src1_sel:DWORD
	s_mov_b32 s16, 0
	s_and_saveexec_b32 s73, s72
	s_xor_b32 s72, exec_lo, s73
	s_cbranch_execz .LBB4_1676
; %bb.1120:                             ;   in Loop: Header=BB4_356 Depth=4
	v_cmp_eq_u16_sdwa s74, v9, v118 src0_sel:BYTE_1 src1_sel:DWORD
	s_mov_b32 s16, -1
	s_and_saveexec_b32 s73, s74
; %bb.1121:                             ;   in Loop: Header=BB4_356 Depth=4
	s_xor_b32 s16, exec_lo, -1
; %bb.1122:                             ;   in Loop: Header=BB4_356 Depth=4
	s_or_b32 exec_lo, exec_lo, s73
	s_and_b32 s16, s16, exec_lo
	s_or_saveexec_b32 s72, s72
	v_mov_b32_e32 v95, 0x7f800001
	s_xor_b32 exec_lo, exec_lo, s72
	s_cbranch_execnz .LBB4_1677
.LBB4_1123:                             ;   in Loop: Header=BB4_356 Depth=4
	s_or_b32 exec_lo, exec_lo, s72
	s_and_saveexec_b32 s72, s16
	s_cbranch_execz .LBB4_1125
.LBB4_1124:                             ;   in Loop: Header=BB4_356 Depth=4
	v_and_b32_sdwa v95, v119, v9 dst_sel:DWORD dst_unused:UNUSED_PAD src0_sel:DWORD src1_sel:BYTE_1
	v_and_b32_e32 v104, 7, v95
	v_bfe_u32 v107, v95, 3, 4
	v_ffbh_u32_e32 v105, v104
	v_cmp_eq_u32_e32 vcc_lo, 0, v107
	v_min_u32_e32 v105, 32, v105
	v_subrev_nc_u32_e32 v106, 28, v105
	v_sub_nc_u32_e32 v105, 29, v105
	v_lshlrev_b32_e32 v95, v106, v95
	v_lshlrev_b32_e32 v106, 16, v9
	v_cndmask_b32_e32 v105, v107, v105, vcc_lo
	v_and_b32_e32 v95, 7, v95
	v_lshl_add_u32 v105, v105, 23, 0x3b800000
	v_cndmask_b32_e32 v95, v104, v95, vcc_lo
	v_and_b32_e32 v104, 0x80000000, v106
	v_lshlrev_b32_e32 v95, 20, v95
	v_or3_b32 v95, v104, v105, v95
.LBB4_1125:                             ;   in Loop: Header=BB4_356 Depth=4
	s_or_b32 exec_lo, exec_lo, s72
	v_max_f32_e32 v95, v95, v95
	v_max_f32_e32 v94, v94, v94
	s_mov_b32 s16, 0
	v_max_f32_e32 v95, v94, v95
.LBB4_1126:                             ;   in Loop: Header=BB4_356 Depth=4
	s_and_b32 vcc_lo, exec_lo, s16
	s_cbranch_vccz .LBB4_1140
; %bb.1127:                             ;   in Loop: Header=BB4_356 Depth=4
	v_cmp_gt_i16_sdwa s72, v13, v117 src0_sel:BYTE_1 src1_sel:DWORD
	s_mov_b32 s16, 0
	s_and_saveexec_b32 s73, s72
	s_xor_b32 s72, exec_lo, s73
	s_cbranch_execz .LBB4_1678
; %bb.1128:                             ;   in Loop: Header=BB4_356 Depth=4
	v_cmp_eq_u16_sdwa s74, v13, v118 src0_sel:BYTE_1 src1_sel:DWORD
	s_mov_b32 s16, -1
	s_and_saveexec_b32 s73, s74
; %bb.1129:                             ;   in Loop: Header=BB4_356 Depth=4
	s_xor_b32 s16, exec_lo, -1
; %bb.1130:                             ;   in Loop: Header=BB4_356 Depth=4
	s_or_b32 exec_lo, exec_lo, s73
	s_and_b32 s16, s16, exec_lo
	s_or_saveexec_b32 s72, s72
	v_mov_b32_e32 v94, 0x7f800001
	s_xor_b32 exec_lo, exec_lo, s72
	s_cbranch_execnz .LBB4_1679
.LBB4_1131:                             ;   in Loop: Header=BB4_356 Depth=4
	s_or_b32 exec_lo, exec_lo, s72
	s_and_saveexec_b32 s72, s16
	s_cbranch_execz .LBB4_1133
.LBB4_1132:                             ;   in Loop: Header=BB4_356 Depth=4
	v_and_b32_sdwa v94, v119, v13 dst_sel:DWORD dst_unused:UNUSED_PAD src0_sel:DWORD src1_sel:BYTE_1
	v_and_b32_e32 v95, 7, v94
	v_bfe_u32 v106, v94, 3, 4
	v_ffbh_u32_e32 v104, v95
	v_cmp_eq_u32_e32 vcc_lo, 0, v106
	v_min_u32_e32 v104, 32, v104
	v_subrev_nc_u32_e32 v105, 28, v104
	v_sub_nc_u32_e32 v104, 29, v104
	v_lshlrev_b32_e32 v94, v105, v94
	v_lshlrev_b32_e32 v105, 16, v13
	v_cndmask_b32_e32 v104, v106, v104, vcc_lo
	v_and_b32_e32 v94, 7, v94
	v_lshl_add_u32 v104, v104, 23, 0x3b800000
	v_cndmask_b32_e32 v94, v95, v94, vcc_lo
	v_and_b32_e32 v95, 0x80000000, v105
	v_lshlrev_b32_e32 v94, 20, v94
	v_or3_b32 v94, v95, v104, v94
.LBB4_1133:                             ;   in Loop: Header=BB4_356 Depth=4
	s_or_b32 exec_lo, exec_lo, s72
	v_cmp_gt_i16_sdwa s72, v9, v117 src0_sel:BYTE_1 src1_sel:DWORD
	s_mov_b32 s16, 0
	s_and_saveexec_b32 s73, s72
	s_xor_b32 s72, exec_lo, s73
	s_cbranch_execz .LBB4_1680
; %bb.1134:                             ;   in Loop: Header=BB4_356 Depth=4
	v_cmp_eq_u16_sdwa s74, v9, v118 src0_sel:BYTE_1 src1_sel:DWORD
	s_mov_b32 s16, -1
	s_and_saveexec_b32 s73, s74
; %bb.1135:                             ;   in Loop: Header=BB4_356 Depth=4
	s_xor_b32 s16, exec_lo, -1
; %bb.1136:                             ;   in Loop: Header=BB4_356 Depth=4
	s_or_b32 exec_lo, exec_lo, s73
	s_and_b32 s16, s16, exec_lo
	s_or_saveexec_b32 s72, s72
	v_mov_b32_e32 v95, 0x7f800001
	s_xor_b32 exec_lo, exec_lo, s72
	s_cbranch_execnz .LBB4_1681
.LBB4_1137:                             ;   in Loop: Header=BB4_356 Depth=4
	s_or_b32 exec_lo, exec_lo, s72
	s_and_saveexec_b32 s72, s16
	s_cbranch_execz .LBB4_1139
.LBB4_1138:                             ;   in Loop: Header=BB4_356 Depth=4
	v_and_b32_sdwa v95, v119, v9 dst_sel:DWORD dst_unused:UNUSED_PAD src0_sel:DWORD src1_sel:BYTE_1
	v_and_b32_e32 v104, 7, v95
	v_bfe_u32 v107, v95, 3, 4
	v_ffbh_u32_e32 v105, v104
	v_cmp_eq_u32_e32 vcc_lo, 0, v107
	v_min_u32_e32 v105, 32, v105
	v_subrev_nc_u32_e32 v106, 28, v105
	v_sub_nc_u32_e32 v105, 29, v105
	v_lshlrev_b32_e32 v95, v106, v95
	v_lshlrev_b32_e32 v106, 16, v9
	v_cndmask_b32_e32 v105, v107, v105, vcc_lo
	v_and_b32_e32 v95, 7, v95
	v_lshl_add_u32 v105, v105, 23, 0x3b800000
	v_cndmask_b32_e32 v95, v104, v95, vcc_lo
	v_and_b32_e32 v104, 0x80000000, v106
	v_lshlrev_b32_e32 v95, 20, v95
	v_or3_b32 v95, v104, v105, v95
.LBB4_1139:                             ;   in Loop: Header=BB4_356 Depth=4
	s_or_b32 exec_lo, exec_lo, s72
	v_max_f32_e32 v95, v95, v95
	v_max_f32_e32 v94, v94, v94
	v_min_f32_e32 v95, v94, v95
.LBB4_1140:                             ;   in Loop: Header=BB4_356 Depth=4
	v_and_b32_e32 v94, 0x7f800000, v95
	v_cmp_ne_u32_e32 vcc_lo, 0x7f800000, v94
	v_mov_b32_e32 v94, 0x8000
	s_and_saveexec_b32 s72, vcc_lo
	s_cbranch_execz .LBB4_1148
; %bb.1141:                             ;   in Loop: Header=BB4_356 Depth=4
	v_mov_b32_e32 v94, 0
	s_mov_b32 s73, exec_lo
	v_cmpx_ne_u32_e32 0, v95
	s_cbranch_execz .LBB4_1147
; %bb.1142:                             ;   in Loop: Header=BB4_356 Depth=4
	v_bfe_u32 v94, v95, 23, 8
	v_and_b32_e32 v104, 0x7fffff, v95
	v_sub_nc_u32_e32 v105, 0x78, v94
	v_cmp_gt_u32_e32 vcc_lo, 0x79, v94
	v_or_b32_e32 v106, 0x800000, v104
	v_cndmask_b32_e32 v105, 0, v105, vcc_lo
	v_cmp_eq_u32_e32 vcc_lo, 0, v94
	v_add_nc_u32_e32 v94, 0xffffff89, v94
	v_cndmask_b32_e64 v105, v105, 0x77, vcc_lo
	v_cndmask_b32_e32 v104, v106, v104, vcc_lo
	v_cndmask_b32_e64 v94, v94, 0xffffff8a, vcc_lo
	v_lshl_add_u32 v106, 0x100000, v105, -1
	v_lshrrev_b32_e32 v107, v105, v104
	v_lshlrev_b32_e64 v109, v105, 0x80000
	v_add_nc_u32_e32 v105, v105, v94
	v_and_b32_e32 v104, v106, v104
	v_bfe_u32 v108, v107, 20, 1
	v_cmp_eq_u32_e64 s16, v104, v109
	v_add_nc_u32_e32 v106, -1, v108
	v_cndmask_b32_e64 v104, 0, v106, s16
	v_lshrrev_b32_e32 v106, 23, v107
	s_mov_b32 s16, exec_lo
	v_add_nc_u32_e32 v104, v104, v107
	v_xor_b32_e32 v106, 1, v106
	v_and_b32_e32 v94, 0xfffff, v104
	v_add_nc_u32_e32 v104, v94, v107
                                        ; implicit-def: $vgpr94
	v_cmpx_ne_u32_e64 v105, v106
	s_xor_b32 s16, exec_lo, s16
; %bb.1143:                             ;   in Loop: Header=BB4_356 Depth=4
	v_cmp_lt_u32_e32 vcc_lo, 0xffffff, v104
	v_sub_nc_u32_e32 v94, v105, v106
	v_cndmask_b32_e64 v105, 0, 1, vcc_lo
	v_add_co_ci_u32_e64 v94, null, 0, v94, vcc_lo
	v_lshrrev_b32_e32 v104, v105, v104
; %bb.1144:                             ;   in Loop: Header=BB4_356 Depth=4
	s_andn2_saveexec_b32 s16, s16
; %bb.1145:                             ;   in Loop: Header=BB4_356 Depth=4
	v_bfe_u32 v94, v104, 23, 1
; %bb.1146:                             ;   in Loop: Header=BB4_356 Depth=4
	s_or_b32 exec_lo, exec_lo, s16
	v_lshrrev_b32_e32 v104, 20, v104
	v_min_i32_e32 v105, 15, v94
	v_cmp_gt_i32_e32 vcc_lo, 16, v94
	v_and_b32_sdwa v95, v95, v118 dst_sel:DWORD dst_unused:UNUSED_PAD src0_sel:BYTE_3 src1_sel:DWORD
	v_lshlrev_b32_e32 v105, 3, v105
	v_cndmask_b32_e32 v104, 7, v104, vcc_lo
	v_and_b32_e32 v105, 0xf8, v105
	v_and_b32_e32 v106, 7, v104
	v_or_b32_e32 v94, v94, v104
	v_or3_b32 v95, v95, v105, v106
	v_cmp_ne_u32_e32 vcc_lo, 0, v94
	v_lshlrev_b32_e32 v95, 8, v95
	v_cndmask_b32_e32 v94, 0, v95, vcc_lo
.LBB4_1147:                             ;   in Loop: Header=BB4_356 Depth=4
	s_or_b32 exec_lo, exec_lo, s73
.LBB4_1148:                             ;   in Loop: Header=BB4_356 Depth=4
	s_or_b32 exec_lo, exec_lo, s72
	v_and_b32_sdwa v95, v13, v40 dst_sel:DWORD dst_unused:UNUSED_PAD src0_sel:WORD_1 src1_sel:DWORD
	s_andn2_b32 vcc_lo, exec_lo, s63
	s_mov_b32 s72, -1
                                        ; implicit-def: $vgpr104
	v_cmp_lt_i16_e64 s16, 0x7f, v95
	s_cbranch_vccnz .LBB4_1162
; %bb.1149:                             ;   in Loop: Header=BB4_356 Depth=4
	s_mov_b32 s72, 0
	s_and_saveexec_b32 s73, s16
	s_xor_b32 s16, exec_lo, s73
	s_cbranch_execz .LBB4_1682
; %bb.1150:                             ;   in Loop: Header=BB4_356 Depth=4
	s_mov_b32 s72, -1
	s_mov_b32 s73, exec_lo
	v_cmpx_eq_u16_e32 0x80, v95
; %bb.1151:                             ;   in Loop: Header=BB4_356 Depth=4
	s_xor_b32 s72, exec_lo, -1
; %bb.1152:                             ;   in Loop: Header=BB4_356 Depth=4
	s_or_b32 exec_lo, exec_lo, s73
	s_and_b32 s72, s72, exec_lo
	s_or_saveexec_b32 s16, s16
	v_mov_b32_e32 v104, 0x7f800001
	s_xor_b32 exec_lo, exec_lo, s16
	s_cbranch_execnz .LBB4_1683
.LBB4_1153:                             ;   in Loop: Header=BB4_356 Depth=4
	s_or_b32 exec_lo, exec_lo, s16
	s_and_saveexec_b32 s16, s72
	s_cbranch_execz .LBB4_1155
.LBB4_1154:                             ;   in Loop: Header=BB4_356 Depth=4
	v_bfe_u32 v104, v13, 16, 3
	v_bfe_u32 v107, v13, 19, 4
	v_lshlrev_b32_sdwa v108, v41, v13 dst_sel:DWORD dst_unused:UNUSED_PAD src0_sel:DWORD src1_sel:WORD_1
	v_ffbh_u32_e32 v105, v104
	v_cmp_eq_u32_e32 vcc_lo, 0, v107
	v_min_u32_e32 v105, 32, v105
	v_subrev_nc_u32_e32 v106, 28, v105
	v_sub_nc_u32_e32 v105, 29, v105
	v_lshlrev_b32_sdwa v106, v106, v13 dst_sel:DWORD dst_unused:UNUSED_PAD src0_sel:DWORD src1_sel:WORD_1
	v_cndmask_b32_e32 v105, v107, v105, vcc_lo
	v_and_b32_e32 v106, 7, v106
	v_lshl_add_u32 v105, v105, 23, 0x3b800000
	v_cndmask_b32_e32 v104, v104, v106, vcc_lo
	v_and_b32_e32 v106, 0x80000000, v108
	v_lshlrev_b32_e32 v104, 20, v104
	v_or3_b32 v104, v106, v105, v104
.LBB4_1155:                             ;   in Loop: Header=BB4_356 Depth=4
	s_or_b32 exec_lo, exec_lo, s16
	v_and_b32_sdwa v106, v9, v40 dst_sel:DWORD dst_unused:UNUSED_PAD src0_sel:WORD_1 src1_sel:DWORD
	s_mov_b32 s16, 0
	s_mov_b32 s72, exec_lo
	v_cmpx_lt_i16_e32 0x7f, v106
	s_xor_b32 s72, exec_lo, s72
	s_cbranch_execz .LBB4_1684
; %bb.1156:                             ;   in Loop: Header=BB4_356 Depth=4
	s_mov_b32 s16, -1
	s_mov_b32 s73, exec_lo
	v_cmpx_eq_u16_e32 0x80, v106
; %bb.1157:                             ;   in Loop: Header=BB4_356 Depth=4
	s_xor_b32 s16, exec_lo, -1
; %bb.1158:                             ;   in Loop: Header=BB4_356 Depth=4
	s_or_b32 exec_lo, exec_lo, s73
	s_and_b32 s16, s16, exec_lo
                                        ; implicit-def: $vgpr106
	s_or_saveexec_b32 s72, s72
	v_mov_b32_e32 v105, 0x7f800001
	s_xor_b32 exec_lo, exec_lo, s72
	s_cbranch_execnz .LBB4_1685
.LBB4_1159:                             ;   in Loop: Header=BB4_356 Depth=4
	s_or_b32 exec_lo, exec_lo, s72
	s_and_saveexec_b32 s72, s16
	s_cbranch_execz .LBB4_1161
.LBB4_1160:                             ;   in Loop: Header=BB4_356 Depth=4
	v_bfe_u32 v105, v9, 16, 3
	v_bfe_u32 v108, v9, 19, 4
	v_lshlrev_b32_sdwa v109, v41, v9 dst_sel:DWORD dst_unused:UNUSED_PAD src0_sel:DWORD src1_sel:WORD_1
	v_ffbh_u32_e32 v106, v105
	v_cmp_eq_u32_e32 vcc_lo, 0, v108
	v_min_u32_e32 v106, 32, v106
	v_subrev_nc_u32_e32 v107, 28, v106
	v_sub_nc_u32_e32 v106, 29, v106
	v_lshlrev_b32_sdwa v107, v107, v9 dst_sel:DWORD dst_unused:UNUSED_PAD src0_sel:DWORD src1_sel:WORD_1
	v_cndmask_b32_e32 v106, v108, v106, vcc_lo
	v_and_b32_e32 v107, 7, v107
	v_lshl_add_u32 v106, v106, 23, 0x3b800000
	v_cndmask_b32_e32 v105, v105, v107, vcc_lo
	v_and_b32_e32 v107, 0x80000000, v109
	v_lshlrev_b32_e32 v105, 20, v105
	v_or3_b32 v105, v107, v106, v105
.LBB4_1161:                             ;   in Loop: Header=BB4_356 Depth=4
	s_or_b32 exec_lo, exec_lo, s72
	v_max_f32_e32 v105, v105, v105
	v_max_f32_e32 v104, v104, v104
	s_mov_b32 s72, 0
	v_max_f32_e32 v104, v104, v105
.LBB4_1162:                             ;   in Loop: Header=BB4_356 Depth=4
	s_and_b32 vcc_lo, exec_lo, s72
	s_cbranch_vccz .LBB4_1176
; %bb.1163:                             ;   in Loop: Header=BB4_356 Depth=4
	s_mov_b32 s16, 0
	s_mov_b32 s72, exec_lo
	v_cmpx_lt_i16_e32 0x7f, v95
	s_xor_b32 s72, exec_lo, s72
	s_cbranch_execz .LBB4_1686
; %bb.1164:                             ;   in Loop: Header=BB4_356 Depth=4
	s_mov_b32 s16, -1
	s_mov_b32 s73, exec_lo
	v_cmpx_eq_u16_e32 0x80, v95
; %bb.1165:                             ;   in Loop: Header=BB4_356 Depth=4
	s_xor_b32 s16, exec_lo, -1
; %bb.1166:                             ;   in Loop: Header=BB4_356 Depth=4
	s_or_b32 exec_lo, exec_lo, s73
	s_and_b32 s16, s16, exec_lo
                                        ; implicit-def: $vgpr95
	s_or_saveexec_b32 s72, s72
	v_mov_b32_e32 v104, 0x7f800001
	s_xor_b32 exec_lo, exec_lo, s72
	s_cbranch_execnz .LBB4_1687
.LBB4_1167:                             ;   in Loop: Header=BB4_356 Depth=4
	s_or_b32 exec_lo, exec_lo, s72
	s_and_saveexec_b32 s72, s16
	s_cbranch_execz .LBB4_1169
.LBB4_1168:                             ;   in Loop: Header=BB4_356 Depth=4
	v_bfe_u32 v95, v13, 16, 3
	v_bfe_u32 v106, v13, 19, 4
	v_lshlrev_b32_sdwa v107, v41, v13 dst_sel:DWORD dst_unused:UNUSED_PAD src0_sel:DWORD src1_sel:WORD_1
	v_ffbh_u32_e32 v104, v95
	v_cmp_eq_u32_e32 vcc_lo, 0, v106
	v_min_u32_e32 v104, 32, v104
	v_subrev_nc_u32_e32 v105, 28, v104
	v_sub_nc_u32_e32 v104, 29, v104
	v_lshlrev_b32_sdwa v105, v105, v13 dst_sel:DWORD dst_unused:UNUSED_PAD src0_sel:DWORD src1_sel:WORD_1
	v_cndmask_b32_e32 v104, v106, v104, vcc_lo
	v_and_b32_e32 v105, 7, v105
	v_lshl_add_u32 v104, v104, 23, 0x3b800000
	v_cndmask_b32_e32 v95, v95, v105, vcc_lo
	v_and_b32_e32 v105, 0x80000000, v107
	v_lshlrev_b32_e32 v95, 20, v95
	v_or3_b32 v104, v105, v104, v95
.LBB4_1169:                             ;   in Loop: Header=BB4_356 Depth=4
	s_or_b32 exec_lo, exec_lo, s72
	v_and_b32_sdwa v105, v9, v40 dst_sel:DWORD dst_unused:UNUSED_PAD src0_sel:WORD_1 src1_sel:DWORD
	s_mov_b32 s16, 0
	s_mov_b32 s72, exec_lo
	v_cmpx_lt_i16_e32 0x7f, v105
	s_xor_b32 s72, exec_lo, s72
	s_cbranch_execz .LBB4_1688
; %bb.1170:                             ;   in Loop: Header=BB4_356 Depth=4
	s_mov_b32 s16, -1
	s_mov_b32 s73, exec_lo
	v_cmpx_eq_u16_e32 0x80, v105
; %bb.1171:                             ;   in Loop: Header=BB4_356 Depth=4
	s_xor_b32 s16, exec_lo, -1
; %bb.1172:                             ;   in Loop: Header=BB4_356 Depth=4
	s_or_b32 exec_lo, exec_lo, s73
	s_and_b32 s16, s16, exec_lo
                                        ; implicit-def: $vgpr105
	s_or_saveexec_b32 s72, s72
	v_mov_b32_e32 v95, 0x7f800001
	s_xor_b32 exec_lo, exec_lo, s72
	s_cbranch_execnz .LBB4_1689
.LBB4_1173:                             ;   in Loop: Header=BB4_356 Depth=4
	s_or_b32 exec_lo, exec_lo, s72
	s_and_saveexec_b32 s72, s16
	s_cbranch_execz .LBB4_1175
.LBB4_1174:                             ;   in Loop: Header=BB4_356 Depth=4
	v_bfe_u32 v95, v9, 16, 3
	v_bfe_u32 v107, v9, 19, 4
	v_lshlrev_b32_sdwa v108, v41, v9 dst_sel:DWORD dst_unused:UNUSED_PAD src0_sel:DWORD src1_sel:WORD_1
	v_ffbh_u32_e32 v105, v95
	v_cmp_eq_u32_e32 vcc_lo, 0, v107
	v_min_u32_e32 v105, 32, v105
	v_subrev_nc_u32_e32 v106, 28, v105
	v_sub_nc_u32_e32 v105, 29, v105
	v_lshlrev_b32_sdwa v106, v106, v9 dst_sel:DWORD dst_unused:UNUSED_PAD src0_sel:DWORD src1_sel:WORD_1
	v_cndmask_b32_e32 v105, v107, v105, vcc_lo
	v_and_b32_e32 v106, 7, v106
	v_lshl_add_u32 v105, v105, 23, 0x3b800000
	v_cndmask_b32_e32 v95, v95, v106, vcc_lo
	v_and_b32_e32 v106, 0x80000000, v108
	v_lshlrev_b32_e32 v95, 20, v95
	v_or3_b32 v95, v106, v105, v95
.LBB4_1175:                             ;   in Loop: Header=BB4_356 Depth=4
	s_or_b32 exec_lo, exec_lo, s72
	v_max_f32_e32 v95, v95, v95
	v_max_f32_e32 v104, v104, v104
	v_min_f32_e32 v104, v104, v95
.LBB4_1176:                             ;   in Loop: Header=BB4_356 Depth=4
	v_and_b32_e32 v95, 0x7f800000, v104
	v_cmp_ne_u32_e32 vcc_lo, 0x7f800000, v95
	v_mov_b32_e32 v95, 0x80
	s_and_saveexec_b32 s72, vcc_lo
	s_cbranch_execz .LBB4_1184
; %bb.1177:                             ;   in Loop: Header=BB4_356 Depth=4
	v_mov_b32_e32 v95, 0
	s_mov_b32 s73, exec_lo
	v_cmpx_ne_u32_e32 0, v104
	s_cbranch_execz .LBB4_1183
; %bb.1178:                             ;   in Loop: Header=BB4_356 Depth=4
	v_bfe_u32 v95, v104, 23, 8
	v_and_b32_e32 v105, 0x7fffff, v104
	v_sub_nc_u32_e32 v106, 0x78, v95
	v_cmp_gt_u32_e32 vcc_lo, 0x79, v95
	v_or_b32_e32 v107, 0x800000, v105
	v_cndmask_b32_e32 v106, 0, v106, vcc_lo
	v_cmp_eq_u32_e32 vcc_lo, 0, v95
	v_add_nc_u32_e32 v95, 0xffffff89, v95
	v_cndmask_b32_e64 v106, v106, 0x77, vcc_lo
	v_cndmask_b32_e32 v105, v107, v105, vcc_lo
	v_cndmask_b32_e64 v95, v95, 0xffffff8a, vcc_lo
	v_lshl_add_u32 v107, 0x100000, v106, -1
	v_lshrrev_b32_e32 v108, v106, v105
	v_lshlrev_b32_e64 v110, v106, 0x80000
	v_add_nc_u32_e32 v106, v106, v95
	v_and_b32_e32 v105, v107, v105
	v_bfe_u32 v109, v108, 20, 1
	v_cmp_eq_u32_e64 s16, v105, v110
	v_add_nc_u32_e32 v107, -1, v109
	v_cndmask_b32_e64 v105, 0, v107, s16
	v_lshrrev_b32_e32 v107, 23, v108
	s_mov_b32 s16, exec_lo
	v_add_nc_u32_e32 v105, v105, v108
	v_xor_b32_e32 v107, 1, v107
	v_and_b32_e32 v95, 0xfffff, v105
	v_add_nc_u32_e32 v105, v95, v108
                                        ; implicit-def: $vgpr95
	v_cmpx_ne_u32_e64 v106, v107
	s_xor_b32 s16, exec_lo, s16
; %bb.1179:                             ;   in Loop: Header=BB4_356 Depth=4
	v_cmp_lt_u32_e32 vcc_lo, 0xffffff, v105
	v_sub_nc_u32_e32 v95, v106, v107
	v_cndmask_b32_e64 v106, 0, 1, vcc_lo
	v_add_co_ci_u32_e64 v95, null, 0, v95, vcc_lo
	v_lshrrev_b32_e32 v105, v106, v105
; %bb.1180:                             ;   in Loop: Header=BB4_356 Depth=4
	s_andn2_saveexec_b32 s16, s16
; %bb.1181:                             ;   in Loop: Header=BB4_356 Depth=4
	v_bfe_u32 v95, v105, 23, 1
; %bb.1182:                             ;   in Loop: Header=BB4_356 Depth=4
	s_or_b32 exec_lo, exec_lo, s16
	v_lshrrev_b32_e32 v105, 20, v105
	v_min_i32_e32 v106, 15, v95
	v_cmp_gt_i32_e32 vcc_lo, 16, v95
	v_and_b32_sdwa v104, v104, v118 dst_sel:DWORD dst_unused:UNUSED_PAD src0_sel:BYTE_3 src1_sel:DWORD
	v_lshlrev_b32_e32 v106, 3, v106
	v_cndmask_b32_e32 v105, 7, v105, vcc_lo
	v_and_b32_e32 v106, 0xf8, v106
	v_and_b32_e32 v107, 7, v105
	v_or_b32_e32 v95, v95, v105
	v_or3_b32 v104, v106, v104, v107
	v_cmp_ne_u32_e32 vcc_lo, 0, v95
	v_cndmask_b32_e32 v95, 0, v104, vcc_lo
.LBB4_1183:                             ;   in Loop: Header=BB4_356 Depth=4
	s_or_b32 exec_lo, exec_lo, s73
.LBB4_1184:                             ;   in Loop: Header=BB4_356 Depth=4
	s_or_b32 exec_lo, exec_lo, s72
	v_cmp_gt_i16_sdwa s72, v13, v117 src0_sel:BYTE_3 src1_sel:DWORD
	s_andn2_b32 vcc_lo, exec_lo, s63
	s_mov_b32 s16, -1
                                        ; implicit-def: $vgpr104
	s_cbranch_vccnz .LBB4_1198
; %bb.1185:                             ;   in Loop: Header=BB4_356 Depth=4
	s_mov_b32 s16, 0
	s_and_saveexec_b32 s73, s72
	s_xor_b32 s72, exec_lo, s73
	s_cbranch_execz .LBB4_1690
; %bb.1186:                             ;   in Loop: Header=BB4_356 Depth=4
	v_cmp_eq_u16_sdwa s74, v13, v118 src0_sel:BYTE_3 src1_sel:DWORD
	s_mov_b32 s16, -1
	s_and_saveexec_b32 s73, s74
; %bb.1187:                             ;   in Loop: Header=BB4_356 Depth=4
	s_xor_b32 s16, exec_lo, -1
; %bb.1188:                             ;   in Loop: Header=BB4_356 Depth=4
	s_or_b32 exec_lo, exec_lo, s73
	s_and_b32 s16, s16, exec_lo
	s_or_saveexec_b32 s72, s72
	v_mov_b32_e32 v104, 0x7f800001
	s_xor_b32 exec_lo, exec_lo, s72
	s_cbranch_execnz .LBB4_1691
.LBB4_1189:                             ;   in Loop: Header=BB4_356 Depth=4
	s_or_b32 exec_lo, exec_lo, s72
	s_and_saveexec_b32 s72, s16
	s_cbranch_execz .LBB4_1191
.LBB4_1190:                             ;   in Loop: Header=BB4_356 Depth=4
	v_bfe_u32 v104, v13, 24, 3
	v_bfe_u32 v107, v13, 27, 4
	v_ffbh_u32_e32 v105, v104
	v_cmp_eq_u32_e32 vcc_lo, 0, v107
	v_min_u32_e32 v105, 32, v105
	v_subrev_nc_u32_e32 v106, 28, v105
	v_sub_nc_u32_e32 v105, 29, v105
	v_lshlrev_b32_sdwa v106, v106, v13 dst_sel:DWORD dst_unused:UNUSED_PAD src0_sel:DWORD src1_sel:BYTE_3
	v_cndmask_b32_e32 v105, v107, v105, vcc_lo
	v_and_b32_e32 v106, 7, v106
	v_lshl_add_u32 v105, v105, 23, 0x3b800000
	v_cndmask_b32_e32 v104, v104, v106, vcc_lo
	v_and_b32_e32 v106, 0x80000000, v13
	v_lshlrev_b32_e32 v104, 20, v104
	v_or3_b32 v104, v106, v105, v104
.LBB4_1191:                             ;   in Loop: Header=BB4_356 Depth=4
	s_or_b32 exec_lo, exec_lo, s72
	v_cmp_gt_i16_sdwa s72, v9, v117 src0_sel:BYTE_3 src1_sel:DWORD
	s_mov_b32 s16, 0
	s_and_saveexec_b32 s73, s72
	s_xor_b32 s72, exec_lo, s73
	s_cbranch_execz .LBB4_1692
; %bb.1192:                             ;   in Loop: Header=BB4_356 Depth=4
	v_cmp_eq_u16_sdwa s74, v9, v118 src0_sel:BYTE_3 src1_sel:DWORD
	s_mov_b32 s16, -1
	s_and_saveexec_b32 s73, s74
; %bb.1193:                             ;   in Loop: Header=BB4_356 Depth=4
	s_xor_b32 s16, exec_lo, -1
; %bb.1194:                             ;   in Loop: Header=BB4_356 Depth=4
	s_or_b32 exec_lo, exec_lo, s73
	s_and_b32 s16, s16, exec_lo
	s_or_saveexec_b32 s72, s72
	v_mov_b32_e32 v105, 0x7f800001
	s_xor_b32 exec_lo, exec_lo, s72
	s_cbranch_execnz .LBB4_1693
.LBB4_1195:                             ;   in Loop: Header=BB4_356 Depth=4
	s_or_b32 exec_lo, exec_lo, s72
	s_and_saveexec_b32 s72, s16
	s_cbranch_execz .LBB4_1197
.LBB4_1196:                             ;   in Loop: Header=BB4_356 Depth=4
	v_bfe_u32 v105, v9, 24, 3
	v_bfe_u32 v108, v9, 27, 4
	v_ffbh_u32_e32 v106, v105
	v_cmp_eq_u32_e32 vcc_lo, 0, v108
	v_min_u32_e32 v106, 32, v106
	v_subrev_nc_u32_e32 v107, 28, v106
	v_sub_nc_u32_e32 v106, 29, v106
	v_lshlrev_b32_sdwa v107, v107, v9 dst_sel:DWORD dst_unused:UNUSED_PAD src0_sel:DWORD src1_sel:BYTE_3
	v_cndmask_b32_e32 v106, v108, v106, vcc_lo
	v_and_b32_e32 v107, 7, v107
	v_lshl_add_u32 v106, v106, 23, 0x3b800000
	v_cndmask_b32_e32 v105, v105, v107, vcc_lo
	v_and_b32_e32 v107, 0x80000000, v9
	v_lshlrev_b32_e32 v105, 20, v105
	v_or3_b32 v105, v107, v106, v105
.LBB4_1197:                             ;   in Loop: Header=BB4_356 Depth=4
	s_or_b32 exec_lo, exec_lo, s72
	v_max_f32_e32 v105, v105, v105
	v_max_f32_e32 v104, v104, v104
	s_mov_b32 s16, 0
	v_max_f32_e32 v104, v104, v105
.LBB4_1198:                             ;   in Loop: Header=BB4_356 Depth=4
	s_and_b32 vcc_lo, exec_lo, s16
	s_cbranch_vccz .LBB4_1212
; %bb.1199:                             ;   in Loop: Header=BB4_356 Depth=4
	v_cmp_gt_i16_sdwa s72, v13, v117 src0_sel:BYTE_3 src1_sel:DWORD
	s_mov_b32 s16, 0
	s_and_saveexec_b32 s73, s72
	s_xor_b32 s72, exec_lo, s73
	s_cbranch_execz .LBB4_1694
; %bb.1200:                             ;   in Loop: Header=BB4_356 Depth=4
	v_cmp_eq_u16_sdwa s74, v13, v118 src0_sel:BYTE_3 src1_sel:DWORD
	s_mov_b32 s16, -1
	s_and_saveexec_b32 s73, s74
; %bb.1201:                             ;   in Loop: Header=BB4_356 Depth=4
	s_xor_b32 s16, exec_lo, -1
; %bb.1202:                             ;   in Loop: Header=BB4_356 Depth=4
	s_or_b32 exec_lo, exec_lo, s73
	s_and_b32 s16, s16, exec_lo
	s_or_saveexec_b32 s72, s72
	v_mov_b32_e32 v104, 0x7f800001
	s_xor_b32 exec_lo, exec_lo, s72
	s_cbranch_execnz .LBB4_1695
.LBB4_1203:                             ;   in Loop: Header=BB4_356 Depth=4
	s_or_b32 exec_lo, exec_lo, s72
	s_and_saveexec_b32 s72, s16
	s_cbranch_execz .LBB4_1205
.LBB4_1204:                             ;   in Loop: Header=BB4_356 Depth=4
	v_bfe_u32 v104, v13, 24, 3
	v_bfe_u32 v107, v13, 27, 4
	v_ffbh_u32_e32 v105, v104
	v_cmp_eq_u32_e32 vcc_lo, 0, v107
	v_min_u32_e32 v105, 32, v105
	v_subrev_nc_u32_e32 v106, 28, v105
	v_sub_nc_u32_e32 v105, 29, v105
	v_lshlrev_b32_sdwa v106, v106, v13 dst_sel:DWORD dst_unused:UNUSED_PAD src0_sel:DWORD src1_sel:BYTE_3
	v_cndmask_b32_e32 v105, v107, v105, vcc_lo
	v_and_b32_e32 v13, 0x80000000, v13
	v_and_b32_e32 v106, 7, v106
	v_lshl_add_u32 v105, v105, 23, 0x3b800000
	v_cndmask_b32_e32 v104, v104, v106, vcc_lo
	v_lshlrev_b32_e32 v104, 20, v104
	v_or3_b32 v104, v13, v105, v104
.LBB4_1205:                             ;   in Loop: Header=BB4_356 Depth=4
	s_or_b32 exec_lo, exec_lo, s72
	v_cmp_gt_i16_sdwa s72, v9, v117 src0_sel:BYTE_3 src1_sel:DWORD
	s_mov_b32 s16, 0
	s_and_saveexec_b32 s73, s72
	s_xor_b32 s72, exec_lo, s73
	s_cbranch_execz .LBB4_1696
; %bb.1206:                             ;   in Loop: Header=BB4_356 Depth=4
	v_cmp_eq_u16_sdwa s74, v9, v118 src0_sel:BYTE_3 src1_sel:DWORD
	s_mov_b32 s16, -1
	s_and_saveexec_b32 s73, s74
; %bb.1207:                             ;   in Loop: Header=BB4_356 Depth=4
	s_xor_b32 s16, exec_lo, -1
; %bb.1208:                             ;   in Loop: Header=BB4_356 Depth=4
	s_or_b32 exec_lo, exec_lo, s73
	s_and_b32 s16, s16, exec_lo
	s_or_saveexec_b32 s72, s72
	v_mov_b32_e32 v13, 0x7f800001
	s_xor_b32 exec_lo, exec_lo, s72
	s_cbranch_execnz .LBB4_1697
.LBB4_1209:                             ;   in Loop: Header=BB4_356 Depth=4
	s_or_b32 exec_lo, exec_lo, s72
	s_and_saveexec_b32 s72, s16
	s_cbranch_execz .LBB4_1211
.LBB4_1210:                             ;   in Loop: Header=BB4_356 Depth=4
	v_bfe_u32 v13, v9, 24, 3
	v_bfe_u32 v107, v9, 27, 4
	v_ffbh_u32_e32 v105, v13
	v_cmp_eq_u32_e32 vcc_lo, 0, v107
	v_min_u32_e32 v105, 32, v105
	v_subrev_nc_u32_e32 v106, 28, v105
	v_sub_nc_u32_e32 v105, 29, v105
	v_lshlrev_b32_sdwa v106, v106, v9 dst_sel:DWORD dst_unused:UNUSED_PAD src0_sel:DWORD src1_sel:BYTE_3
	v_cndmask_b32_e32 v105, v107, v105, vcc_lo
	v_and_b32_e32 v9, 0x80000000, v9
	v_and_b32_e32 v106, 7, v106
	v_lshl_add_u32 v105, v105, 23, 0x3b800000
	v_cndmask_b32_e32 v13, v13, v106, vcc_lo
	v_lshlrev_b32_e32 v13, 20, v13
	v_or3_b32 v13, v9, v105, v13
.LBB4_1211:                             ;   in Loop: Header=BB4_356 Depth=4
	s_or_b32 exec_lo, exec_lo, s72
	v_max_f32_e32 v9, v13, v13
	v_max_f32_e32 v13, v104, v104
	v_min_f32_e32 v104, v13, v9
.LBB4_1212:                             ;   in Loop: Header=BB4_356 Depth=4
	v_and_b32_e32 v9, 0x7f800000, v104
	v_cmp_ne_u32_e32 vcc_lo, 0x7f800000, v9
	v_mov_b32_e32 v9, 0x8000
	s_and_saveexec_b32 s72, vcc_lo
	s_cbranch_execz .LBB4_1220
; %bb.1213:                             ;   in Loop: Header=BB4_356 Depth=4
	v_mov_b32_e32 v9, 0
	s_mov_b32 s73, exec_lo
	v_cmpx_ne_u32_e32 0, v104
	s_cbranch_execz .LBB4_1219
; %bb.1214:                             ;   in Loop: Header=BB4_356 Depth=4
	v_bfe_u32 v9, v104, 23, 8
	v_and_b32_e32 v13, 0x7fffff, v104
	v_sub_nc_u32_e32 v105, 0x78, v9
	v_cmp_gt_u32_e32 vcc_lo, 0x79, v9
	v_or_b32_e32 v106, 0x800000, v13
	v_cndmask_b32_e32 v105, 0, v105, vcc_lo
	v_cmp_eq_u32_e32 vcc_lo, 0, v9
	v_add_nc_u32_e32 v9, 0xffffff89, v9
	v_cndmask_b32_e64 v105, v105, 0x77, vcc_lo
	v_cndmask_b32_e32 v13, v106, v13, vcc_lo
	v_cndmask_b32_e64 v9, v9, 0xffffff8a, vcc_lo
	v_lshl_add_u32 v106, 0x100000, v105, -1
	v_lshrrev_b32_e32 v107, v105, v13
	v_lshlrev_b32_e64 v109, v105, 0x80000
	v_add_nc_u32_e32 v105, v105, v9
	v_and_b32_e32 v13, v106, v13
	v_bfe_u32 v108, v107, 20, 1
	v_cmp_eq_u32_e64 s16, v13, v109
	v_add_nc_u32_e32 v106, -1, v108
	v_cndmask_b32_e64 v13, 0, v106, s16
	v_lshrrev_b32_e32 v106, 23, v107
	s_mov_b32 s16, exec_lo
	v_add_nc_u32_e32 v13, v13, v107
	v_xor_b32_e32 v106, 1, v106
	v_and_b32_e32 v9, 0xfffff, v13
	v_add_nc_u32_e32 v13, v9, v107
                                        ; implicit-def: $vgpr9
	v_cmpx_ne_u32_e64 v105, v106
	s_xor_b32 s16, exec_lo, s16
; %bb.1215:                             ;   in Loop: Header=BB4_356 Depth=4
	v_cmp_lt_u32_e32 vcc_lo, 0xffffff, v13
	v_sub_nc_u32_e32 v9, v105, v106
	v_cndmask_b32_e64 v105, 0, 1, vcc_lo
	v_add_co_ci_u32_e64 v9, null, 0, v9, vcc_lo
	v_lshrrev_b32_e32 v13, v105, v13
; %bb.1216:                             ;   in Loop: Header=BB4_356 Depth=4
	s_andn2_saveexec_b32 s16, s16
; %bb.1217:                             ;   in Loop: Header=BB4_356 Depth=4
	v_bfe_u32 v9, v13, 23, 1
; %bb.1218:                             ;   in Loop: Header=BB4_356 Depth=4
	s_or_b32 exec_lo, exec_lo, s16
	v_lshrrev_b32_e32 v13, 20, v13
	v_min_i32_e32 v105, 15, v9
	v_cmp_gt_i32_e32 vcc_lo, 16, v9
	v_and_b32_sdwa v104, v104, v118 dst_sel:DWORD dst_unused:UNUSED_PAD src0_sel:BYTE_3 src1_sel:DWORD
	v_lshlrev_b32_e32 v105, 3, v105
	v_cndmask_b32_e32 v13, 7, v13, vcc_lo
	v_and_b32_e32 v105, 0xf8, v105
	v_and_b32_e32 v106, 7, v13
	v_or_b32_e32 v9, v9, v13
	v_or3_b32 v104, v104, v105, v106
	v_cmp_ne_u32_e32 vcc_lo, 0, v9
	v_lshlrev_b32_e32 v13, 8, v104
	v_cndmask_b32_e32 v9, 0, v13, vcc_lo
.LBB4_1219:                             ;   in Loop: Header=BB4_356 Depth=4
	s_or_b32 exec_lo, exec_lo, s73
.LBB4_1220:                             ;   in Loop: Header=BB4_356 Depth=4
	s_or_b32 exec_lo, exec_lo, s72
	v_cmp_gt_i16_sdwa s72, v14, v117 src0_sel:BYTE_0 src1_sel:DWORD
	s_andn2_b32 vcc_lo, exec_lo, s63
	s_mov_b32 s16, -1
                                        ; implicit-def: $vgpr104
	s_cbranch_vccnz .LBB4_1234
; %bb.1221:                             ;   in Loop: Header=BB4_356 Depth=4
	s_mov_b32 s16, 0
	s_and_saveexec_b32 s73, s72
	s_xor_b32 s72, exec_lo, s73
	s_cbranch_execz .LBB4_1698
; %bb.1222:                             ;   in Loop: Header=BB4_356 Depth=4
	v_cmp_eq_u16_sdwa s74, v14, v118 src0_sel:BYTE_0 src1_sel:DWORD
	s_mov_b32 s16, -1
	s_and_saveexec_b32 s73, s74
; %bb.1223:                             ;   in Loop: Header=BB4_356 Depth=4
	s_xor_b32 s16, exec_lo, -1
; %bb.1224:                             ;   in Loop: Header=BB4_356 Depth=4
	s_or_b32 exec_lo, exec_lo, s73
	s_and_b32 s16, s16, exec_lo
	s_or_saveexec_b32 s72, s72
	v_mov_b32_e32 v13, 0x7f800001
	s_xor_b32 exec_lo, exec_lo, s72
	s_cbranch_execnz .LBB4_1699
.LBB4_1225:                             ;   in Loop: Header=BB4_356 Depth=4
	s_or_b32 exec_lo, exec_lo, s72
	s_and_saveexec_b32 s72, s16
	s_cbranch_execz .LBB4_1227
.LBB4_1226:                             ;   in Loop: Header=BB4_356 Depth=4
	v_and_b32_e32 v13, 7, v14
	v_bfe_u32 v106, v14, 3, 4
	v_lshlrev_b32_e32 v107, 24, v14
	v_ffbh_u32_e32 v104, v13
	v_cmp_eq_u32_e32 vcc_lo, 0, v106
	v_min_u32_e32 v104, 32, v104
	v_subrev_nc_u32_e32 v105, 28, v104
	v_sub_nc_u32_e32 v104, 29, v104
	v_lshlrev_b32_e32 v105, v105, v14
	v_cndmask_b32_e32 v104, v106, v104, vcc_lo
	v_and_b32_e32 v105, 7, v105
	v_lshl_add_u32 v104, v104, 23, 0x3b800000
	v_cndmask_b32_e32 v13, v13, v105, vcc_lo
	v_and_b32_e32 v105, 0x80000000, v107
	v_lshlrev_b32_e32 v13, 20, v13
	v_or3_b32 v13, v105, v104, v13
.LBB4_1227:                             ;   in Loop: Header=BB4_356 Depth=4
	s_or_b32 exec_lo, exec_lo, s72
	v_cmp_gt_i16_sdwa s72, v10, v117 src0_sel:BYTE_0 src1_sel:DWORD
	s_mov_b32 s16, 0
	s_and_saveexec_b32 s73, s72
	s_xor_b32 s72, exec_lo, s73
	s_cbranch_execz .LBB4_1700
; %bb.1228:                             ;   in Loop: Header=BB4_356 Depth=4
	v_cmp_eq_u16_sdwa s74, v10, v118 src0_sel:BYTE_0 src1_sel:DWORD
	s_mov_b32 s16, -1
	s_and_saveexec_b32 s73, s74
; %bb.1229:                             ;   in Loop: Header=BB4_356 Depth=4
	s_xor_b32 s16, exec_lo, -1
; %bb.1230:                             ;   in Loop: Header=BB4_356 Depth=4
	s_or_b32 exec_lo, exec_lo, s73
	s_and_b32 s16, s16, exec_lo
	s_or_saveexec_b32 s72, s72
	v_mov_b32_e32 v104, 0x7f800001
	s_xor_b32 exec_lo, exec_lo, s72
	s_cbranch_execnz .LBB4_1701
.LBB4_1231:                             ;   in Loop: Header=BB4_356 Depth=4
	s_or_b32 exec_lo, exec_lo, s72
	s_and_saveexec_b32 s72, s16
	s_cbranch_execz .LBB4_1233
.LBB4_1232:                             ;   in Loop: Header=BB4_356 Depth=4
	v_and_b32_e32 v104, 7, v10
	v_bfe_u32 v107, v10, 3, 4
	v_lshlrev_b32_e32 v108, 24, v10
	v_ffbh_u32_e32 v105, v104
	v_cmp_eq_u32_e32 vcc_lo, 0, v107
	v_min_u32_e32 v105, 32, v105
	v_subrev_nc_u32_e32 v106, 28, v105
	v_sub_nc_u32_e32 v105, 29, v105
	v_lshlrev_b32_e32 v106, v106, v10
	v_cndmask_b32_e32 v105, v107, v105, vcc_lo
	v_and_b32_e32 v106, 7, v106
	v_lshl_add_u32 v105, v105, 23, 0x3b800000
	v_cndmask_b32_e32 v104, v104, v106, vcc_lo
	v_and_b32_e32 v106, 0x80000000, v108
	v_lshlrev_b32_e32 v104, 20, v104
	v_or3_b32 v104, v106, v105, v104
.LBB4_1233:                             ;   in Loop: Header=BB4_356 Depth=4
	s_or_b32 exec_lo, exec_lo, s72
	v_max_f32_e32 v104, v104, v104
	v_max_f32_e32 v13, v13, v13
	s_mov_b32 s16, 0
	v_max_f32_e32 v104, v13, v104
.LBB4_1234:                             ;   in Loop: Header=BB4_356 Depth=4
	s_and_b32 vcc_lo, exec_lo, s16
	s_cbranch_vccz .LBB4_1248
; %bb.1235:                             ;   in Loop: Header=BB4_356 Depth=4
	v_cmp_gt_i16_sdwa s72, v14, v117 src0_sel:BYTE_0 src1_sel:DWORD
	s_mov_b32 s16, 0
	s_and_saveexec_b32 s73, s72
	s_xor_b32 s72, exec_lo, s73
	s_cbranch_execz .LBB4_1702
; %bb.1236:                             ;   in Loop: Header=BB4_356 Depth=4
	v_cmp_eq_u16_sdwa s74, v14, v118 src0_sel:BYTE_0 src1_sel:DWORD
	s_mov_b32 s16, -1
	s_and_saveexec_b32 s73, s74
; %bb.1237:                             ;   in Loop: Header=BB4_356 Depth=4
	s_xor_b32 s16, exec_lo, -1
; %bb.1238:                             ;   in Loop: Header=BB4_356 Depth=4
	s_or_b32 exec_lo, exec_lo, s73
	s_and_b32 s16, s16, exec_lo
	s_or_saveexec_b32 s72, s72
	v_mov_b32_e32 v13, 0x7f800001
	s_xor_b32 exec_lo, exec_lo, s72
	s_cbranch_execnz .LBB4_1703
.LBB4_1239:                             ;   in Loop: Header=BB4_356 Depth=4
	s_or_b32 exec_lo, exec_lo, s72
	s_and_saveexec_b32 s72, s16
	s_cbranch_execz .LBB4_1241
.LBB4_1240:                             ;   in Loop: Header=BB4_356 Depth=4
	v_and_b32_e32 v13, 7, v14
	v_bfe_u32 v106, v14, 3, 4
	v_lshlrev_b32_e32 v107, 24, v14
	v_ffbh_u32_e32 v104, v13
	v_cmp_eq_u32_e32 vcc_lo, 0, v106
	v_min_u32_e32 v104, 32, v104
	v_subrev_nc_u32_e32 v105, 28, v104
	v_sub_nc_u32_e32 v104, 29, v104
	v_lshlrev_b32_e32 v105, v105, v14
	v_cndmask_b32_e32 v104, v106, v104, vcc_lo
	v_and_b32_e32 v105, 7, v105
	v_lshl_add_u32 v104, v104, 23, 0x3b800000
	v_cndmask_b32_e32 v13, v13, v105, vcc_lo
	v_and_b32_e32 v105, 0x80000000, v107
	v_lshlrev_b32_e32 v13, 20, v13
	v_or3_b32 v13, v105, v104, v13
.LBB4_1241:                             ;   in Loop: Header=BB4_356 Depth=4
	s_or_b32 exec_lo, exec_lo, s72
	v_cmp_gt_i16_sdwa s72, v10, v117 src0_sel:BYTE_0 src1_sel:DWORD
	s_mov_b32 s16, 0
	s_and_saveexec_b32 s73, s72
	s_xor_b32 s72, exec_lo, s73
	s_cbranch_execz .LBB4_1704
; %bb.1242:                             ;   in Loop: Header=BB4_356 Depth=4
	v_cmp_eq_u16_sdwa s74, v10, v118 src0_sel:BYTE_0 src1_sel:DWORD
	s_mov_b32 s16, -1
	s_and_saveexec_b32 s73, s74
; %bb.1243:                             ;   in Loop: Header=BB4_356 Depth=4
	s_xor_b32 s16, exec_lo, -1
; %bb.1244:                             ;   in Loop: Header=BB4_356 Depth=4
	s_or_b32 exec_lo, exec_lo, s73
	s_and_b32 s16, s16, exec_lo
	s_or_saveexec_b32 s72, s72
	v_mov_b32_e32 v104, 0x7f800001
	s_xor_b32 exec_lo, exec_lo, s72
	s_cbranch_execnz .LBB4_1705
.LBB4_1245:                             ;   in Loop: Header=BB4_356 Depth=4
	s_or_b32 exec_lo, exec_lo, s72
	s_and_saveexec_b32 s72, s16
	s_cbranch_execz .LBB4_1247
.LBB4_1246:                             ;   in Loop: Header=BB4_356 Depth=4
	v_and_b32_e32 v104, 7, v10
	v_bfe_u32 v107, v10, 3, 4
	v_lshlrev_b32_e32 v108, 24, v10
	v_ffbh_u32_e32 v105, v104
	v_cmp_eq_u32_e32 vcc_lo, 0, v107
	v_min_u32_e32 v105, 32, v105
	v_subrev_nc_u32_e32 v106, 28, v105
	v_sub_nc_u32_e32 v105, 29, v105
	v_lshlrev_b32_e32 v106, v106, v10
	v_cndmask_b32_e32 v105, v107, v105, vcc_lo
	v_and_b32_e32 v106, 7, v106
	v_lshl_add_u32 v105, v105, 23, 0x3b800000
	v_cndmask_b32_e32 v104, v104, v106, vcc_lo
	v_and_b32_e32 v106, 0x80000000, v108
	v_lshlrev_b32_e32 v104, 20, v104
	v_or3_b32 v104, v106, v105, v104
.LBB4_1247:                             ;   in Loop: Header=BB4_356 Depth=4
	s_or_b32 exec_lo, exec_lo, s72
	v_max_f32_e32 v104, v104, v104
	v_max_f32_e32 v13, v13, v13
	v_min_f32_e32 v104, v13, v104
.LBB4_1248:                             ;   in Loop: Header=BB4_356 Depth=4
	v_and_b32_e32 v13, 0x7f800000, v104
	v_cmp_ne_u32_e32 vcc_lo, 0x7f800000, v13
	v_mov_b32_e32 v13, 0x80
	s_and_saveexec_b32 s72, vcc_lo
	s_cbranch_execz .LBB4_1256
; %bb.1249:                             ;   in Loop: Header=BB4_356 Depth=4
	v_mov_b32_e32 v13, 0
	s_mov_b32 s73, exec_lo
	v_cmpx_ne_u32_e32 0, v104
	s_cbranch_execz .LBB4_1255
; %bb.1250:                             ;   in Loop: Header=BB4_356 Depth=4
	v_bfe_u32 v13, v104, 23, 8
	v_and_b32_e32 v105, 0x7fffff, v104
	v_sub_nc_u32_e32 v106, 0x78, v13
	v_cmp_gt_u32_e32 vcc_lo, 0x79, v13
	v_or_b32_e32 v107, 0x800000, v105
	v_cndmask_b32_e32 v106, 0, v106, vcc_lo
	v_cmp_eq_u32_e32 vcc_lo, 0, v13
	v_add_nc_u32_e32 v13, 0xffffff89, v13
	v_cndmask_b32_e64 v106, v106, 0x77, vcc_lo
	v_cndmask_b32_e32 v105, v107, v105, vcc_lo
	v_cndmask_b32_e64 v13, v13, 0xffffff8a, vcc_lo
	v_lshl_add_u32 v107, 0x100000, v106, -1
	v_lshrrev_b32_e32 v108, v106, v105
	v_lshlrev_b32_e64 v110, v106, 0x80000
	v_add_nc_u32_e32 v106, v106, v13
	v_and_b32_e32 v105, v107, v105
	v_bfe_u32 v109, v108, 20, 1
	v_cmp_eq_u32_e64 s16, v105, v110
	v_add_nc_u32_e32 v107, -1, v109
	v_cndmask_b32_e64 v105, 0, v107, s16
	v_lshrrev_b32_e32 v107, 23, v108
	s_mov_b32 s16, exec_lo
	v_add_nc_u32_e32 v105, v105, v108
	v_xor_b32_e32 v107, 1, v107
	v_and_b32_e32 v13, 0xfffff, v105
	v_add_nc_u32_e32 v105, v13, v108
                                        ; implicit-def: $vgpr13
	v_cmpx_ne_u32_e64 v106, v107
	s_xor_b32 s16, exec_lo, s16
; %bb.1251:                             ;   in Loop: Header=BB4_356 Depth=4
	v_cmp_lt_u32_e32 vcc_lo, 0xffffff, v105
	v_sub_nc_u32_e32 v13, v106, v107
	v_cndmask_b32_e64 v106, 0, 1, vcc_lo
	v_add_co_ci_u32_e64 v13, null, 0, v13, vcc_lo
	v_lshrrev_b32_e32 v105, v106, v105
; %bb.1252:                             ;   in Loop: Header=BB4_356 Depth=4
	s_andn2_saveexec_b32 s16, s16
; %bb.1253:                             ;   in Loop: Header=BB4_356 Depth=4
	v_bfe_u32 v13, v105, 23, 1
; %bb.1254:                             ;   in Loop: Header=BB4_356 Depth=4
	s_or_b32 exec_lo, exec_lo, s16
	v_lshrrev_b32_e32 v105, 20, v105
	v_min_i32_e32 v106, 15, v13
	v_cmp_gt_i32_e32 vcc_lo, 16, v13
	v_and_b32_sdwa v104, v104, v118 dst_sel:DWORD dst_unused:UNUSED_PAD src0_sel:BYTE_3 src1_sel:DWORD
	v_lshlrev_b32_e32 v106, 3, v106
	v_cndmask_b32_e32 v105, 7, v105, vcc_lo
	v_and_b32_e32 v106, 0xf8, v106
	v_and_b32_e32 v107, 7, v105
	v_or_b32_e32 v13, v13, v105
	v_or3_b32 v104, v106, v104, v107
	v_cmp_ne_u32_e32 vcc_lo, 0, v13
	v_cndmask_b32_e32 v13, 0, v104, vcc_lo
.LBB4_1255:                             ;   in Loop: Header=BB4_356 Depth=4
	s_or_b32 exec_lo, exec_lo, s73
.LBB4_1256:                             ;   in Loop: Header=BB4_356 Depth=4
	s_or_b32 exec_lo, exec_lo, s72
	v_cmp_gt_i16_sdwa s72, v14, v117 src0_sel:BYTE_1 src1_sel:DWORD
	s_andn2_b32 vcc_lo, exec_lo, s63
	s_mov_b32 s16, -1
                                        ; implicit-def: $vgpr105
	s_cbranch_vccnz .LBB4_1270
; %bb.1257:                             ;   in Loop: Header=BB4_356 Depth=4
	s_mov_b32 s16, 0
	s_and_saveexec_b32 s73, s72
	s_xor_b32 s72, exec_lo, s73
	s_cbranch_execz .LBB4_1706
; %bb.1258:                             ;   in Loop: Header=BB4_356 Depth=4
	v_cmp_eq_u16_sdwa s74, v14, v118 src0_sel:BYTE_1 src1_sel:DWORD
	s_mov_b32 s16, -1
	s_and_saveexec_b32 s73, s74
; %bb.1259:                             ;   in Loop: Header=BB4_356 Depth=4
	s_xor_b32 s16, exec_lo, -1
; %bb.1260:                             ;   in Loop: Header=BB4_356 Depth=4
	s_or_b32 exec_lo, exec_lo, s73
	s_and_b32 s16, s16, exec_lo
	s_or_saveexec_b32 s72, s72
	v_mov_b32_e32 v104, 0x7f800001
	s_xor_b32 exec_lo, exec_lo, s72
	s_cbranch_execnz .LBB4_1707
.LBB4_1261:                             ;   in Loop: Header=BB4_356 Depth=4
	s_or_b32 exec_lo, exec_lo, s72
	s_and_saveexec_b32 s72, s16
	s_cbranch_execz .LBB4_1263
.LBB4_1262:                             ;   in Loop: Header=BB4_356 Depth=4
	v_and_b32_sdwa v104, v119, v14 dst_sel:DWORD dst_unused:UNUSED_PAD src0_sel:DWORD src1_sel:BYTE_1
	v_and_b32_e32 v105, 7, v104
	v_bfe_u32 v108, v104, 3, 4
	v_ffbh_u32_e32 v106, v105
	v_cmp_eq_u32_e32 vcc_lo, 0, v108
	v_min_u32_e32 v106, 32, v106
	v_subrev_nc_u32_e32 v107, 28, v106
	v_sub_nc_u32_e32 v106, 29, v106
	v_lshlrev_b32_e32 v104, v107, v104
	v_lshlrev_b32_e32 v107, 16, v14
	v_cndmask_b32_e32 v106, v108, v106, vcc_lo
	v_and_b32_e32 v104, 7, v104
	v_lshl_add_u32 v106, v106, 23, 0x3b800000
	v_cndmask_b32_e32 v104, v105, v104, vcc_lo
	v_and_b32_e32 v105, 0x80000000, v107
	v_lshlrev_b32_e32 v104, 20, v104
	v_or3_b32 v104, v105, v106, v104
.LBB4_1263:                             ;   in Loop: Header=BB4_356 Depth=4
	s_or_b32 exec_lo, exec_lo, s72
	v_cmp_gt_i16_sdwa s72, v10, v117 src0_sel:BYTE_1 src1_sel:DWORD
	s_mov_b32 s16, 0
	s_and_saveexec_b32 s73, s72
	s_xor_b32 s72, exec_lo, s73
	s_cbranch_execz .LBB4_1708
; %bb.1264:                             ;   in Loop: Header=BB4_356 Depth=4
	v_cmp_eq_u16_sdwa s74, v10, v118 src0_sel:BYTE_1 src1_sel:DWORD
	s_mov_b32 s16, -1
	s_and_saveexec_b32 s73, s74
; %bb.1265:                             ;   in Loop: Header=BB4_356 Depth=4
	s_xor_b32 s16, exec_lo, -1
; %bb.1266:                             ;   in Loop: Header=BB4_356 Depth=4
	s_or_b32 exec_lo, exec_lo, s73
	s_and_b32 s16, s16, exec_lo
	s_or_saveexec_b32 s72, s72
	v_mov_b32_e32 v105, 0x7f800001
	s_xor_b32 exec_lo, exec_lo, s72
	s_cbranch_execnz .LBB4_1709
.LBB4_1267:                             ;   in Loop: Header=BB4_356 Depth=4
	s_or_b32 exec_lo, exec_lo, s72
	s_and_saveexec_b32 s72, s16
	s_cbranch_execz .LBB4_1269
.LBB4_1268:                             ;   in Loop: Header=BB4_356 Depth=4
	v_and_b32_sdwa v105, v119, v10 dst_sel:DWORD dst_unused:UNUSED_PAD src0_sel:DWORD src1_sel:BYTE_1
	v_and_b32_e32 v106, 7, v105
	v_bfe_u32 v109, v105, 3, 4
	v_ffbh_u32_e32 v107, v106
	v_cmp_eq_u32_e32 vcc_lo, 0, v109
	v_min_u32_e32 v107, 32, v107
	v_subrev_nc_u32_e32 v108, 28, v107
	v_sub_nc_u32_e32 v107, 29, v107
	v_lshlrev_b32_e32 v105, v108, v105
	v_lshlrev_b32_e32 v108, 16, v10
	v_cndmask_b32_e32 v107, v109, v107, vcc_lo
	v_and_b32_e32 v105, 7, v105
	v_lshl_add_u32 v107, v107, 23, 0x3b800000
	v_cndmask_b32_e32 v105, v106, v105, vcc_lo
	v_and_b32_e32 v106, 0x80000000, v108
	v_lshlrev_b32_e32 v105, 20, v105
	v_or3_b32 v105, v106, v107, v105
.LBB4_1269:                             ;   in Loop: Header=BB4_356 Depth=4
	s_or_b32 exec_lo, exec_lo, s72
	v_max_f32_e32 v105, v105, v105
	v_max_f32_e32 v104, v104, v104
	s_mov_b32 s16, 0
	v_max_f32_e32 v105, v104, v105
.LBB4_1270:                             ;   in Loop: Header=BB4_356 Depth=4
	s_and_b32 vcc_lo, exec_lo, s16
	s_cbranch_vccz .LBB4_1284
; %bb.1271:                             ;   in Loop: Header=BB4_356 Depth=4
	v_cmp_gt_i16_sdwa s72, v14, v117 src0_sel:BYTE_1 src1_sel:DWORD
	s_mov_b32 s16, 0
	s_and_saveexec_b32 s73, s72
	s_xor_b32 s72, exec_lo, s73
	s_cbranch_execz .LBB4_1710
; %bb.1272:                             ;   in Loop: Header=BB4_356 Depth=4
	v_cmp_eq_u16_sdwa s74, v14, v118 src0_sel:BYTE_1 src1_sel:DWORD
	s_mov_b32 s16, -1
	s_and_saveexec_b32 s73, s74
; %bb.1273:                             ;   in Loop: Header=BB4_356 Depth=4
	s_xor_b32 s16, exec_lo, -1
; %bb.1274:                             ;   in Loop: Header=BB4_356 Depth=4
	s_or_b32 exec_lo, exec_lo, s73
	s_and_b32 s16, s16, exec_lo
	s_or_saveexec_b32 s72, s72
	v_mov_b32_e32 v104, 0x7f800001
	s_xor_b32 exec_lo, exec_lo, s72
	s_cbranch_execnz .LBB4_1711
.LBB4_1275:                             ;   in Loop: Header=BB4_356 Depth=4
	s_or_b32 exec_lo, exec_lo, s72
	s_and_saveexec_b32 s72, s16
	s_cbranch_execz .LBB4_1277
.LBB4_1276:                             ;   in Loop: Header=BB4_356 Depth=4
	v_and_b32_sdwa v104, v119, v14 dst_sel:DWORD dst_unused:UNUSED_PAD src0_sel:DWORD src1_sel:BYTE_1
	v_and_b32_e32 v105, 7, v104
	v_bfe_u32 v108, v104, 3, 4
	v_ffbh_u32_e32 v106, v105
	v_cmp_eq_u32_e32 vcc_lo, 0, v108
	v_min_u32_e32 v106, 32, v106
	v_subrev_nc_u32_e32 v107, 28, v106
	v_sub_nc_u32_e32 v106, 29, v106
	v_lshlrev_b32_e32 v104, v107, v104
	v_lshlrev_b32_e32 v107, 16, v14
	v_cndmask_b32_e32 v106, v108, v106, vcc_lo
	v_and_b32_e32 v104, 7, v104
	v_lshl_add_u32 v106, v106, 23, 0x3b800000
	v_cndmask_b32_e32 v104, v105, v104, vcc_lo
	v_and_b32_e32 v105, 0x80000000, v107
	v_lshlrev_b32_e32 v104, 20, v104
	v_or3_b32 v104, v105, v106, v104
.LBB4_1277:                             ;   in Loop: Header=BB4_356 Depth=4
	s_or_b32 exec_lo, exec_lo, s72
	v_cmp_gt_i16_sdwa s72, v10, v117 src0_sel:BYTE_1 src1_sel:DWORD
	s_mov_b32 s16, 0
	s_and_saveexec_b32 s73, s72
	s_xor_b32 s72, exec_lo, s73
	s_cbranch_execz .LBB4_1712
; %bb.1278:                             ;   in Loop: Header=BB4_356 Depth=4
	v_cmp_eq_u16_sdwa s74, v10, v118 src0_sel:BYTE_1 src1_sel:DWORD
	s_mov_b32 s16, -1
	s_and_saveexec_b32 s73, s74
; %bb.1279:                             ;   in Loop: Header=BB4_356 Depth=4
	s_xor_b32 s16, exec_lo, -1
; %bb.1280:                             ;   in Loop: Header=BB4_356 Depth=4
	s_or_b32 exec_lo, exec_lo, s73
	s_and_b32 s16, s16, exec_lo
	s_or_saveexec_b32 s72, s72
	v_mov_b32_e32 v105, 0x7f800001
	s_xor_b32 exec_lo, exec_lo, s72
	s_cbranch_execnz .LBB4_1713
.LBB4_1281:                             ;   in Loop: Header=BB4_356 Depth=4
	s_or_b32 exec_lo, exec_lo, s72
	s_and_saveexec_b32 s72, s16
	s_cbranch_execz .LBB4_1283
.LBB4_1282:                             ;   in Loop: Header=BB4_356 Depth=4
	v_and_b32_sdwa v105, v119, v10 dst_sel:DWORD dst_unused:UNUSED_PAD src0_sel:DWORD src1_sel:BYTE_1
	v_and_b32_e32 v106, 7, v105
	v_bfe_u32 v109, v105, 3, 4
	v_ffbh_u32_e32 v107, v106
	v_cmp_eq_u32_e32 vcc_lo, 0, v109
	v_min_u32_e32 v107, 32, v107
	v_subrev_nc_u32_e32 v108, 28, v107
	v_sub_nc_u32_e32 v107, 29, v107
	v_lshlrev_b32_e32 v105, v108, v105
	v_lshlrev_b32_e32 v108, 16, v10
	v_cndmask_b32_e32 v107, v109, v107, vcc_lo
	v_and_b32_e32 v105, 7, v105
	v_lshl_add_u32 v107, v107, 23, 0x3b800000
	v_cndmask_b32_e32 v105, v106, v105, vcc_lo
	v_and_b32_e32 v106, 0x80000000, v108
	v_lshlrev_b32_e32 v105, 20, v105
	v_or3_b32 v105, v106, v107, v105
.LBB4_1283:                             ;   in Loop: Header=BB4_356 Depth=4
	s_or_b32 exec_lo, exec_lo, s72
	v_max_f32_e32 v105, v105, v105
	v_max_f32_e32 v104, v104, v104
	v_min_f32_e32 v105, v104, v105
.LBB4_1284:                             ;   in Loop: Header=BB4_356 Depth=4
	v_and_b32_e32 v104, 0x7f800000, v105
	v_cmp_ne_u32_e32 vcc_lo, 0x7f800000, v104
	v_mov_b32_e32 v104, 0x8000
	s_and_saveexec_b32 s72, vcc_lo
	s_cbranch_execz .LBB4_1292
; %bb.1285:                             ;   in Loop: Header=BB4_356 Depth=4
	v_mov_b32_e32 v104, 0
	s_mov_b32 s73, exec_lo
	v_cmpx_ne_u32_e32 0, v105
	s_cbranch_execz .LBB4_1291
; %bb.1286:                             ;   in Loop: Header=BB4_356 Depth=4
	v_bfe_u32 v104, v105, 23, 8
	v_and_b32_e32 v106, 0x7fffff, v105
	v_sub_nc_u32_e32 v107, 0x78, v104
	v_cmp_gt_u32_e32 vcc_lo, 0x79, v104
	v_or_b32_e32 v108, 0x800000, v106
	v_cndmask_b32_e32 v107, 0, v107, vcc_lo
	v_cmp_eq_u32_e32 vcc_lo, 0, v104
	v_add_nc_u32_e32 v104, 0xffffff89, v104
	v_cndmask_b32_e64 v107, v107, 0x77, vcc_lo
	v_cndmask_b32_e32 v106, v108, v106, vcc_lo
	v_cndmask_b32_e64 v104, v104, 0xffffff8a, vcc_lo
	v_lshl_add_u32 v108, 0x100000, v107, -1
	v_lshrrev_b32_e32 v109, v107, v106
	v_lshlrev_b32_e64 v111, v107, 0x80000
	v_add_nc_u32_e32 v107, v107, v104
	v_and_b32_e32 v106, v108, v106
	v_bfe_u32 v110, v109, 20, 1
	v_cmp_eq_u32_e64 s16, v106, v111
	v_add_nc_u32_e32 v108, -1, v110
	v_cndmask_b32_e64 v106, 0, v108, s16
	v_lshrrev_b32_e32 v108, 23, v109
	s_mov_b32 s16, exec_lo
	v_add_nc_u32_e32 v106, v106, v109
	v_xor_b32_e32 v108, 1, v108
	v_and_b32_e32 v104, 0xfffff, v106
	v_add_nc_u32_e32 v106, v104, v109
                                        ; implicit-def: $vgpr104
	v_cmpx_ne_u32_e64 v107, v108
	s_xor_b32 s16, exec_lo, s16
; %bb.1287:                             ;   in Loop: Header=BB4_356 Depth=4
	v_cmp_lt_u32_e32 vcc_lo, 0xffffff, v106
	v_sub_nc_u32_e32 v104, v107, v108
	v_cndmask_b32_e64 v107, 0, 1, vcc_lo
	v_add_co_ci_u32_e64 v104, null, 0, v104, vcc_lo
	v_lshrrev_b32_e32 v106, v107, v106
; %bb.1288:                             ;   in Loop: Header=BB4_356 Depth=4
	s_andn2_saveexec_b32 s16, s16
; %bb.1289:                             ;   in Loop: Header=BB4_356 Depth=4
	v_bfe_u32 v104, v106, 23, 1
; %bb.1290:                             ;   in Loop: Header=BB4_356 Depth=4
	s_or_b32 exec_lo, exec_lo, s16
	v_lshrrev_b32_e32 v106, 20, v106
	v_min_i32_e32 v107, 15, v104
	v_cmp_gt_i32_e32 vcc_lo, 16, v104
	v_and_b32_sdwa v105, v105, v118 dst_sel:DWORD dst_unused:UNUSED_PAD src0_sel:BYTE_3 src1_sel:DWORD
	v_lshlrev_b32_e32 v107, 3, v107
	v_cndmask_b32_e32 v106, 7, v106, vcc_lo
	v_and_b32_e32 v107, 0xf8, v107
	v_and_b32_e32 v108, 7, v106
	v_or_b32_e32 v104, v104, v106
	v_or3_b32 v105, v105, v107, v108
	v_cmp_ne_u32_e32 vcc_lo, 0, v104
	v_lshlrev_b32_e32 v105, 8, v105
	v_cndmask_b32_e32 v104, 0, v105, vcc_lo
.LBB4_1291:                             ;   in Loop: Header=BB4_356 Depth=4
	s_or_b32 exec_lo, exec_lo, s73
.LBB4_1292:                             ;   in Loop: Header=BB4_356 Depth=4
	s_or_b32 exec_lo, exec_lo, s72
	v_and_b32_sdwa v105, v14, v40 dst_sel:DWORD dst_unused:UNUSED_PAD src0_sel:WORD_1 src1_sel:DWORD
	s_andn2_b32 vcc_lo, exec_lo, s63
	s_mov_b32 s72, -1
                                        ; implicit-def: $vgpr106
	v_cmp_lt_i16_e64 s16, 0x7f, v105
	s_cbranch_vccnz .LBB4_1306
; %bb.1293:                             ;   in Loop: Header=BB4_356 Depth=4
	s_mov_b32 s72, 0
	s_and_saveexec_b32 s73, s16
	s_xor_b32 s16, exec_lo, s73
	s_cbranch_execz .LBB4_1714
; %bb.1294:                             ;   in Loop: Header=BB4_356 Depth=4
	s_mov_b32 s72, -1
	s_mov_b32 s73, exec_lo
	v_cmpx_eq_u16_e32 0x80, v105
; %bb.1295:                             ;   in Loop: Header=BB4_356 Depth=4
	s_xor_b32 s72, exec_lo, -1
; %bb.1296:                             ;   in Loop: Header=BB4_356 Depth=4
	s_or_b32 exec_lo, exec_lo, s73
	s_and_b32 s72, s72, exec_lo
	s_or_saveexec_b32 s16, s16
	v_mov_b32_e32 v106, 0x7f800001
	s_xor_b32 exec_lo, exec_lo, s16
	s_cbranch_execnz .LBB4_1715
.LBB4_1297:                             ;   in Loop: Header=BB4_356 Depth=4
	s_or_b32 exec_lo, exec_lo, s16
	s_and_saveexec_b32 s16, s72
	s_cbranch_execz .LBB4_1299
.LBB4_1298:                             ;   in Loop: Header=BB4_356 Depth=4
	v_bfe_u32 v106, v14, 16, 3
	v_bfe_u32 v109, v14, 19, 4
	v_lshlrev_b32_sdwa v110, v41, v14 dst_sel:DWORD dst_unused:UNUSED_PAD src0_sel:DWORD src1_sel:WORD_1
	v_ffbh_u32_e32 v107, v106
	v_cmp_eq_u32_e32 vcc_lo, 0, v109
	v_min_u32_e32 v107, 32, v107
	v_subrev_nc_u32_e32 v108, 28, v107
	v_sub_nc_u32_e32 v107, 29, v107
	v_lshlrev_b32_sdwa v108, v108, v14 dst_sel:DWORD dst_unused:UNUSED_PAD src0_sel:DWORD src1_sel:WORD_1
	v_cndmask_b32_e32 v107, v109, v107, vcc_lo
	v_and_b32_e32 v108, 7, v108
	v_lshl_add_u32 v107, v107, 23, 0x3b800000
	v_cndmask_b32_e32 v106, v106, v108, vcc_lo
	v_and_b32_e32 v108, 0x80000000, v110
	v_lshlrev_b32_e32 v106, 20, v106
	v_or3_b32 v106, v108, v107, v106
.LBB4_1299:                             ;   in Loop: Header=BB4_356 Depth=4
	s_or_b32 exec_lo, exec_lo, s16
	v_and_b32_sdwa v108, v10, v40 dst_sel:DWORD dst_unused:UNUSED_PAD src0_sel:WORD_1 src1_sel:DWORD
	s_mov_b32 s16, 0
	s_mov_b32 s72, exec_lo
	v_cmpx_lt_i16_e32 0x7f, v108
	s_xor_b32 s72, exec_lo, s72
	s_cbranch_execz .LBB4_1716
; %bb.1300:                             ;   in Loop: Header=BB4_356 Depth=4
	s_mov_b32 s16, -1
	s_mov_b32 s73, exec_lo
	v_cmpx_eq_u16_e32 0x80, v108
; %bb.1301:                             ;   in Loop: Header=BB4_356 Depth=4
	s_xor_b32 s16, exec_lo, -1
; %bb.1302:                             ;   in Loop: Header=BB4_356 Depth=4
	s_or_b32 exec_lo, exec_lo, s73
	s_and_b32 s16, s16, exec_lo
                                        ; implicit-def: $vgpr108
	s_or_saveexec_b32 s72, s72
	v_mov_b32_e32 v107, 0x7f800001
	s_xor_b32 exec_lo, exec_lo, s72
	s_cbranch_execnz .LBB4_1717
.LBB4_1303:                             ;   in Loop: Header=BB4_356 Depth=4
	s_or_b32 exec_lo, exec_lo, s72
	s_and_saveexec_b32 s72, s16
	s_cbranch_execz .LBB4_1305
.LBB4_1304:                             ;   in Loop: Header=BB4_356 Depth=4
	v_bfe_u32 v107, v10, 16, 3
	v_bfe_u32 v110, v10, 19, 4
	v_lshlrev_b32_sdwa v111, v41, v10 dst_sel:DWORD dst_unused:UNUSED_PAD src0_sel:DWORD src1_sel:WORD_1
	v_ffbh_u32_e32 v108, v107
	v_cmp_eq_u32_e32 vcc_lo, 0, v110
	v_min_u32_e32 v108, 32, v108
	v_subrev_nc_u32_e32 v109, 28, v108
	v_sub_nc_u32_e32 v108, 29, v108
	v_lshlrev_b32_sdwa v109, v109, v10 dst_sel:DWORD dst_unused:UNUSED_PAD src0_sel:DWORD src1_sel:WORD_1
	v_cndmask_b32_e32 v108, v110, v108, vcc_lo
	v_and_b32_e32 v109, 7, v109
	v_lshl_add_u32 v108, v108, 23, 0x3b800000
	v_cndmask_b32_e32 v107, v107, v109, vcc_lo
	v_and_b32_e32 v109, 0x80000000, v111
	v_lshlrev_b32_e32 v107, 20, v107
	v_or3_b32 v107, v109, v108, v107
.LBB4_1305:                             ;   in Loop: Header=BB4_356 Depth=4
	s_or_b32 exec_lo, exec_lo, s72
	v_max_f32_e32 v107, v107, v107
	v_max_f32_e32 v106, v106, v106
	s_mov_b32 s72, 0
	v_max_f32_e32 v106, v106, v107
.LBB4_1306:                             ;   in Loop: Header=BB4_356 Depth=4
	s_and_b32 vcc_lo, exec_lo, s72
	s_cbranch_vccz .LBB4_1320
; %bb.1307:                             ;   in Loop: Header=BB4_356 Depth=4
	s_mov_b32 s16, 0
	s_mov_b32 s72, exec_lo
	v_cmpx_lt_i16_e32 0x7f, v105
	s_xor_b32 s72, exec_lo, s72
	s_cbranch_execz .LBB4_1718
; %bb.1308:                             ;   in Loop: Header=BB4_356 Depth=4
	s_mov_b32 s16, -1
	s_mov_b32 s73, exec_lo
	v_cmpx_eq_u16_e32 0x80, v105
; %bb.1309:                             ;   in Loop: Header=BB4_356 Depth=4
	s_xor_b32 s16, exec_lo, -1
; %bb.1310:                             ;   in Loop: Header=BB4_356 Depth=4
	s_or_b32 exec_lo, exec_lo, s73
	s_and_b32 s16, s16, exec_lo
                                        ; implicit-def: $vgpr105
	s_or_saveexec_b32 s72, s72
	v_mov_b32_e32 v106, 0x7f800001
	s_xor_b32 exec_lo, exec_lo, s72
	s_cbranch_execnz .LBB4_1719
.LBB4_1311:                             ;   in Loop: Header=BB4_356 Depth=4
	s_or_b32 exec_lo, exec_lo, s72
	s_and_saveexec_b32 s72, s16
	s_cbranch_execz .LBB4_1313
.LBB4_1312:                             ;   in Loop: Header=BB4_356 Depth=4
	v_bfe_u32 v105, v14, 16, 3
	v_bfe_u32 v108, v14, 19, 4
	v_lshlrev_b32_sdwa v109, v41, v14 dst_sel:DWORD dst_unused:UNUSED_PAD src0_sel:DWORD src1_sel:WORD_1
	v_ffbh_u32_e32 v106, v105
	v_cmp_eq_u32_e32 vcc_lo, 0, v108
	v_min_u32_e32 v106, 32, v106
	v_subrev_nc_u32_e32 v107, 28, v106
	v_sub_nc_u32_e32 v106, 29, v106
	v_lshlrev_b32_sdwa v107, v107, v14 dst_sel:DWORD dst_unused:UNUSED_PAD src0_sel:DWORD src1_sel:WORD_1
	v_cndmask_b32_e32 v106, v108, v106, vcc_lo
	v_and_b32_e32 v107, 7, v107
	v_lshl_add_u32 v106, v106, 23, 0x3b800000
	v_cndmask_b32_e32 v105, v105, v107, vcc_lo
	v_and_b32_e32 v107, 0x80000000, v109
	v_lshlrev_b32_e32 v105, 20, v105
	v_or3_b32 v106, v107, v106, v105
.LBB4_1313:                             ;   in Loop: Header=BB4_356 Depth=4
	s_or_b32 exec_lo, exec_lo, s72
	v_and_b32_sdwa v107, v10, v40 dst_sel:DWORD dst_unused:UNUSED_PAD src0_sel:WORD_1 src1_sel:DWORD
	s_mov_b32 s16, 0
	s_mov_b32 s72, exec_lo
	v_cmpx_lt_i16_e32 0x7f, v107
	s_xor_b32 s72, exec_lo, s72
	s_cbranch_execz .LBB4_1720
; %bb.1314:                             ;   in Loop: Header=BB4_356 Depth=4
	s_mov_b32 s16, -1
	s_mov_b32 s73, exec_lo
	v_cmpx_eq_u16_e32 0x80, v107
; %bb.1315:                             ;   in Loop: Header=BB4_356 Depth=4
	s_xor_b32 s16, exec_lo, -1
; %bb.1316:                             ;   in Loop: Header=BB4_356 Depth=4
	s_or_b32 exec_lo, exec_lo, s73
	s_and_b32 s16, s16, exec_lo
                                        ; implicit-def: $vgpr107
	s_or_saveexec_b32 s72, s72
	v_mov_b32_e32 v105, 0x7f800001
	s_xor_b32 exec_lo, exec_lo, s72
	s_cbranch_execnz .LBB4_1721
.LBB4_1317:                             ;   in Loop: Header=BB4_356 Depth=4
	s_or_b32 exec_lo, exec_lo, s72
	s_and_saveexec_b32 s72, s16
	s_cbranch_execz .LBB4_1319
.LBB4_1318:                             ;   in Loop: Header=BB4_356 Depth=4
	v_bfe_u32 v105, v10, 16, 3
	v_bfe_u32 v109, v10, 19, 4
	v_lshlrev_b32_sdwa v110, v41, v10 dst_sel:DWORD dst_unused:UNUSED_PAD src0_sel:DWORD src1_sel:WORD_1
	v_ffbh_u32_e32 v107, v105
	v_cmp_eq_u32_e32 vcc_lo, 0, v109
	v_min_u32_e32 v107, 32, v107
	v_subrev_nc_u32_e32 v108, 28, v107
	v_sub_nc_u32_e32 v107, 29, v107
	v_lshlrev_b32_sdwa v108, v108, v10 dst_sel:DWORD dst_unused:UNUSED_PAD src0_sel:DWORD src1_sel:WORD_1
	v_cndmask_b32_e32 v107, v109, v107, vcc_lo
	v_and_b32_e32 v108, 7, v108
	v_lshl_add_u32 v107, v107, 23, 0x3b800000
	v_cndmask_b32_e32 v105, v105, v108, vcc_lo
	v_and_b32_e32 v108, 0x80000000, v110
	v_lshlrev_b32_e32 v105, 20, v105
	v_or3_b32 v105, v108, v107, v105
.LBB4_1319:                             ;   in Loop: Header=BB4_356 Depth=4
	s_or_b32 exec_lo, exec_lo, s72
	v_max_f32_e32 v105, v105, v105
	v_max_f32_e32 v106, v106, v106
	v_min_f32_e32 v106, v106, v105
.LBB4_1320:                             ;   in Loop: Header=BB4_356 Depth=4
	v_and_b32_e32 v105, 0x7f800000, v106
	v_cmp_ne_u32_e32 vcc_lo, 0x7f800000, v105
	v_mov_b32_e32 v105, 0x80
	s_and_saveexec_b32 s72, vcc_lo
	s_cbranch_execz .LBB4_1328
; %bb.1321:                             ;   in Loop: Header=BB4_356 Depth=4
	v_mov_b32_e32 v105, 0
	s_mov_b32 s73, exec_lo
	v_cmpx_ne_u32_e32 0, v106
	s_cbranch_execz .LBB4_1327
; %bb.1322:                             ;   in Loop: Header=BB4_356 Depth=4
	v_bfe_u32 v105, v106, 23, 8
	v_and_b32_e32 v107, 0x7fffff, v106
	v_sub_nc_u32_e32 v108, 0x78, v105
	v_cmp_gt_u32_e32 vcc_lo, 0x79, v105
	v_or_b32_e32 v109, 0x800000, v107
	v_cndmask_b32_e32 v108, 0, v108, vcc_lo
	v_cmp_eq_u32_e32 vcc_lo, 0, v105
	v_add_nc_u32_e32 v105, 0xffffff89, v105
	v_cndmask_b32_e64 v108, v108, 0x77, vcc_lo
	v_cndmask_b32_e32 v107, v109, v107, vcc_lo
	v_cndmask_b32_e64 v105, v105, 0xffffff8a, vcc_lo
	v_lshl_add_u32 v109, 0x100000, v108, -1
	v_lshrrev_b32_e32 v110, v108, v107
	v_lshlrev_b32_e64 v120, v108, 0x80000
	v_add_nc_u32_e32 v108, v108, v105
	v_and_b32_e32 v107, v109, v107
	v_bfe_u32 v111, v110, 20, 1
	v_cmp_eq_u32_e64 s16, v107, v120
	v_add_nc_u32_e32 v109, -1, v111
	v_cndmask_b32_e64 v107, 0, v109, s16
	v_lshrrev_b32_e32 v109, 23, v110
	s_mov_b32 s16, exec_lo
	v_add_nc_u32_e32 v107, v107, v110
	v_xor_b32_e32 v109, 1, v109
	v_and_b32_e32 v105, 0xfffff, v107
	v_add_nc_u32_e32 v107, v105, v110
                                        ; implicit-def: $vgpr105
	v_cmpx_ne_u32_e64 v108, v109
	s_xor_b32 s16, exec_lo, s16
; %bb.1323:                             ;   in Loop: Header=BB4_356 Depth=4
	v_cmp_lt_u32_e32 vcc_lo, 0xffffff, v107
	v_sub_nc_u32_e32 v105, v108, v109
	v_cndmask_b32_e64 v108, 0, 1, vcc_lo
	v_add_co_ci_u32_e64 v105, null, 0, v105, vcc_lo
	v_lshrrev_b32_e32 v107, v108, v107
; %bb.1324:                             ;   in Loop: Header=BB4_356 Depth=4
	s_andn2_saveexec_b32 s16, s16
; %bb.1325:                             ;   in Loop: Header=BB4_356 Depth=4
	v_bfe_u32 v105, v107, 23, 1
; %bb.1326:                             ;   in Loop: Header=BB4_356 Depth=4
	s_or_b32 exec_lo, exec_lo, s16
	v_lshrrev_b32_e32 v107, 20, v107
	v_min_i32_e32 v108, 15, v105
	v_cmp_gt_i32_e32 vcc_lo, 16, v105
	v_and_b32_sdwa v106, v106, v118 dst_sel:DWORD dst_unused:UNUSED_PAD src0_sel:BYTE_3 src1_sel:DWORD
	v_lshlrev_b32_e32 v108, 3, v108
	v_cndmask_b32_e32 v107, 7, v107, vcc_lo
	v_and_b32_e32 v108, 0xf8, v108
	v_and_b32_e32 v109, 7, v107
	v_or_b32_e32 v105, v105, v107
	v_or3_b32 v106, v108, v106, v109
	v_cmp_ne_u32_e32 vcc_lo, 0, v105
	v_cndmask_b32_e32 v105, 0, v106, vcc_lo
.LBB4_1327:                             ;   in Loop: Header=BB4_356 Depth=4
	s_or_b32 exec_lo, exec_lo, s73
.LBB4_1328:                             ;   in Loop: Header=BB4_356 Depth=4
	s_or_b32 exec_lo, exec_lo, s72
	v_cmp_gt_i16_sdwa s72, v14, v117 src0_sel:BYTE_3 src1_sel:DWORD
	s_andn2_b32 vcc_lo, exec_lo, s63
	s_mov_b32 s16, -1
                                        ; implicit-def: $vgpr106
	s_cbranch_vccnz .LBB4_1342
; %bb.1329:                             ;   in Loop: Header=BB4_356 Depth=4
	s_mov_b32 s16, 0
	s_and_saveexec_b32 s73, s72
	s_xor_b32 s72, exec_lo, s73
	s_cbranch_execz .LBB4_1722
; %bb.1330:                             ;   in Loop: Header=BB4_356 Depth=4
	v_cmp_eq_u16_sdwa s74, v14, v118 src0_sel:BYTE_3 src1_sel:DWORD
	s_mov_b32 s16, -1
	s_and_saveexec_b32 s73, s74
; %bb.1331:                             ;   in Loop: Header=BB4_356 Depth=4
	s_xor_b32 s16, exec_lo, -1
; %bb.1332:                             ;   in Loop: Header=BB4_356 Depth=4
	s_or_b32 exec_lo, exec_lo, s73
	s_and_b32 s16, s16, exec_lo
	s_or_saveexec_b32 s72, s72
	v_mov_b32_e32 v106, 0x7f800001
	s_xor_b32 exec_lo, exec_lo, s72
	s_cbranch_execnz .LBB4_1723
.LBB4_1333:                             ;   in Loop: Header=BB4_356 Depth=4
	s_or_b32 exec_lo, exec_lo, s72
	s_and_saveexec_b32 s72, s16
	s_cbranch_execz .LBB4_1335
.LBB4_1334:                             ;   in Loop: Header=BB4_356 Depth=4
	v_bfe_u32 v106, v14, 24, 3
	v_bfe_u32 v109, v14, 27, 4
	v_ffbh_u32_e32 v107, v106
	v_cmp_eq_u32_e32 vcc_lo, 0, v109
	v_min_u32_e32 v107, 32, v107
	v_subrev_nc_u32_e32 v108, 28, v107
	v_sub_nc_u32_e32 v107, 29, v107
	v_lshlrev_b32_sdwa v108, v108, v14 dst_sel:DWORD dst_unused:UNUSED_PAD src0_sel:DWORD src1_sel:BYTE_3
	v_cndmask_b32_e32 v107, v109, v107, vcc_lo
	v_and_b32_e32 v108, 7, v108
	v_lshl_add_u32 v107, v107, 23, 0x3b800000
	v_cndmask_b32_e32 v106, v106, v108, vcc_lo
	v_and_b32_e32 v108, 0x80000000, v14
	v_lshlrev_b32_e32 v106, 20, v106
	v_or3_b32 v106, v108, v107, v106
.LBB4_1335:                             ;   in Loop: Header=BB4_356 Depth=4
	s_or_b32 exec_lo, exec_lo, s72
	v_cmp_gt_i16_sdwa s72, v10, v117 src0_sel:BYTE_3 src1_sel:DWORD
	s_mov_b32 s16, 0
	s_and_saveexec_b32 s73, s72
	s_xor_b32 s72, exec_lo, s73
	s_cbranch_execz .LBB4_1724
; %bb.1336:                             ;   in Loop: Header=BB4_356 Depth=4
	v_cmp_eq_u16_sdwa s74, v10, v118 src0_sel:BYTE_3 src1_sel:DWORD
	s_mov_b32 s16, -1
	s_and_saveexec_b32 s73, s74
; %bb.1337:                             ;   in Loop: Header=BB4_356 Depth=4
	s_xor_b32 s16, exec_lo, -1
; %bb.1338:                             ;   in Loop: Header=BB4_356 Depth=4
	s_or_b32 exec_lo, exec_lo, s73
	s_and_b32 s16, s16, exec_lo
	s_or_saveexec_b32 s72, s72
	v_mov_b32_e32 v107, 0x7f800001
	s_xor_b32 exec_lo, exec_lo, s72
	s_cbranch_execnz .LBB4_1725
.LBB4_1339:                             ;   in Loop: Header=BB4_356 Depth=4
	s_or_b32 exec_lo, exec_lo, s72
	s_and_saveexec_b32 s72, s16
	s_cbranch_execz .LBB4_1341
.LBB4_1340:                             ;   in Loop: Header=BB4_356 Depth=4
	v_bfe_u32 v107, v10, 24, 3
	v_bfe_u32 v110, v10, 27, 4
	v_ffbh_u32_e32 v108, v107
	v_cmp_eq_u32_e32 vcc_lo, 0, v110
	v_min_u32_e32 v108, 32, v108
	v_subrev_nc_u32_e32 v109, 28, v108
	v_sub_nc_u32_e32 v108, 29, v108
	v_lshlrev_b32_sdwa v109, v109, v10 dst_sel:DWORD dst_unused:UNUSED_PAD src0_sel:DWORD src1_sel:BYTE_3
	v_cndmask_b32_e32 v108, v110, v108, vcc_lo
	v_and_b32_e32 v109, 7, v109
	v_lshl_add_u32 v108, v108, 23, 0x3b800000
	v_cndmask_b32_e32 v107, v107, v109, vcc_lo
	v_and_b32_e32 v109, 0x80000000, v10
	v_lshlrev_b32_e32 v107, 20, v107
	v_or3_b32 v107, v109, v108, v107
.LBB4_1341:                             ;   in Loop: Header=BB4_356 Depth=4
	s_or_b32 exec_lo, exec_lo, s72
	v_max_f32_e32 v107, v107, v107
	v_max_f32_e32 v106, v106, v106
	s_mov_b32 s16, 0
	v_max_f32_e32 v106, v106, v107
.LBB4_1342:                             ;   in Loop: Header=BB4_356 Depth=4
	s_and_b32 vcc_lo, exec_lo, s16
	s_cbranch_vccz .LBB4_1356
; %bb.1343:                             ;   in Loop: Header=BB4_356 Depth=4
	v_cmp_gt_i16_sdwa s72, v14, v117 src0_sel:BYTE_3 src1_sel:DWORD
	s_mov_b32 s16, 0
	s_and_saveexec_b32 s73, s72
	s_xor_b32 s72, exec_lo, s73
	s_cbranch_execz .LBB4_1726
; %bb.1344:                             ;   in Loop: Header=BB4_356 Depth=4
	v_cmp_eq_u16_sdwa s74, v14, v118 src0_sel:BYTE_3 src1_sel:DWORD
	s_mov_b32 s16, -1
	s_and_saveexec_b32 s73, s74
; %bb.1345:                             ;   in Loop: Header=BB4_356 Depth=4
	s_xor_b32 s16, exec_lo, -1
; %bb.1346:                             ;   in Loop: Header=BB4_356 Depth=4
	s_or_b32 exec_lo, exec_lo, s73
	s_and_b32 s16, s16, exec_lo
	s_or_saveexec_b32 s72, s72
	v_mov_b32_e32 v106, 0x7f800001
	s_xor_b32 exec_lo, exec_lo, s72
	s_cbranch_execnz .LBB4_1727
.LBB4_1347:                             ;   in Loop: Header=BB4_356 Depth=4
	s_or_b32 exec_lo, exec_lo, s72
	s_and_saveexec_b32 s72, s16
	s_cbranch_execz .LBB4_1349
.LBB4_1348:                             ;   in Loop: Header=BB4_356 Depth=4
	v_bfe_u32 v106, v14, 24, 3
	v_bfe_u32 v109, v14, 27, 4
	v_ffbh_u32_e32 v107, v106
	v_cmp_eq_u32_e32 vcc_lo, 0, v109
	v_min_u32_e32 v107, 32, v107
	v_subrev_nc_u32_e32 v108, 28, v107
	v_sub_nc_u32_e32 v107, 29, v107
	v_lshlrev_b32_sdwa v108, v108, v14 dst_sel:DWORD dst_unused:UNUSED_PAD src0_sel:DWORD src1_sel:BYTE_3
	v_cndmask_b32_e32 v107, v109, v107, vcc_lo
	v_and_b32_e32 v14, 0x80000000, v14
	v_and_b32_e32 v108, 7, v108
	v_lshl_add_u32 v107, v107, 23, 0x3b800000
	v_cndmask_b32_e32 v106, v106, v108, vcc_lo
	v_lshlrev_b32_e32 v106, 20, v106
	v_or3_b32 v106, v14, v107, v106
.LBB4_1349:                             ;   in Loop: Header=BB4_356 Depth=4
	s_or_b32 exec_lo, exec_lo, s72
	v_cmp_gt_i16_sdwa s72, v10, v117 src0_sel:BYTE_3 src1_sel:DWORD
	s_mov_b32 s16, 0
	s_and_saveexec_b32 s73, s72
	s_xor_b32 s72, exec_lo, s73
	s_cbranch_execz .LBB4_1728
; %bb.1350:                             ;   in Loop: Header=BB4_356 Depth=4
	v_cmp_eq_u16_sdwa s74, v10, v118 src0_sel:BYTE_3 src1_sel:DWORD
	s_mov_b32 s16, -1
	s_and_saveexec_b32 s73, s74
; %bb.1351:                             ;   in Loop: Header=BB4_356 Depth=4
	s_xor_b32 s16, exec_lo, -1
; %bb.1352:                             ;   in Loop: Header=BB4_356 Depth=4
	s_or_b32 exec_lo, exec_lo, s73
	s_and_b32 s16, s16, exec_lo
	s_or_saveexec_b32 s72, s72
	v_mov_b32_e32 v14, 0x7f800001
	s_xor_b32 exec_lo, exec_lo, s72
	s_cbranch_execnz .LBB4_1729
.LBB4_1353:                             ;   in Loop: Header=BB4_356 Depth=4
	s_or_b32 exec_lo, exec_lo, s72
	s_and_saveexec_b32 s72, s16
	s_cbranch_execz .LBB4_1355
.LBB4_1354:                             ;   in Loop: Header=BB4_356 Depth=4
	v_bfe_u32 v14, v10, 24, 3
	v_bfe_u32 v109, v10, 27, 4
	v_ffbh_u32_e32 v107, v14
	v_cmp_eq_u32_e32 vcc_lo, 0, v109
	v_min_u32_e32 v107, 32, v107
	v_subrev_nc_u32_e32 v108, 28, v107
	v_sub_nc_u32_e32 v107, 29, v107
	v_lshlrev_b32_sdwa v108, v108, v10 dst_sel:DWORD dst_unused:UNUSED_PAD src0_sel:DWORD src1_sel:BYTE_3
	v_cndmask_b32_e32 v107, v109, v107, vcc_lo
	v_and_b32_e32 v10, 0x80000000, v10
	v_and_b32_e32 v108, 7, v108
	v_lshl_add_u32 v107, v107, 23, 0x3b800000
	v_cndmask_b32_e32 v14, v14, v108, vcc_lo
	v_lshlrev_b32_e32 v14, 20, v14
	v_or3_b32 v14, v10, v107, v14
.LBB4_1355:                             ;   in Loop: Header=BB4_356 Depth=4
	s_or_b32 exec_lo, exec_lo, s72
	v_max_f32_e32 v10, v14, v14
	v_max_f32_e32 v14, v106, v106
	v_min_f32_e32 v106, v14, v10
.LBB4_1356:                             ;   in Loop: Header=BB4_356 Depth=4
	v_and_b32_e32 v10, 0x7f800000, v106
	v_cmp_ne_u32_e32 vcc_lo, 0x7f800000, v10
	v_mov_b32_e32 v10, 0x8000
	s_and_saveexec_b32 s72, vcc_lo
	s_cbranch_execz .LBB4_1364
; %bb.1357:                             ;   in Loop: Header=BB4_356 Depth=4
	v_mov_b32_e32 v10, 0
	s_mov_b32 s73, exec_lo
	v_cmpx_ne_u32_e32 0, v106
	s_cbranch_execz .LBB4_1363
; %bb.1358:                             ;   in Loop: Header=BB4_356 Depth=4
	v_bfe_u32 v10, v106, 23, 8
	v_and_b32_e32 v14, 0x7fffff, v106
	v_sub_nc_u32_e32 v107, 0x78, v10
	v_cmp_gt_u32_e32 vcc_lo, 0x79, v10
	v_or_b32_e32 v108, 0x800000, v14
	v_cndmask_b32_e32 v107, 0, v107, vcc_lo
	v_cmp_eq_u32_e32 vcc_lo, 0, v10
	v_add_nc_u32_e32 v10, 0xffffff89, v10
	v_cndmask_b32_e64 v107, v107, 0x77, vcc_lo
	v_cndmask_b32_e32 v14, v108, v14, vcc_lo
	v_cndmask_b32_e64 v10, v10, 0xffffff8a, vcc_lo
	v_lshl_add_u32 v108, 0x100000, v107, -1
	v_lshrrev_b32_e32 v109, v107, v14
	v_lshlrev_b32_e64 v111, v107, 0x80000
	v_add_nc_u32_e32 v107, v107, v10
	v_and_b32_e32 v14, v108, v14
	v_bfe_u32 v110, v109, 20, 1
	v_cmp_eq_u32_e64 s16, v14, v111
	v_add_nc_u32_e32 v108, -1, v110
	v_cndmask_b32_e64 v14, 0, v108, s16
	v_lshrrev_b32_e32 v108, 23, v109
	s_mov_b32 s16, exec_lo
	v_add_nc_u32_e32 v14, v14, v109
	v_xor_b32_e32 v108, 1, v108
	v_and_b32_e32 v10, 0xfffff, v14
	v_add_nc_u32_e32 v14, v10, v109
                                        ; implicit-def: $vgpr10
	v_cmpx_ne_u32_e64 v107, v108
	s_xor_b32 s16, exec_lo, s16
; %bb.1359:                             ;   in Loop: Header=BB4_356 Depth=4
	v_cmp_lt_u32_e32 vcc_lo, 0xffffff, v14
	v_sub_nc_u32_e32 v10, v107, v108
	v_cndmask_b32_e64 v107, 0, 1, vcc_lo
	v_add_co_ci_u32_e64 v10, null, 0, v10, vcc_lo
	v_lshrrev_b32_e32 v14, v107, v14
; %bb.1360:                             ;   in Loop: Header=BB4_356 Depth=4
	s_andn2_saveexec_b32 s16, s16
; %bb.1361:                             ;   in Loop: Header=BB4_356 Depth=4
	v_bfe_u32 v10, v14, 23, 1
; %bb.1362:                             ;   in Loop: Header=BB4_356 Depth=4
	s_or_b32 exec_lo, exec_lo, s16
	v_lshrrev_b32_e32 v14, 20, v14
	v_min_i32_e32 v107, 15, v10
	v_cmp_gt_i32_e32 vcc_lo, 16, v10
	v_and_b32_sdwa v106, v106, v118 dst_sel:DWORD dst_unused:UNUSED_PAD src0_sel:BYTE_3 src1_sel:DWORD
	v_lshlrev_b32_e32 v107, 3, v107
	v_cndmask_b32_e32 v14, 7, v14, vcc_lo
	v_and_b32_e32 v107, 0xf8, v107
	v_and_b32_e32 v108, 7, v14
	v_or_b32_e32 v10, v10, v14
	v_or3_b32 v106, v106, v107, v108
	v_cmp_ne_u32_e32 vcc_lo, 0, v10
	v_lshlrev_b32_e32 v14, 8, v106
	v_cndmask_b32_e32 v10, 0, v14, vcc_lo
.LBB4_1363:                             ;   in Loop: Header=BB4_356 Depth=4
	s_or_b32 exec_lo, exec_lo, s73
.LBB4_1364:                             ;   in Loop: Header=BB4_356 Depth=4
	s_or_b32 exec_lo, exec_lo, s72
	v_cmp_gt_i16_sdwa s72, v15, v117 src0_sel:BYTE_0 src1_sel:DWORD
	s_andn2_b32 vcc_lo, exec_lo, s63
	s_mov_b32 s16, -1
                                        ; implicit-def: $vgpr106
	s_cbranch_vccnz .LBB4_1378
; %bb.1365:                             ;   in Loop: Header=BB4_356 Depth=4
	s_mov_b32 s16, 0
	s_and_saveexec_b32 s73, s72
	s_xor_b32 s72, exec_lo, s73
	s_cbranch_execz .LBB4_1730
; %bb.1366:                             ;   in Loop: Header=BB4_356 Depth=4
	v_cmp_eq_u16_sdwa s74, v15, v118 src0_sel:BYTE_0 src1_sel:DWORD
	s_mov_b32 s16, -1
	s_and_saveexec_b32 s73, s74
; %bb.1367:                             ;   in Loop: Header=BB4_356 Depth=4
	s_xor_b32 s16, exec_lo, -1
; %bb.1368:                             ;   in Loop: Header=BB4_356 Depth=4
	s_or_b32 exec_lo, exec_lo, s73
	s_and_b32 s16, s16, exec_lo
	s_or_saveexec_b32 s72, s72
	v_mov_b32_e32 v14, 0x7f800001
	s_xor_b32 exec_lo, exec_lo, s72
	s_cbranch_execnz .LBB4_1731
.LBB4_1369:                             ;   in Loop: Header=BB4_356 Depth=4
	s_or_b32 exec_lo, exec_lo, s72
	s_and_saveexec_b32 s72, s16
	s_cbranch_execz .LBB4_1371
.LBB4_1370:                             ;   in Loop: Header=BB4_356 Depth=4
	v_and_b32_e32 v14, 7, v15
	v_bfe_u32 v108, v15, 3, 4
	v_lshlrev_b32_e32 v109, 24, v15
	v_ffbh_u32_e32 v106, v14
	v_cmp_eq_u32_e32 vcc_lo, 0, v108
	v_min_u32_e32 v106, 32, v106
	v_subrev_nc_u32_e32 v107, 28, v106
	v_sub_nc_u32_e32 v106, 29, v106
	v_lshlrev_b32_e32 v107, v107, v15
	v_cndmask_b32_e32 v106, v108, v106, vcc_lo
	v_and_b32_e32 v107, 7, v107
	v_lshl_add_u32 v106, v106, 23, 0x3b800000
	v_cndmask_b32_e32 v14, v14, v107, vcc_lo
	v_and_b32_e32 v107, 0x80000000, v109
	v_lshlrev_b32_e32 v14, 20, v14
	v_or3_b32 v14, v107, v106, v14
.LBB4_1371:                             ;   in Loop: Header=BB4_356 Depth=4
	s_or_b32 exec_lo, exec_lo, s72
	v_cmp_gt_i16_sdwa s72, v11, v117 src0_sel:BYTE_0 src1_sel:DWORD
	s_mov_b32 s16, 0
	s_and_saveexec_b32 s73, s72
	s_xor_b32 s72, exec_lo, s73
	s_cbranch_execz .LBB4_1732
; %bb.1372:                             ;   in Loop: Header=BB4_356 Depth=4
	v_cmp_eq_u16_sdwa s74, v11, v118 src0_sel:BYTE_0 src1_sel:DWORD
	s_mov_b32 s16, -1
	s_and_saveexec_b32 s73, s74
; %bb.1373:                             ;   in Loop: Header=BB4_356 Depth=4
	s_xor_b32 s16, exec_lo, -1
; %bb.1374:                             ;   in Loop: Header=BB4_356 Depth=4
	s_or_b32 exec_lo, exec_lo, s73
	s_and_b32 s16, s16, exec_lo
	s_or_saveexec_b32 s72, s72
	v_mov_b32_e32 v106, 0x7f800001
	s_xor_b32 exec_lo, exec_lo, s72
	s_cbranch_execnz .LBB4_1733
.LBB4_1375:                             ;   in Loop: Header=BB4_356 Depth=4
	s_or_b32 exec_lo, exec_lo, s72
	s_and_saveexec_b32 s72, s16
	s_cbranch_execz .LBB4_1377
.LBB4_1376:                             ;   in Loop: Header=BB4_356 Depth=4
	v_and_b32_e32 v106, 7, v11
	v_bfe_u32 v109, v11, 3, 4
	v_lshlrev_b32_e32 v110, 24, v11
	v_ffbh_u32_e32 v107, v106
	v_cmp_eq_u32_e32 vcc_lo, 0, v109
	v_min_u32_e32 v107, 32, v107
	v_subrev_nc_u32_e32 v108, 28, v107
	v_sub_nc_u32_e32 v107, 29, v107
	v_lshlrev_b32_e32 v108, v108, v11
	v_cndmask_b32_e32 v107, v109, v107, vcc_lo
	v_and_b32_e32 v108, 7, v108
	v_lshl_add_u32 v107, v107, 23, 0x3b800000
	v_cndmask_b32_e32 v106, v106, v108, vcc_lo
	v_and_b32_e32 v108, 0x80000000, v110
	v_lshlrev_b32_e32 v106, 20, v106
	v_or3_b32 v106, v108, v107, v106
.LBB4_1377:                             ;   in Loop: Header=BB4_356 Depth=4
	s_or_b32 exec_lo, exec_lo, s72
	v_max_f32_e32 v106, v106, v106
	v_max_f32_e32 v14, v14, v14
	s_mov_b32 s16, 0
	v_max_f32_e32 v106, v14, v106
.LBB4_1378:                             ;   in Loop: Header=BB4_356 Depth=4
	s_and_b32 vcc_lo, exec_lo, s16
	s_cbranch_vccz .LBB4_1392
; %bb.1379:                             ;   in Loop: Header=BB4_356 Depth=4
	v_cmp_gt_i16_sdwa s72, v15, v117 src0_sel:BYTE_0 src1_sel:DWORD
	s_mov_b32 s16, 0
	s_and_saveexec_b32 s73, s72
	s_xor_b32 s72, exec_lo, s73
	s_cbranch_execz .LBB4_1734
; %bb.1380:                             ;   in Loop: Header=BB4_356 Depth=4
	v_cmp_eq_u16_sdwa s74, v15, v118 src0_sel:BYTE_0 src1_sel:DWORD
	s_mov_b32 s16, -1
	s_and_saveexec_b32 s73, s74
; %bb.1381:                             ;   in Loop: Header=BB4_356 Depth=4
	s_xor_b32 s16, exec_lo, -1
; %bb.1382:                             ;   in Loop: Header=BB4_356 Depth=4
	s_or_b32 exec_lo, exec_lo, s73
	s_and_b32 s16, s16, exec_lo
	s_or_saveexec_b32 s72, s72
	v_mov_b32_e32 v14, 0x7f800001
	s_xor_b32 exec_lo, exec_lo, s72
	s_cbranch_execnz .LBB4_1735
.LBB4_1383:                             ;   in Loop: Header=BB4_356 Depth=4
	s_or_b32 exec_lo, exec_lo, s72
	s_and_saveexec_b32 s72, s16
	s_cbranch_execz .LBB4_1385
.LBB4_1384:                             ;   in Loop: Header=BB4_356 Depth=4
	v_and_b32_e32 v14, 7, v15
	v_bfe_u32 v108, v15, 3, 4
	v_lshlrev_b32_e32 v109, 24, v15
	v_ffbh_u32_e32 v106, v14
	v_cmp_eq_u32_e32 vcc_lo, 0, v108
	v_min_u32_e32 v106, 32, v106
	v_subrev_nc_u32_e32 v107, 28, v106
	v_sub_nc_u32_e32 v106, 29, v106
	v_lshlrev_b32_e32 v107, v107, v15
	v_cndmask_b32_e32 v106, v108, v106, vcc_lo
	v_and_b32_e32 v107, 7, v107
	v_lshl_add_u32 v106, v106, 23, 0x3b800000
	v_cndmask_b32_e32 v14, v14, v107, vcc_lo
	v_and_b32_e32 v107, 0x80000000, v109
	v_lshlrev_b32_e32 v14, 20, v14
	v_or3_b32 v14, v107, v106, v14
.LBB4_1385:                             ;   in Loop: Header=BB4_356 Depth=4
	s_or_b32 exec_lo, exec_lo, s72
	v_cmp_gt_i16_sdwa s72, v11, v117 src0_sel:BYTE_0 src1_sel:DWORD
	s_mov_b32 s16, 0
	s_and_saveexec_b32 s73, s72
	s_xor_b32 s72, exec_lo, s73
	s_cbranch_execz .LBB4_1736
; %bb.1386:                             ;   in Loop: Header=BB4_356 Depth=4
	v_cmp_eq_u16_sdwa s74, v11, v118 src0_sel:BYTE_0 src1_sel:DWORD
	s_mov_b32 s16, -1
	s_and_saveexec_b32 s73, s74
; %bb.1387:                             ;   in Loop: Header=BB4_356 Depth=4
	s_xor_b32 s16, exec_lo, -1
; %bb.1388:                             ;   in Loop: Header=BB4_356 Depth=4
	s_or_b32 exec_lo, exec_lo, s73
	s_and_b32 s16, s16, exec_lo
	s_or_saveexec_b32 s72, s72
	v_mov_b32_e32 v106, 0x7f800001
	s_xor_b32 exec_lo, exec_lo, s72
	s_cbranch_execnz .LBB4_1737
.LBB4_1389:                             ;   in Loop: Header=BB4_356 Depth=4
	s_or_b32 exec_lo, exec_lo, s72
	s_and_saveexec_b32 s72, s16
	s_cbranch_execz .LBB4_1391
.LBB4_1390:                             ;   in Loop: Header=BB4_356 Depth=4
	v_and_b32_e32 v106, 7, v11
	v_bfe_u32 v109, v11, 3, 4
	v_lshlrev_b32_e32 v110, 24, v11
	v_ffbh_u32_e32 v107, v106
	v_cmp_eq_u32_e32 vcc_lo, 0, v109
	v_min_u32_e32 v107, 32, v107
	v_subrev_nc_u32_e32 v108, 28, v107
	v_sub_nc_u32_e32 v107, 29, v107
	v_lshlrev_b32_e32 v108, v108, v11
	v_cndmask_b32_e32 v107, v109, v107, vcc_lo
	v_and_b32_e32 v108, 7, v108
	v_lshl_add_u32 v107, v107, 23, 0x3b800000
	v_cndmask_b32_e32 v106, v106, v108, vcc_lo
	v_and_b32_e32 v108, 0x80000000, v110
	v_lshlrev_b32_e32 v106, 20, v106
	v_or3_b32 v106, v108, v107, v106
.LBB4_1391:                             ;   in Loop: Header=BB4_356 Depth=4
	s_or_b32 exec_lo, exec_lo, s72
	v_max_f32_e32 v106, v106, v106
	v_max_f32_e32 v14, v14, v14
	v_min_f32_e32 v106, v14, v106
.LBB4_1392:                             ;   in Loop: Header=BB4_356 Depth=4
	v_and_b32_e32 v14, 0x7f800000, v106
	v_cmp_ne_u32_e32 vcc_lo, 0x7f800000, v14
	v_mov_b32_e32 v14, 0x80
	s_and_saveexec_b32 s72, vcc_lo
	s_cbranch_execz .LBB4_1400
; %bb.1393:                             ;   in Loop: Header=BB4_356 Depth=4
	v_mov_b32_e32 v14, 0
	s_mov_b32 s73, exec_lo
	v_cmpx_ne_u32_e32 0, v106
	s_cbranch_execz .LBB4_1399
; %bb.1394:                             ;   in Loop: Header=BB4_356 Depth=4
	v_bfe_u32 v14, v106, 23, 8
	v_and_b32_e32 v107, 0x7fffff, v106
	v_sub_nc_u32_e32 v108, 0x78, v14
	v_cmp_gt_u32_e32 vcc_lo, 0x79, v14
	v_or_b32_e32 v109, 0x800000, v107
	v_cndmask_b32_e32 v108, 0, v108, vcc_lo
	v_cmp_eq_u32_e32 vcc_lo, 0, v14
	v_add_nc_u32_e32 v14, 0xffffff89, v14
	v_cndmask_b32_e64 v108, v108, 0x77, vcc_lo
	v_cndmask_b32_e32 v107, v109, v107, vcc_lo
	v_cndmask_b32_e64 v14, v14, 0xffffff8a, vcc_lo
	v_lshl_add_u32 v109, 0x100000, v108, -1
	v_lshrrev_b32_e32 v110, v108, v107
	v_lshlrev_b32_e64 v120, v108, 0x80000
	v_add_nc_u32_e32 v108, v108, v14
	v_and_b32_e32 v107, v109, v107
	v_bfe_u32 v111, v110, 20, 1
	v_cmp_eq_u32_e64 s16, v107, v120
	v_add_nc_u32_e32 v109, -1, v111
	v_cndmask_b32_e64 v107, 0, v109, s16
	v_lshrrev_b32_e32 v109, 23, v110
	s_mov_b32 s16, exec_lo
	v_add_nc_u32_e32 v107, v107, v110
	v_xor_b32_e32 v109, 1, v109
	v_and_b32_e32 v14, 0xfffff, v107
	v_add_nc_u32_e32 v107, v14, v110
                                        ; implicit-def: $vgpr14
	v_cmpx_ne_u32_e64 v108, v109
	s_xor_b32 s16, exec_lo, s16
; %bb.1395:                             ;   in Loop: Header=BB4_356 Depth=4
	v_cmp_lt_u32_e32 vcc_lo, 0xffffff, v107
	v_sub_nc_u32_e32 v14, v108, v109
	v_cndmask_b32_e64 v108, 0, 1, vcc_lo
	v_add_co_ci_u32_e64 v14, null, 0, v14, vcc_lo
	v_lshrrev_b32_e32 v107, v108, v107
; %bb.1396:                             ;   in Loop: Header=BB4_356 Depth=4
	s_andn2_saveexec_b32 s16, s16
; %bb.1397:                             ;   in Loop: Header=BB4_356 Depth=4
	v_bfe_u32 v14, v107, 23, 1
; %bb.1398:                             ;   in Loop: Header=BB4_356 Depth=4
	s_or_b32 exec_lo, exec_lo, s16
	v_lshrrev_b32_e32 v107, 20, v107
	v_min_i32_e32 v108, 15, v14
	v_cmp_gt_i32_e32 vcc_lo, 16, v14
	v_and_b32_sdwa v106, v106, v118 dst_sel:DWORD dst_unused:UNUSED_PAD src0_sel:BYTE_3 src1_sel:DWORD
	v_lshlrev_b32_e32 v108, 3, v108
	v_cndmask_b32_e32 v107, 7, v107, vcc_lo
	v_and_b32_e32 v108, 0xf8, v108
	v_and_b32_e32 v109, 7, v107
	v_or_b32_e32 v14, v14, v107
	v_or3_b32 v106, v108, v106, v109
	v_cmp_ne_u32_e32 vcc_lo, 0, v14
	v_cndmask_b32_e32 v14, 0, v106, vcc_lo
.LBB4_1399:                             ;   in Loop: Header=BB4_356 Depth=4
	s_or_b32 exec_lo, exec_lo, s73
.LBB4_1400:                             ;   in Loop: Header=BB4_356 Depth=4
	s_or_b32 exec_lo, exec_lo, s72
	v_cmp_gt_i16_sdwa s72, v15, v117 src0_sel:BYTE_1 src1_sel:DWORD
	s_andn2_b32 vcc_lo, exec_lo, s63
	s_mov_b32 s16, -1
                                        ; implicit-def: $vgpr107
	s_cbranch_vccnz .LBB4_1414
; %bb.1401:                             ;   in Loop: Header=BB4_356 Depth=4
	s_mov_b32 s16, 0
	s_and_saveexec_b32 s73, s72
	s_xor_b32 s72, exec_lo, s73
	s_cbranch_execz .LBB4_1738
; %bb.1402:                             ;   in Loop: Header=BB4_356 Depth=4
	v_cmp_eq_u16_sdwa s74, v15, v118 src0_sel:BYTE_1 src1_sel:DWORD
	s_mov_b32 s16, -1
	s_and_saveexec_b32 s73, s74
; %bb.1403:                             ;   in Loop: Header=BB4_356 Depth=4
	s_xor_b32 s16, exec_lo, -1
; %bb.1404:                             ;   in Loop: Header=BB4_356 Depth=4
	s_or_b32 exec_lo, exec_lo, s73
	s_and_b32 s16, s16, exec_lo
	s_or_saveexec_b32 s72, s72
	v_mov_b32_e32 v106, 0x7f800001
	s_xor_b32 exec_lo, exec_lo, s72
	s_cbranch_execnz .LBB4_1739
.LBB4_1405:                             ;   in Loop: Header=BB4_356 Depth=4
	s_or_b32 exec_lo, exec_lo, s72
	s_and_saveexec_b32 s72, s16
	s_cbranch_execz .LBB4_1407
.LBB4_1406:                             ;   in Loop: Header=BB4_356 Depth=4
	v_and_b32_sdwa v106, v119, v15 dst_sel:DWORD dst_unused:UNUSED_PAD src0_sel:DWORD src1_sel:BYTE_1
	v_and_b32_e32 v107, 7, v106
	v_bfe_u32 v110, v106, 3, 4
	v_ffbh_u32_e32 v108, v107
	v_cmp_eq_u32_e32 vcc_lo, 0, v110
	v_min_u32_e32 v108, 32, v108
	v_subrev_nc_u32_e32 v109, 28, v108
	v_sub_nc_u32_e32 v108, 29, v108
	v_lshlrev_b32_e32 v106, v109, v106
	v_lshlrev_b32_e32 v109, 16, v15
	v_cndmask_b32_e32 v108, v110, v108, vcc_lo
	v_and_b32_e32 v106, 7, v106
	v_lshl_add_u32 v108, v108, 23, 0x3b800000
	v_cndmask_b32_e32 v106, v107, v106, vcc_lo
	v_and_b32_e32 v107, 0x80000000, v109
	v_lshlrev_b32_e32 v106, 20, v106
	v_or3_b32 v106, v107, v108, v106
.LBB4_1407:                             ;   in Loop: Header=BB4_356 Depth=4
	s_or_b32 exec_lo, exec_lo, s72
	v_cmp_gt_i16_sdwa s72, v11, v117 src0_sel:BYTE_1 src1_sel:DWORD
	s_mov_b32 s16, 0
	s_and_saveexec_b32 s73, s72
	s_xor_b32 s72, exec_lo, s73
	s_cbranch_execz .LBB4_1740
; %bb.1408:                             ;   in Loop: Header=BB4_356 Depth=4
	v_cmp_eq_u16_sdwa s74, v11, v118 src0_sel:BYTE_1 src1_sel:DWORD
	s_mov_b32 s16, -1
	s_and_saveexec_b32 s73, s74
; %bb.1409:                             ;   in Loop: Header=BB4_356 Depth=4
	s_xor_b32 s16, exec_lo, -1
; %bb.1410:                             ;   in Loop: Header=BB4_356 Depth=4
	s_or_b32 exec_lo, exec_lo, s73
	s_and_b32 s16, s16, exec_lo
	s_or_saveexec_b32 s72, s72
	v_mov_b32_e32 v107, 0x7f800001
	s_xor_b32 exec_lo, exec_lo, s72
	s_cbranch_execnz .LBB4_1741
.LBB4_1411:                             ;   in Loop: Header=BB4_356 Depth=4
	s_or_b32 exec_lo, exec_lo, s72
	s_and_saveexec_b32 s72, s16
	s_cbranch_execz .LBB4_1413
.LBB4_1412:                             ;   in Loop: Header=BB4_356 Depth=4
	v_and_b32_sdwa v107, v119, v11 dst_sel:DWORD dst_unused:UNUSED_PAD src0_sel:DWORD src1_sel:BYTE_1
	v_and_b32_e32 v108, 7, v107
	v_bfe_u32 v111, v107, 3, 4
	v_ffbh_u32_e32 v109, v108
	v_cmp_eq_u32_e32 vcc_lo, 0, v111
	v_min_u32_e32 v109, 32, v109
	v_subrev_nc_u32_e32 v110, 28, v109
	v_sub_nc_u32_e32 v109, 29, v109
	v_lshlrev_b32_e32 v107, v110, v107
	v_lshlrev_b32_e32 v110, 16, v11
	v_cndmask_b32_e32 v109, v111, v109, vcc_lo
	v_and_b32_e32 v107, 7, v107
	v_lshl_add_u32 v109, v109, 23, 0x3b800000
	v_cndmask_b32_e32 v107, v108, v107, vcc_lo
	v_and_b32_e32 v108, 0x80000000, v110
	v_lshlrev_b32_e32 v107, 20, v107
	v_or3_b32 v107, v108, v109, v107
.LBB4_1413:                             ;   in Loop: Header=BB4_356 Depth=4
	s_or_b32 exec_lo, exec_lo, s72
	v_max_f32_e32 v107, v107, v107
	v_max_f32_e32 v106, v106, v106
	s_mov_b32 s16, 0
	v_max_f32_e32 v107, v106, v107
.LBB4_1414:                             ;   in Loop: Header=BB4_356 Depth=4
	s_and_b32 vcc_lo, exec_lo, s16
	s_cbranch_vccz .LBB4_1428
; %bb.1415:                             ;   in Loop: Header=BB4_356 Depth=4
	v_cmp_gt_i16_sdwa s72, v15, v117 src0_sel:BYTE_1 src1_sel:DWORD
	s_mov_b32 s16, 0
	s_and_saveexec_b32 s73, s72
	s_xor_b32 s72, exec_lo, s73
	s_cbranch_execz .LBB4_1742
; %bb.1416:                             ;   in Loop: Header=BB4_356 Depth=4
	v_cmp_eq_u16_sdwa s74, v15, v118 src0_sel:BYTE_1 src1_sel:DWORD
	s_mov_b32 s16, -1
	s_and_saveexec_b32 s73, s74
; %bb.1417:                             ;   in Loop: Header=BB4_356 Depth=4
	s_xor_b32 s16, exec_lo, -1
; %bb.1418:                             ;   in Loop: Header=BB4_356 Depth=4
	s_or_b32 exec_lo, exec_lo, s73
	s_and_b32 s16, s16, exec_lo
	s_or_saveexec_b32 s72, s72
	v_mov_b32_e32 v106, 0x7f800001
	s_xor_b32 exec_lo, exec_lo, s72
	s_cbranch_execnz .LBB4_1743
.LBB4_1419:                             ;   in Loop: Header=BB4_356 Depth=4
	s_or_b32 exec_lo, exec_lo, s72
	s_and_saveexec_b32 s72, s16
	s_cbranch_execz .LBB4_1421
.LBB4_1420:                             ;   in Loop: Header=BB4_356 Depth=4
	v_and_b32_sdwa v106, v119, v15 dst_sel:DWORD dst_unused:UNUSED_PAD src0_sel:DWORD src1_sel:BYTE_1
	v_and_b32_e32 v107, 7, v106
	v_bfe_u32 v110, v106, 3, 4
	v_ffbh_u32_e32 v108, v107
	v_cmp_eq_u32_e32 vcc_lo, 0, v110
	v_min_u32_e32 v108, 32, v108
	v_subrev_nc_u32_e32 v109, 28, v108
	v_sub_nc_u32_e32 v108, 29, v108
	v_lshlrev_b32_e32 v106, v109, v106
	v_lshlrev_b32_e32 v109, 16, v15
	v_cndmask_b32_e32 v108, v110, v108, vcc_lo
	v_and_b32_e32 v106, 7, v106
	v_lshl_add_u32 v108, v108, 23, 0x3b800000
	v_cndmask_b32_e32 v106, v107, v106, vcc_lo
	v_and_b32_e32 v107, 0x80000000, v109
	v_lshlrev_b32_e32 v106, 20, v106
	v_or3_b32 v106, v107, v108, v106
.LBB4_1421:                             ;   in Loop: Header=BB4_356 Depth=4
	s_or_b32 exec_lo, exec_lo, s72
	v_cmp_gt_i16_sdwa s72, v11, v117 src0_sel:BYTE_1 src1_sel:DWORD
	s_mov_b32 s16, 0
	s_and_saveexec_b32 s73, s72
	s_xor_b32 s72, exec_lo, s73
	s_cbranch_execz .LBB4_1744
; %bb.1422:                             ;   in Loop: Header=BB4_356 Depth=4
	v_cmp_eq_u16_sdwa s74, v11, v118 src0_sel:BYTE_1 src1_sel:DWORD
	s_mov_b32 s16, -1
	s_and_saveexec_b32 s73, s74
; %bb.1423:                             ;   in Loop: Header=BB4_356 Depth=4
	s_xor_b32 s16, exec_lo, -1
; %bb.1424:                             ;   in Loop: Header=BB4_356 Depth=4
	s_or_b32 exec_lo, exec_lo, s73
	s_and_b32 s16, s16, exec_lo
	s_or_saveexec_b32 s72, s72
	v_mov_b32_e32 v107, 0x7f800001
	s_xor_b32 exec_lo, exec_lo, s72
	s_cbranch_execnz .LBB4_1745
.LBB4_1425:                             ;   in Loop: Header=BB4_356 Depth=4
	s_or_b32 exec_lo, exec_lo, s72
	s_and_saveexec_b32 s72, s16
	s_cbranch_execz .LBB4_1427
.LBB4_1426:                             ;   in Loop: Header=BB4_356 Depth=4
	v_and_b32_sdwa v107, v119, v11 dst_sel:DWORD dst_unused:UNUSED_PAD src0_sel:DWORD src1_sel:BYTE_1
	v_and_b32_e32 v108, 7, v107
	v_bfe_u32 v111, v107, 3, 4
	v_ffbh_u32_e32 v109, v108
	v_cmp_eq_u32_e32 vcc_lo, 0, v111
	v_min_u32_e32 v109, 32, v109
	v_subrev_nc_u32_e32 v110, 28, v109
	v_sub_nc_u32_e32 v109, 29, v109
	v_lshlrev_b32_e32 v107, v110, v107
	v_lshlrev_b32_e32 v110, 16, v11
	v_cndmask_b32_e32 v109, v111, v109, vcc_lo
	v_and_b32_e32 v107, 7, v107
	v_lshl_add_u32 v109, v109, 23, 0x3b800000
	v_cndmask_b32_e32 v107, v108, v107, vcc_lo
	v_and_b32_e32 v108, 0x80000000, v110
	v_lshlrev_b32_e32 v107, 20, v107
	v_or3_b32 v107, v108, v109, v107
.LBB4_1427:                             ;   in Loop: Header=BB4_356 Depth=4
	s_or_b32 exec_lo, exec_lo, s72
	v_max_f32_e32 v107, v107, v107
	v_max_f32_e32 v106, v106, v106
	v_min_f32_e32 v107, v106, v107
.LBB4_1428:                             ;   in Loop: Header=BB4_356 Depth=4
	v_and_b32_e32 v106, 0x7f800000, v107
	v_cmp_ne_u32_e32 vcc_lo, 0x7f800000, v106
	v_mov_b32_e32 v106, 0x8000
	s_and_saveexec_b32 s72, vcc_lo
	s_cbranch_execz .LBB4_1436
; %bb.1429:                             ;   in Loop: Header=BB4_356 Depth=4
	v_mov_b32_e32 v106, 0
	s_mov_b32 s73, exec_lo
	v_cmpx_ne_u32_e32 0, v107
	s_cbranch_execz .LBB4_1435
; %bb.1430:                             ;   in Loop: Header=BB4_356 Depth=4
	v_bfe_u32 v106, v107, 23, 8
	v_and_b32_e32 v108, 0x7fffff, v107
	v_sub_nc_u32_e32 v109, 0x78, v106
	v_cmp_gt_u32_e32 vcc_lo, 0x79, v106
	v_or_b32_e32 v110, 0x800000, v108
	v_cndmask_b32_e32 v109, 0, v109, vcc_lo
	v_cmp_eq_u32_e32 vcc_lo, 0, v106
	v_add_nc_u32_e32 v106, 0xffffff89, v106
	v_cndmask_b32_e64 v109, v109, 0x77, vcc_lo
	v_cndmask_b32_e32 v108, v110, v108, vcc_lo
	v_cndmask_b32_e64 v106, v106, 0xffffff8a, vcc_lo
	v_lshl_add_u32 v110, 0x100000, v109, -1
	v_lshrrev_b32_e32 v111, v109, v108
	v_lshlrev_b32_e64 v121, v109, 0x80000
	v_add_nc_u32_e32 v109, v109, v106
	v_and_b32_e32 v108, v110, v108
	v_bfe_u32 v120, v111, 20, 1
	v_cmp_eq_u32_e64 s16, v108, v121
	v_add_nc_u32_e32 v110, -1, v120
	v_cndmask_b32_e64 v108, 0, v110, s16
	v_lshrrev_b32_e32 v110, 23, v111
	s_mov_b32 s16, exec_lo
	v_add_nc_u32_e32 v108, v108, v111
	v_xor_b32_e32 v110, 1, v110
	v_and_b32_e32 v106, 0xfffff, v108
	v_add_nc_u32_e32 v108, v106, v111
                                        ; implicit-def: $vgpr106
	v_cmpx_ne_u32_e64 v109, v110
	s_xor_b32 s16, exec_lo, s16
; %bb.1431:                             ;   in Loop: Header=BB4_356 Depth=4
	v_cmp_lt_u32_e32 vcc_lo, 0xffffff, v108
	v_sub_nc_u32_e32 v106, v109, v110
	v_cndmask_b32_e64 v109, 0, 1, vcc_lo
	v_add_co_ci_u32_e64 v106, null, 0, v106, vcc_lo
	v_lshrrev_b32_e32 v108, v109, v108
; %bb.1432:                             ;   in Loop: Header=BB4_356 Depth=4
	s_andn2_saveexec_b32 s16, s16
; %bb.1433:                             ;   in Loop: Header=BB4_356 Depth=4
	v_bfe_u32 v106, v108, 23, 1
; %bb.1434:                             ;   in Loop: Header=BB4_356 Depth=4
	s_or_b32 exec_lo, exec_lo, s16
	v_lshrrev_b32_e32 v108, 20, v108
	v_min_i32_e32 v109, 15, v106
	v_cmp_gt_i32_e32 vcc_lo, 16, v106
	v_and_b32_sdwa v107, v107, v118 dst_sel:DWORD dst_unused:UNUSED_PAD src0_sel:BYTE_3 src1_sel:DWORD
	v_lshlrev_b32_e32 v109, 3, v109
	v_cndmask_b32_e32 v108, 7, v108, vcc_lo
	v_and_b32_e32 v109, 0xf8, v109
	v_and_b32_e32 v110, 7, v108
	v_or_b32_e32 v106, v106, v108
	v_or3_b32 v107, v107, v109, v110
	v_cmp_ne_u32_e32 vcc_lo, 0, v106
	v_lshlrev_b32_e32 v107, 8, v107
	v_cndmask_b32_e32 v106, 0, v107, vcc_lo
.LBB4_1435:                             ;   in Loop: Header=BB4_356 Depth=4
	s_or_b32 exec_lo, exec_lo, s73
.LBB4_1436:                             ;   in Loop: Header=BB4_356 Depth=4
	s_or_b32 exec_lo, exec_lo, s72
	v_and_b32_sdwa v107, v15, v40 dst_sel:DWORD dst_unused:UNUSED_PAD src0_sel:WORD_1 src1_sel:DWORD
	s_andn2_b32 vcc_lo, exec_lo, s63
	s_mov_b32 s72, -1
                                        ; implicit-def: $vgpr108
	v_cmp_lt_i16_e64 s16, 0x7f, v107
	s_cbranch_vccnz .LBB4_1450
; %bb.1437:                             ;   in Loop: Header=BB4_356 Depth=4
	s_mov_b32 s72, 0
	s_and_saveexec_b32 s73, s16
	s_xor_b32 s16, exec_lo, s73
	s_cbranch_execz .LBB4_1746
; %bb.1438:                             ;   in Loop: Header=BB4_356 Depth=4
	s_mov_b32 s72, -1
	s_mov_b32 s73, exec_lo
	v_cmpx_eq_u16_e32 0x80, v107
; %bb.1439:                             ;   in Loop: Header=BB4_356 Depth=4
	s_xor_b32 s72, exec_lo, -1
; %bb.1440:                             ;   in Loop: Header=BB4_356 Depth=4
	s_or_b32 exec_lo, exec_lo, s73
	s_and_b32 s72, s72, exec_lo
	s_or_saveexec_b32 s16, s16
	v_mov_b32_e32 v108, 0x7f800001
	s_xor_b32 exec_lo, exec_lo, s16
	s_cbranch_execnz .LBB4_1747
.LBB4_1441:                             ;   in Loop: Header=BB4_356 Depth=4
	s_or_b32 exec_lo, exec_lo, s16
	s_and_saveexec_b32 s16, s72
	s_cbranch_execz .LBB4_1443
.LBB4_1442:                             ;   in Loop: Header=BB4_356 Depth=4
	v_bfe_u32 v108, v15, 16, 3
	v_bfe_u32 v111, v15, 19, 4
	v_lshlrev_b32_sdwa v120, v41, v15 dst_sel:DWORD dst_unused:UNUSED_PAD src0_sel:DWORD src1_sel:WORD_1
	v_ffbh_u32_e32 v109, v108
	v_cmp_eq_u32_e32 vcc_lo, 0, v111
	v_min_u32_e32 v109, 32, v109
	v_subrev_nc_u32_e32 v110, 28, v109
	v_sub_nc_u32_e32 v109, 29, v109
	v_lshlrev_b32_sdwa v110, v110, v15 dst_sel:DWORD dst_unused:UNUSED_PAD src0_sel:DWORD src1_sel:WORD_1
	v_cndmask_b32_e32 v109, v111, v109, vcc_lo
	v_and_b32_e32 v110, 7, v110
	v_lshl_add_u32 v109, v109, 23, 0x3b800000
	v_cndmask_b32_e32 v108, v108, v110, vcc_lo
	v_and_b32_e32 v110, 0x80000000, v120
	v_lshlrev_b32_e32 v108, 20, v108
	v_or3_b32 v108, v110, v109, v108
.LBB4_1443:                             ;   in Loop: Header=BB4_356 Depth=4
	s_or_b32 exec_lo, exec_lo, s16
	v_and_b32_sdwa v110, v11, v40 dst_sel:DWORD dst_unused:UNUSED_PAD src0_sel:WORD_1 src1_sel:DWORD
	s_mov_b32 s16, 0
	s_mov_b32 s72, exec_lo
	v_cmpx_lt_i16_e32 0x7f, v110
	s_xor_b32 s72, exec_lo, s72
	s_cbranch_execz .LBB4_1748
; %bb.1444:                             ;   in Loop: Header=BB4_356 Depth=4
	s_mov_b32 s16, -1
	s_mov_b32 s73, exec_lo
	v_cmpx_eq_u16_e32 0x80, v110
; %bb.1445:                             ;   in Loop: Header=BB4_356 Depth=4
	s_xor_b32 s16, exec_lo, -1
; %bb.1446:                             ;   in Loop: Header=BB4_356 Depth=4
	s_or_b32 exec_lo, exec_lo, s73
	s_and_b32 s16, s16, exec_lo
                                        ; implicit-def: $vgpr110
	s_or_saveexec_b32 s72, s72
	v_mov_b32_e32 v109, 0x7f800001
	s_xor_b32 exec_lo, exec_lo, s72
	s_cbranch_execnz .LBB4_1749
.LBB4_1447:                             ;   in Loop: Header=BB4_356 Depth=4
	s_or_b32 exec_lo, exec_lo, s72
	s_and_saveexec_b32 s72, s16
	s_cbranch_execz .LBB4_1449
.LBB4_1448:                             ;   in Loop: Header=BB4_356 Depth=4
	v_bfe_u32 v109, v11, 16, 3
	v_bfe_u32 v120, v11, 19, 4
	v_lshlrev_b32_sdwa v121, v41, v11 dst_sel:DWORD dst_unused:UNUSED_PAD src0_sel:DWORD src1_sel:WORD_1
	v_ffbh_u32_e32 v110, v109
	v_cmp_eq_u32_e32 vcc_lo, 0, v120
	v_min_u32_e32 v110, 32, v110
	v_subrev_nc_u32_e32 v111, 28, v110
	v_sub_nc_u32_e32 v110, 29, v110
	v_lshlrev_b32_sdwa v111, v111, v11 dst_sel:DWORD dst_unused:UNUSED_PAD src0_sel:DWORD src1_sel:WORD_1
	v_cndmask_b32_e32 v110, v120, v110, vcc_lo
	v_and_b32_e32 v111, 7, v111
	v_lshl_add_u32 v110, v110, 23, 0x3b800000
	v_cndmask_b32_e32 v109, v109, v111, vcc_lo
	v_and_b32_e32 v111, 0x80000000, v121
	v_lshlrev_b32_e32 v109, 20, v109
	v_or3_b32 v109, v111, v110, v109
.LBB4_1449:                             ;   in Loop: Header=BB4_356 Depth=4
	s_or_b32 exec_lo, exec_lo, s72
	v_max_f32_e32 v109, v109, v109
	v_max_f32_e32 v108, v108, v108
	s_mov_b32 s72, 0
	v_max_f32_e32 v108, v108, v109
.LBB4_1450:                             ;   in Loop: Header=BB4_356 Depth=4
	s_and_b32 vcc_lo, exec_lo, s72
	s_cbranch_vccz .LBB4_1464
; %bb.1451:                             ;   in Loop: Header=BB4_356 Depth=4
	s_mov_b32 s16, 0
	s_mov_b32 s72, exec_lo
	v_cmpx_lt_i16_e32 0x7f, v107
	s_xor_b32 s72, exec_lo, s72
	s_cbranch_execz .LBB4_1750
; %bb.1452:                             ;   in Loop: Header=BB4_356 Depth=4
	s_mov_b32 s16, -1
	s_mov_b32 s73, exec_lo
	v_cmpx_eq_u16_e32 0x80, v107
; %bb.1453:                             ;   in Loop: Header=BB4_356 Depth=4
	s_xor_b32 s16, exec_lo, -1
; %bb.1454:                             ;   in Loop: Header=BB4_356 Depth=4
	s_or_b32 exec_lo, exec_lo, s73
	s_and_b32 s16, s16, exec_lo
                                        ; implicit-def: $vgpr107
	s_or_saveexec_b32 s72, s72
	v_mov_b32_e32 v108, 0x7f800001
	s_xor_b32 exec_lo, exec_lo, s72
	s_cbranch_execnz .LBB4_1751
.LBB4_1455:                             ;   in Loop: Header=BB4_356 Depth=4
	s_or_b32 exec_lo, exec_lo, s72
	s_and_saveexec_b32 s72, s16
	s_cbranch_execz .LBB4_1457
.LBB4_1456:                             ;   in Loop: Header=BB4_356 Depth=4
	v_bfe_u32 v107, v15, 16, 3
	v_bfe_u32 v110, v15, 19, 4
	v_lshlrev_b32_sdwa v111, v41, v15 dst_sel:DWORD dst_unused:UNUSED_PAD src0_sel:DWORD src1_sel:WORD_1
	v_ffbh_u32_e32 v108, v107
	v_cmp_eq_u32_e32 vcc_lo, 0, v110
	v_min_u32_e32 v108, 32, v108
	v_subrev_nc_u32_e32 v109, 28, v108
	v_sub_nc_u32_e32 v108, 29, v108
	v_lshlrev_b32_sdwa v109, v109, v15 dst_sel:DWORD dst_unused:UNUSED_PAD src0_sel:DWORD src1_sel:WORD_1
	v_cndmask_b32_e32 v108, v110, v108, vcc_lo
	v_and_b32_e32 v109, 7, v109
	v_lshl_add_u32 v108, v108, 23, 0x3b800000
	v_cndmask_b32_e32 v107, v107, v109, vcc_lo
	v_and_b32_e32 v109, 0x80000000, v111
	v_lshlrev_b32_e32 v107, 20, v107
	v_or3_b32 v108, v109, v108, v107
.LBB4_1457:                             ;   in Loop: Header=BB4_356 Depth=4
	s_or_b32 exec_lo, exec_lo, s72
	v_and_b32_sdwa v109, v11, v40 dst_sel:DWORD dst_unused:UNUSED_PAD src0_sel:WORD_1 src1_sel:DWORD
	s_mov_b32 s16, 0
	s_mov_b32 s72, exec_lo
	v_cmpx_lt_i16_e32 0x7f, v109
	s_xor_b32 s72, exec_lo, s72
	s_cbranch_execz .LBB4_1752
; %bb.1458:                             ;   in Loop: Header=BB4_356 Depth=4
	s_mov_b32 s16, -1
	s_mov_b32 s73, exec_lo
	v_cmpx_eq_u16_e32 0x80, v109
; %bb.1459:                             ;   in Loop: Header=BB4_356 Depth=4
	s_xor_b32 s16, exec_lo, -1
; %bb.1460:                             ;   in Loop: Header=BB4_356 Depth=4
	s_or_b32 exec_lo, exec_lo, s73
	s_and_b32 s16, s16, exec_lo
                                        ; implicit-def: $vgpr109
	s_or_saveexec_b32 s72, s72
	v_mov_b32_e32 v107, 0x7f800001
	s_xor_b32 exec_lo, exec_lo, s72
	s_cbranch_execnz .LBB4_1753
.LBB4_1461:                             ;   in Loop: Header=BB4_356 Depth=4
	s_or_b32 exec_lo, exec_lo, s72
	s_and_saveexec_b32 s72, s16
	s_cbranch_execz .LBB4_1463
.LBB4_1462:                             ;   in Loop: Header=BB4_356 Depth=4
	v_bfe_u32 v107, v11, 16, 3
	v_bfe_u32 v111, v11, 19, 4
	v_lshlrev_b32_sdwa v120, v41, v11 dst_sel:DWORD dst_unused:UNUSED_PAD src0_sel:DWORD src1_sel:WORD_1
	v_ffbh_u32_e32 v109, v107
	v_cmp_eq_u32_e32 vcc_lo, 0, v111
	v_min_u32_e32 v109, 32, v109
	v_subrev_nc_u32_e32 v110, 28, v109
	v_sub_nc_u32_e32 v109, 29, v109
	v_lshlrev_b32_sdwa v110, v110, v11 dst_sel:DWORD dst_unused:UNUSED_PAD src0_sel:DWORD src1_sel:WORD_1
	v_cndmask_b32_e32 v109, v111, v109, vcc_lo
	v_and_b32_e32 v110, 7, v110
	v_lshl_add_u32 v109, v109, 23, 0x3b800000
	v_cndmask_b32_e32 v107, v107, v110, vcc_lo
	v_and_b32_e32 v110, 0x80000000, v120
	v_lshlrev_b32_e32 v107, 20, v107
	v_or3_b32 v107, v110, v109, v107
.LBB4_1463:                             ;   in Loop: Header=BB4_356 Depth=4
	s_or_b32 exec_lo, exec_lo, s72
	v_max_f32_e32 v107, v107, v107
	v_max_f32_e32 v108, v108, v108
	v_min_f32_e32 v108, v108, v107
.LBB4_1464:                             ;   in Loop: Header=BB4_356 Depth=4
	v_and_b32_e32 v107, 0x7f800000, v108
	v_cmp_ne_u32_e32 vcc_lo, 0x7f800000, v107
	v_mov_b32_e32 v107, 0x80
	s_and_saveexec_b32 s72, vcc_lo
	s_cbranch_execz .LBB4_1472
; %bb.1465:                             ;   in Loop: Header=BB4_356 Depth=4
	v_mov_b32_e32 v107, 0
	s_mov_b32 s73, exec_lo
	v_cmpx_ne_u32_e32 0, v108
	s_cbranch_execz .LBB4_1471
; %bb.1466:                             ;   in Loop: Header=BB4_356 Depth=4
	v_bfe_u32 v107, v108, 23, 8
	v_and_b32_e32 v109, 0x7fffff, v108
	v_sub_nc_u32_e32 v110, 0x78, v107
	v_cmp_gt_u32_e32 vcc_lo, 0x79, v107
	v_or_b32_e32 v111, 0x800000, v109
	v_cndmask_b32_e32 v110, 0, v110, vcc_lo
	v_cmp_eq_u32_e32 vcc_lo, 0, v107
	v_add_nc_u32_e32 v107, 0xffffff89, v107
	v_cndmask_b32_e64 v110, v110, 0x77, vcc_lo
	v_cndmask_b32_e32 v109, v111, v109, vcc_lo
	v_cndmask_b32_e64 v107, v107, 0xffffff8a, vcc_lo
	v_lshl_add_u32 v111, 0x100000, v110, -1
	v_lshrrev_b32_e32 v120, v110, v109
	v_lshlrev_b32_e64 v122, v110, 0x80000
	v_add_nc_u32_e32 v110, v110, v107
	v_and_b32_e32 v109, v111, v109
	v_bfe_u32 v121, v120, 20, 1
	v_cmp_eq_u32_e64 s16, v109, v122
	v_add_nc_u32_e32 v111, -1, v121
	v_cndmask_b32_e64 v109, 0, v111, s16
	v_lshrrev_b32_e32 v111, 23, v120
	s_mov_b32 s16, exec_lo
	v_add_nc_u32_e32 v109, v109, v120
	v_xor_b32_e32 v111, 1, v111
	v_and_b32_e32 v107, 0xfffff, v109
	v_add_nc_u32_e32 v109, v107, v120
                                        ; implicit-def: $vgpr107
	v_cmpx_ne_u32_e64 v110, v111
	s_xor_b32 s16, exec_lo, s16
; %bb.1467:                             ;   in Loop: Header=BB4_356 Depth=4
	v_cmp_lt_u32_e32 vcc_lo, 0xffffff, v109
	v_sub_nc_u32_e32 v107, v110, v111
	v_cndmask_b32_e64 v110, 0, 1, vcc_lo
	v_add_co_ci_u32_e64 v107, null, 0, v107, vcc_lo
	v_lshrrev_b32_e32 v109, v110, v109
; %bb.1468:                             ;   in Loop: Header=BB4_356 Depth=4
	s_andn2_saveexec_b32 s16, s16
; %bb.1469:                             ;   in Loop: Header=BB4_356 Depth=4
	v_bfe_u32 v107, v109, 23, 1
; %bb.1470:                             ;   in Loop: Header=BB4_356 Depth=4
	s_or_b32 exec_lo, exec_lo, s16
	v_lshrrev_b32_e32 v109, 20, v109
	v_min_i32_e32 v110, 15, v107
	v_cmp_gt_i32_e32 vcc_lo, 16, v107
	v_and_b32_sdwa v108, v108, v118 dst_sel:DWORD dst_unused:UNUSED_PAD src0_sel:BYTE_3 src1_sel:DWORD
	v_lshlrev_b32_e32 v110, 3, v110
	v_cndmask_b32_e32 v109, 7, v109, vcc_lo
	v_and_b32_e32 v110, 0xf8, v110
	v_and_b32_e32 v111, 7, v109
	v_or_b32_e32 v107, v107, v109
	v_or3_b32 v108, v110, v108, v111
	v_cmp_ne_u32_e32 vcc_lo, 0, v107
	v_cndmask_b32_e32 v107, 0, v108, vcc_lo
.LBB4_1471:                             ;   in Loop: Header=BB4_356 Depth=4
	s_or_b32 exec_lo, exec_lo, s73
.LBB4_1472:                             ;   in Loop: Header=BB4_356 Depth=4
	s_or_b32 exec_lo, exec_lo, s72
	v_cmp_gt_i16_sdwa s72, v15, v117 src0_sel:BYTE_3 src1_sel:DWORD
	s_andn2_b32 vcc_lo, exec_lo, s63
	s_mov_b32 s16, -1
                                        ; implicit-def: $vgpr108
	s_cbranch_vccnz .LBB4_1486
; %bb.1473:                             ;   in Loop: Header=BB4_356 Depth=4
	s_mov_b32 s16, 0
	s_and_saveexec_b32 s73, s72
	s_xor_b32 s72, exec_lo, s73
	s_cbranch_execz .LBB4_1754
; %bb.1474:                             ;   in Loop: Header=BB4_356 Depth=4
	v_cmp_eq_u16_sdwa s74, v15, v118 src0_sel:BYTE_3 src1_sel:DWORD
	s_mov_b32 s16, -1
	s_and_saveexec_b32 s73, s74
; %bb.1475:                             ;   in Loop: Header=BB4_356 Depth=4
	s_xor_b32 s16, exec_lo, -1
; %bb.1476:                             ;   in Loop: Header=BB4_356 Depth=4
	s_or_b32 exec_lo, exec_lo, s73
	s_and_b32 s16, s16, exec_lo
	s_or_saveexec_b32 s72, s72
	v_mov_b32_e32 v108, 0x7f800001
	s_xor_b32 exec_lo, exec_lo, s72
	s_cbranch_execnz .LBB4_1755
.LBB4_1477:                             ;   in Loop: Header=BB4_356 Depth=4
	s_or_b32 exec_lo, exec_lo, s72
	s_and_saveexec_b32 s72, s16
	s_cbranch_execz .LBB4_1479
.LBB4_1478:                             ;   in Loop: Header=BB4_356 Depth=4
	v_bfe_u32 v108, v15, 24, 3
	v_bfe_u32 v111, v15, 27, 4
	v_ffbh_u32_e32 v109, v108
	v_cmp_eq_u32_e32 vcc_lo, 0, v111
	v_min_u32_e32 v109, 32, v109
	v_subrev_nc_u32_e32 v110, 28, v109
	v_sub_nc_u32_e32 v109, 29, v109
	v_lshlrev_b32_sdwa v110, v110, v15 dst_sel:DWORD dst_unused:UNUSED_PAD src0_sel:DWORD src1_sel:BYTE_3
	v_cndmask_b32_e32 v109, v111, v109, vcc_lo
	v_and_b32_e32 v110, 7, v110
	v_lshl_add_u32 v109, v109, 23, 0x3b800000
	v_cndmask_b32_e32 v108, v108, v110, vcc_lo
	v_and_b32_e32 v110, 0x80000000, v15
	v_lshlrev_b32_e32 v108, 20, v108
	v_or3_b32 v108, v110, v109, v108
.LBB4_1479:                             ;   in Loop: Header=BB4_356 Depth=4
	s_or_b32 exec_lo, exec_lo, s72
	v_cmp_gt_i16_sdwa s72, v11, v117 src0_sel:BYTE_3 src1_sel:DWORD
	s_mov_b32 s16, 0
	s_and_saveexec_b32 s73, s72
	s_xor_b32 s72, exec_lo, s73
	s_cbranch_execz .LBB4_1756
; %bb.1480:                             ;   in Loop: Header=BB4_356 Depth=4
	v_cmp_eq_u16_sdwa s74, v11, v118 src0_sel:BYTE_3 src1_sel:DWORD
	s_mov_b32 s16, -1
	s_and_saveexec_b32 s73, s74
; %bb.1481:                             ;   in Loop: Header=BB4_356 Depth=4
	s_xor_b32 s16, exec_lo, -1
; %bb.1482:                             ;   in Loop: Header=BB4_356 Depth=4
	s_or_b32 exec_lo, exec_lo, s73
	s_and_b32 s16, s16, exec_lo
	s_or_saveexec_b32 s72, s72
	v_mov_b32_e32 v109, 0x7f800001
	s_xor_b32 exec_lo, exec_lo, s72
	s_cbranch_execnz .LBB4_1757
.LBB4_1483:                             ;   in Loop: Header=BB4_356 Depth=4
	s_or_b32 exec_lo, exec_lo, s72
	s_and_saveexec_b32 s72, s16
	s_cbranch_execz .LBB4_1485
.LBB4_1484:                             ;   in Loop: Header=BB4_356 Depth=4
	v_bfe_u32 v109, v11, 24, 3
	v_bfe_u32 v120, v11, 27, 4
	v_ffbh_u32_e32 v110, v109
	v_cmp_eq_u32_e32 vcc_lo, 0, v120
	v_min_u32_e32 v110, 32, v110
	v_subrev_nc_u32_e32 v111, 28, v110
	v_sub_nc_u32_e32 v110, 29, v110
	v_lshlrev_b32_sdwa v111, v111, v11 dst_sel:DWORD dst_unused:UNUSED_PAD src0_sel:DWORD src1_sel:BYTE_3
	v_cndmask_b32_e32 v110, v120, v110, vcc_lo
	v_and_b32_e32 v111, 7, v111
	v_lshl_add_u32 v110, v110, 23, 0x3b800000
	v_cndmask_b32_e32 v109, v109, v111, vcc_lo
	v_and_b32_e32 v111, 0x80000000, v11
	v_lshlrev_b32_e32 v109, 20, v109
	v_or3_b32 v109, v111, v110, v109
.LBB4_1485:                             ;   in Loop: Header=BB4_356 Depth=4
	s_or_b32 exec_lo, exec_lo, s72
	v_max_f32_e32 v109, v109, v109
	v_max_f32_e32 v108, v108, v108
	s_mov_b32 s16, 0
	v_max_f32_e32 v108, v108, v109
.LBB4_1486:                             ;   in Loop: Header=BB4_356 Depth=4
	s_and_b32 vcc_lo, exec_lo, s16
	s_cbranch_vccz .LBB4_1500
; %bb.1487:                             ;   in Loop: Header=BB4_356 Depth=4
	v_cmp_gt_i16_sdwa s72, v15, v117 src0_sel:BYTE_3 src1_sel:DWORD
	s_mov_b32 s16, 0
	s_and_saveexec_b32 s73, s72
	s_xor_b32 s72, exec_lo, s73
	s_cbranch_execz .LBB4_1758
; %bb.1488:                             ;   in Loop: Header=BB4_356 Depth=4
	v_cmp_eq_u16_sdwa s74, v15, v118 src0_sel:BYTE_3 src1_sel:DWORD
	s_mov_b32 s16, -1
	s_and_saveexec_b32 s73, s74
; %bb.1489:                             ;   in Loop: Header=BB4_356 Depth=4
	s_xor_b32 s16, exec_lo, -1
; %bb.1490:                             ;   in Loop: Header=BB4_356 Depth=4
	s_or_b32 exec_lo, exec_lo, s73
	s_and_b32 s16, s16, exec_lo
	s_or_saveexec_b32 s72, s72
	v_mov_b32_e32 v108, 0x7f800001
	s_xor_b32 exec_lo, exec_lo, s72
	s_cbranch_execnz .LBB4_1759
.LBB4_1491:                             ;   in Loop: Header=BB4_356 Depth=4
	s_or_b32 exec_lo, exec_lo, s72
	s_and_saveexec_b32 s72, s16
	s_cbranch_execz .LBB4_1493
.LBB4_1492:                             ;   in Loop: Header=BB4_356 Depth=4
	v_bfe_u32 v108, v15, 24, 3
	v_bfe_u32 v111, v15, 27, 4
	v_ffbh_u32_e32 v109, v108
	v_cmp_eq_u32_e32 vcc_lo, 0, v111
	v_min_u32_e32 v109, 32, v109
	v_subrev_nc_u32_e32 v110, 28, v109
	v_sub_nc_u32_e32 v109, 29, v109
	v_lshlrev_b32_sdwa v110, v110, v15 dst_sel:DWORD dst_unused:UNUSED_PAD src0_sel:DWORD src1_sel:BYTE_3
	v_cndmask_b32_e32 v109, v111, v109, vcc_lo
	v_and_b32_e32 v15, 0x80000000, v15
	v_and_b32_e32 v110, 7, v110
	v_lshl_add_u32 v109, v109, 23, 0x3b800000
	v_cndmask_b32_e32 v108, v108, v110, vcc_lo
	v_lshlrev_b32_e32 v108, 20, v108
	v_or3_b32 v108, v15, v109, v108
.LBB4_1493:                             ;   in Loop: Header=BB4_356 Depth=4
	s_or_b32 exec_lo, exec_lo, s72
	v_cmp_gt_i16_sdwa s72, v11, v117 src0_sel:BYTE_3 src1_sel:DWORD
	s_mov_b32 s16, 0
	s_and_saveexec_b32 s73, s72
	s_xor_b32 s72, exec_lo, s73
	s_cbranch_execz .LBB4_1760
; %bb.1494:                             ;   in Loop: Header=BB4_356 Depth=4
	v_cmp_eq_u16_sdwa s74, v11, v118 src0_sel:BYTE_3 src1_sel:DWORD
	s_mov_b32 s16, -1
	s_and_saveexec_b32 s73, s74
; %bb.1495:                             ;   in Loop: Header=BB4_356 Depth=4
	s_xor_b32 s16, exec_lo, -1
; %bb.1496:                             ;   in Loop: Header=BB4_356 Depth=4
	s_or_b32 exec_lo, exec_lo, s73
	s_and_b32 s16, s16, exec_lo
	s_or_saveexec_b32 s72, s72
	v_mov_b32_e32 v15, 0x7f800001
	s_xor_b32 exec_lo, exec_lo, s72
	s_cbranch_execnz .LBB4_1761
.LBB4_1497:                             ;   in Loop: Header=BB4_356 Depth=4
	s_or_b32 exec_lo, exec_lo, s72
	s_and_saveexec_b32 s72, s16
	s_cbranch_execz .LBB4_1499
.LBB4_1498:                             ;   in Loop: Header=BB4_356 Depth=4
	v_bfe_u32 v15, v11, 24, 3
	v_bfe_u32 v111, v11, 27, 4
	v_ffbh_u32_e32 v109, v15
	v_cmp_eq_u32_e32 vcc_lo, 0, v111
	v_min_u32_e32 v109, 32, v109
	v_subrev_nc_u32_e32 v110, 28, v109
	v_sub_nc_u32_e32 v109, 29, v109
	v_lshlrev_b32_sdwa v110, v110, v11 dst_sel:DWORD dst_unused:UNUSED_PAD src0_sel:DWORD src1_sel:BYTE_3
	v_cndmask_b32_e32 v109, v111, v109, vcc_lo
	v_and_b32_e32 v11, 0x80000000, v11
	v_and_b32_e32 v110, 7, v110
	v_lshl_add_u32 v109, v109, 23, 0x3b800000
	v_cndmask_b32_e32 v15, v15, v110, vcc_lo
	v_lshlrev_b32_e32 v15, 20, v15
	v_or3_b32 v15, v11, v109, v15
.LBB4_1499:                             ;   in Loop: Header=BB4_356 Depth=4
	s_or_b32 exec_lo, exec_lo, s72
	v_max_f32_e32 v11, v15, v15
	v_max_f32_e32 v15, v108, v108
	v_min_f32_e32 v108, v15, v11
.LBB4_1500:                             ;   in Loop: Header=BB4_356 Depth=4
	v_and_b32_e32 v11, 0x7f800000, v108
	v_cmp_ne_u32_e32 vcc_lo, 0x7f800000, v11
	v_mov_b32_e32 v11, 0x8000
	s_and_saveexec_b32 s72, vcc_lo
	s_cbranch_execz .LBB4_355
; %bb.1501:                             ;   in Loop: Header=BB4_356 Depth=4
	v_mov_b32_e32 v11, 0
	s_mov_b32 s73, exec_lo
	v_cmpx_ne_u32_e32 0, v108
	s_cbranch_execz .LBB4_354
; %bb.1502:                             ;   in Loop: Header=BB4_356 Depth=4
	v_bfe_u32 v11, v108, 23, 8
	v_and_b32_e32 v15, 0x7fffff, v108
	v_sub_nc_u32_e32 v109, 0x78, v11
	v_cmp_gt_u32_e32 vcc_lo, 0x79, v11
	v_or_b32_e32 v110, 0x800000, v15
	v_cndmask_b32_e32 v109, 0, v109, vcc_lo
	v_cmp_eq_u32_e32 vcc_lo, 0, v11
	v_add_nc_u32_e32 v11, 0xffffff89, v11
	v_cndmask_b32_e64 v109, v109, 0x77, vcc_lo
	v_cndmask_b32_e32 v15, v110, v15, vcc_lo
	v_cndmask_b32_e64 v11, v11, 0xffffff8a, vcc_lo
	v_lshl_add_u32 v110, 0x100000, v109, -1
	v_lshrrev_b32_e32 v111, v109, v15
	v_lshlrev_b32_e64 v121, v109, 0x80000
	v_add_nc_u32_e32 v109, v109, v11
	v_and_b32_e32 v15, v110, v15
	v_bfe_u32 v120, v111, 20, 1
	v_cmp_eq_u32_e64 s16, v15, v121
	v_add_nc_u32_e32 v110, -1, v120
	v_cndmask_b32_e64 v15, 0, v110, s16
	v_lshrrev_b32_e32 v110, 23, v111
	s_mov_b32 s16, exec_lo
	v_add_nc_u32_e32 v15, v15, v111
	v_xor_b32_e32 v110, 1, v110
	v_and_b32_e32 v11, 0xfffff, v15
	v_add_nc_u32_e32 v15, v11, v111
                                        ; implicit-def: $vgpr11
	v_cmpx_ne_u32_e64 v109, v110
	s_xor_b32 s16, exec_lo, s16
; %bb.1503:                             ;   in Loop: Header=BB4_356 Depth=4
	v_cmp_lt_u32_e32 vcc_lo, 0xffffff, v15
	v_sub_nc_u32_e32 v11, v109, v110
	v_cndmask_b32_e64 v109, 0, 1, vcc_lo
	v_add_co_ci_u32_e64 v11, null, 0, v11, vcc_lo
	v_lshrrev_b32_e32 v15, v109, v15
; %bb.1504:                             ;   in Loop: Header=BB4_356 Depth=4
	s_andn2_saveexec_b32 s16, s16
	s_cbranch_execz .LBB4_353
; %bb.1505:                             ;   in Loop: Header=BB4_356 Depth=4
	v_bfe_u32 v11, v15, 23, 1
	s_branch .LBB4_353
.LBB4_1506:                             ;   in Loop: Header=BB4_356 Depth=4
	s_or_saveexec_b32 s72, s72
	v_mov_b32_e32 v75, 0x7f800001
	s_xor_b32 exec_lo, exec_lo, s72
	s_cbranch_execz .LBB4_361
.LBB4_1507:                             ;   in Loop: Header=BB4_356 Depth=4
	v_cmp_ne_u16_sdwa s73, v20, v2 src0_sel:BYTE_0 src1_sel:DWORD
	v_mov_b32_e32 v75, 0
	s_andn2_b32 s16, s16, exec_lo
	s_and_b32 s73, s73, exec_lo
	s_or_b32 s16, s16, s73
	s_or_b32 exec_lo, exec_lo, s72
	s_and_saveexec_b32 s72, s16
	s_cbranch_execnz .LBB4_362
	s_branch .LBB4_363
.LBB4_1508:                             ;   in Loop: Header=BB4_356 Depth=4
	s_or_saveexec_b32 s72, s72
	v_mov_b32_e32 v76, 0x7f800001
	s_xor_b32 exec_lo, exec_lo, s72
	s_cbranch_execz .LBB4_367
.LBB4_1509:                             ;   in Loop: Header=BB4_356 Depth=4
	v_cmp_ne_u16_sdwa s73, v16, v2 src0_sel:BYTE_0 src1_sel:DWORD
	v_mov_b32_e32 v76, 0
	s_andn2_b32 s16, s16, exec_lo
	s_and_b32 s73, s73, exec_lo
	s_or_b32 s16, s16, s73
	s_or_b32 exec_lo, exec_lo, s72
	s_and_saveexec_b32 s72, s16
	s_cbranch_execnz .LBB4_368
	s_branch .LBB4_369
.LBB4_1510:                             ;   in Loop: Header=BB4_356 Depth=4
	s_or_saveexec_b32 s72, s72
	v_mov_b32_e32 v75, 0x7f800001
	s_xor_b32 exec_lo, exec_lo, s72
	s_cbranch_execz .LBB4_375
.LBB4_1511:                             ;   in Loop: Header=BB4_356 Depth=4
	v_cmp_ne_u16_sdwa s73, v20, v2 src0_sel:BYTE_0 src1_sel:DWORD
	v_mov_b32_e32 v75, 0
	s_andn2_b32 s16, s16, exec_lo
	s_and_b32 s73, s73, exec_lo
	s_or_b32 s16, s16, s73
	s_or_b32 exec_lo, exec_lo, s72
	s_and_saveexec_b32 s72, s16
	s_cbranch_execnz .LBB4_376
	s_branch .LBB4_377
.LBB4_1512:                             ;   in Loop: Header=BB4_356 Depth=4
	s_or_saveexec_b32 s72, s72
	v_mov_b32_e32 v76, 0x7f800001
	s_xor_b32 exec_lo, exec_lo, s72
	s_cbranch_execz .LBB4_381
.LBB4_1513:                             ;   in Loop: Header=BB4_356 Depth=4
	v_cmp_ne_u16_sdwa s73, v16, v2 src0_sel:BYTE_0 src1_sel:DWORD
	v_mov_b32_e32 v76, 0
	s_andn2_b32 s16, s16, exec_lo
	s_and_b32 s73, s73, exec_lo
	s_or_b32 s16, s16, s73
	s_or_b32 exec_lo, exec_lo, s72
	s_and_saveexec_b32 s72, s16
	s_cbranch_execnz .LBB4_382
	s_branch .LBB4_383
.LBB4_1514:                             ;   in Loop: Header=BB4_356 Depth=4
	s_or_saveexec_b32 s72, s72
	v_mov_b32_e32 v76, 0x7f800001
	s_xor_b32 exec_lo, exec_lo, s72
	s_cbranch_execz .LBB4_397
.LBB4_1515:                             ;   in Loop: Header=BB4_356 Depth=4
	v_cmp_ne_u16_sdwa s73, v20, v2 src0_sel:BYTE_1 src1_sel:DWORD
	v_mov_b32_e32 v76, 0
	s_andn2_b32 s16, s16, exec_lo
	s_and_b32 s73, s73, exec_lo
	s_or_b32 s16, s16, s73
	s_or_b32 exec_lo, exec_lo, s72
	s_and_saveexec_b32 s72, s16
	s_cbranch_execnz .LBB4_398
	s_branch .LBB4_399
.LBB4_1516:                             ;   in Loop: Header=BB4_356 Depth=4
	s_or_saveexec_b32 s72, s72
	v_mov_b32_e32 v77, 0x7f800001
	s_xor_b32 exec_lo, exec_lo, s72
	s_cbranch_execz .LBB4_403
.LBB4_1517:                             ;   in Loop: Header=BB4_356 Depth=4
	v_cmp_ne_u16_sdwa s73, v16, v2 src0_sel:BYTE_1 src1_sel:DWORD
	v_mov_b32_e32 v77, 0
	s_andn2_b32 s16, s16, exec_lo
	s_and_b32 s73, s73, exec_lo
	s_or_b32 s16, s16, s73
	s_or_b32 exec_lo, exec_lo, s72
	s_and_saveexec_b32 s72, s16
	s_cbranch_execnz .LBB4_404
	s_branch .LBB4_405
.LBB4_1518:                             ;   in Loop: Header=BB4_356 Depth=4
	s_or_saveexec_b32 s72, s72
	v_mov_b32_e32 v76, 0x7f800001
	s_xor_b32 exec_lo, exec_lo, s72
	s_cbranch_execz .LBB4_411
.LBB4_1519:                             ;   in Loop: Header=BB4_356 Depth=4
	v_cmp_ne_u16_sdwa s73, v20, v2 src0_sel:BYTE_1 src1_sel:DWORD
	v_mov_b32_e32 v76, 0
	s_andn2_b32 s16, s16, exec_lo
	s_and_b32 s73, s73, exec_lo
	s_or_b32 s16, s16, s73
	s_or_b32 exec_lo, exec_lo, s72
	s_and_saveexec_b32 s72, s16
	s_cbranch_execnz .LBB4_412
	s_branch .LBB4_413
.LBB4_1520:                             ;   in Loop: Header=BB4_356 Depth=4
	s_or_saveexec_b32 s72, s72
	v_mov_b32_e32 v77, 0x7f800001
	s_xor_b32 exec_lo, exec_lo, s72
	s_cbranch_execz .LBB4_417
.LBB4_1521:                             ;   in Loop: Header=BB4_356 Depth=4
	v_cmp_ne_u16_sdwa s73, v16, v2 src0_sel:BYTE_1 src1_sel:DWORD
	v_mov_b32_e32 v77, 0
	s_andn2_b32 s16, s16, exec_lo
	s_and_b32 s73, s73, exec_lo
	s_or_b32 s16, s16, s73
	s_or_b32 exec_lo, exec_lo, s72
	s_and_saveexec_b32 s72, s16
	s_cbranch_execnz .LBB4_418
	s_branch .LBB4_419
.LBB4_1522:                             ;   in Loop: Header=BB4_356 Depth=4
	s_or_saveexec_b32 s16, s16
	v_mov_b32_e32 v78, 0x7f800001
	s_xor_b32 exec_lo, exec_lo, s16
	s_cbranch_execz .LBB4_433
.LBB4_1523:                             ;   in Loop: Header=BB4_356 Depth=4
	v_cmp_ne_u16_e32 vcc_lo, 0, v77
	v_mov_b32_e32 v78, 0
	s_andn2_b32 s72, s72, exec_lo
	s_and_b32 s73, vcc_lo, exec_lo
	s_or_b32 s72, s72, s73
	s_or_b32 exec_lo, exec_lo, s16
	s_and_saveexec_b32 s16, s72
	s_cbranch_execnz .LBB4_434
	s_branch .LBB4_435
.LBB4_1524:                             ;   in Loop: Header=BB4_356 Depth=4
	s_or_saveexec_b32 s72, s72
	v_mov_b32_e32 v79, 0x7f800001
	s_xor_b32 exec_lo, exec_lo, s72
	s_cbranch_execz .LBB4_439
.LBB4_1525:                             ;   in Loop: Header=BB4_356 Depth=4
	v_cmp_ne_u16_e32 vcc_lo, 0, v88
	v_mov_b32_e32 v79, 0
	s_andn2_b32 s16, s16, exec_lo
	s_and_b32 s73, vcc_lo, exec_lo
	s_or_b32 s16, s16, s73
	s_or_b32 exec_lo, exec_lo, s72
	s_and_saveexec_b32 s72, s16
	s_cbranch_execnz .LBB4_440
	s_branch .LBB4_441
.LBB4_1526:                             ;   in Loop: Header=BB4_356 Depth=4
	s_or_saveexec_b32 s72, s72
	v_mov_b32_e32 v78, 0x7f800001
	s_xor_b32 exec_lo, exec_lo, s72
	s_cbranch_execz .LBB4_447
.LBB4_1527:                             ;   in Loop: Header=BB4_356 Depth=4
	v_cmp_ne_u16_e32 vcc_lo, 0, v77
	v_mov_b32_e32 v78, 0
	s_andn2_b32 s16, s16, exec_lo
	s_and_b32 s73, vcc_lo, exec_lo
	s_or_b32 s16, s16, s73
	s_or_b32 exec_lo, exec_lo, s72
	s_and_saveexec_b32 s72, s16
	s_cbranch_execnz .LBB4_448
	s_branch .LBB4_449
.LBB4_1528:                             ;   in Loop: Header=BB4_356 Depth=4
	s_or_saveexec_b32 s72, s72
	v_mov_b32_e32 v77, 0x7f800001
	s_xor_b32 exec_lo, exec_lo, s72
	s_cbranch_execz .LBB4_453
.LBB4_1529:                             ;   in Loop: Header=BB4_356 Depth=4
	v_cmp_ne_u16_e32 vcc_lo, 0, v79
	v_mov_b32_e32 v77, 0
	s_andn2_b32 s16, s16, exec_lo
	s_and_b32 s73, vcc_lo, exec_lo
	s_or_b32 s16, s16, s73
	s_or_b32 exec_lo, exec_lo, s72
	s_and_saveexec_b32 s72, s16
	s_cbranch_execnz .LBB4_454
	s_branch .LBB4_455
.LBB4_1530:                             ;   in Loop: Header=BB4_356 Depth=4
	s_or_saveexec_b32 s72, s72
	v_mov_b32_e32 v78, 0x7f800001
	s_xor_b32 exec_lo, exec_lo, s72
	s_cbranch_execz .LBB4_469
.LBB4_1531:                             ;   in Loop: Header=BB4_356 Depth=4
	v_cmp_ne_u16_sdwa s73, v20, v2 src0_sel:BYTE_3 src1_sel:DWORD
	v_mov_b32_e32 v78, 0
	s_andn2_b32 s16, s16, exec_lo
	s_and_b32 s73, s73, exec_lo
	s_or_b32 s16, s16, s73
	s_or_b32 exec_lo, exec_lo, s72
	s_and_saveexec_b32 s72, s16
	s_cbranch_execnz .LBB4_470
	s_branch .LBB4_471
.LBB4_1532:                             ;   in Loop: Header=BB4_356 Depth=4
	s_or_saveexec_b32 s72, s72
	v_mov_b32_e32 v79, 0x7f800001
	s_xor_b32 exec_lo, exec_lo, s72
	s_cbranch_execz .LBB4_475
.LBB4_1533:                             ;   in Loop: Header=BB4_356 Depth=4
	v_cmp_ne_u16_sdwa s73, v16, v2 src0_sel:BYTE_3 src1_sel:DWORD
	v_mov_b32_e32 v79, 0
	s_andn2_b32 s16, s16, exec_lo
	s_and_b32 s73, s73, exec_lo
	s_or_b32 s16, s16, s73
	s_or_b32 exec_lo, exec_lo, s72
	s_and_saveexec_b32 s72, s16
	s_cbranch_execnz .LBB4_476
	s_branch .LBB4_477
.LBB4_1534:                             ;   in Loop: Header=BB4_356 Depth=4
	s_or_saveexec_b32 s72, s72
	v_mov_b32_e32 v78, 0x7f800001
	s_xor_b32 exec_lo, exec_lo, s72
	s_cbranch_execz .LBB4_483
.LBB4_1535:                             ;   in Loop: Header=BB4_356 Depth=4
	v_cmp_ne_u16_sdwa s73, v20, v2 src0_sel:BYTE_3 src1_sel:DWORD
	v_mov_b32_e32 v78, 0
	s_andn2_b32 s16, s16, exec_lo
	s_and_b32 s73, s73, exec_lo
	s_or_b32 s16, s16, s73
	s_or_b32 exec_lo, exec_lo, s72
	s_and_saveexec_b32 s72, s16
	s_cbranch_execnz .LBB4_484
	s_branch .LBB4_485
.LBB4_1536:                             ;   in Loop: Header=BB4_356 Depth=4
	s_or_saveexec_b32 s72, s72
	v_mov_b32_e32 v20, 0x7f800001
	s_xor_b32 exec_lo, exec_lo, s72
	s_cbranch_execz .LBB4_489
.LBB4_1537:                             ;   in Loop: Header=BB4_356 Depth=4
	v_cmp_ne_u16_sdwa s73, v16, v2 src0_sel:BYTE_3 src1_sel:DWORD
	v_mov_b32_e32 v20, 0
	s_andn2_b32 s16, s16, exec_lo
	s_and_b32 s73, s73, exec_lo
	s_or_b32 s16, s16, s73
	s_or_b32 exec_lo, exec_lo, s72
	s_and_saveexec_b32 s72, s16
	s_cbranch_execnz .LBB4_490
	s_branch .LBB4_491
.LBB4_1538:                             ;   in Loop: Header=BB4_356 Depth=4
	s_or_saveexec_b32 s72, s72
	v_mov_b32_e32 v20, 0x7f800001
	s_xor_b32 exec_lo, exec_lo, s72
	s_cbranch_execz .LBB4_505
.LBB4_1539:                             ;   in Loop: Header=BB4_356 Depth=4
	v_cmp_ne_u16_sdwa s73, v21, v2 src0_sel:BYTE_0 src1_sel:DWORD
	v_mov_b32_e32 v20, 0
	s_andn2_b32 s16, s16, exec_lo
	s_and_b32 s73, s73, exec_lo
	s_or_b32 s16, s16, s73
	s_or_b32 exec_lo, exec_lo, s72
	s_and_saveexec_b32 s72, s16
	s_cbranch_execnz .LBB4_506
	s_branch .LBB4_507
.LBB4_1540:                             ;   in Loop: Header=BB4_356 Depth=4
	s_or_saveexec_b32 s72, s72
	v_mov_b32_e32 v78, 0x7f800001
	s_xor_b32 exec_lo, exec_lo, s72
	s_cbranch_execz .LBB4_511
.LBB4_1541:                             ;   in Loop: Header=BB4_356 Depth=4
	v_cmp_ne_u16_sdwa s73, v17, v2 src0_sel:BYTE_0 src1_sel:DWORD
	v_mov_b32_e32 v78, 0
	s_andn2_b32 s16, s16, exec_lo
	s_and_b32 s73, s73, exec_lo
	s_or_b32 s16, s16, s73
	s_or_b32 exec_lo, exec_lo, s72
	s_and_saveexec_b32 s72, s16
	s_cbranch_execnz .LBB4_512
	s_branch .LBB4_513
.LBB4_1542:                             ;   in Loop: Header=BB4_356 Depth=4
	s_or_saveexec_b32 s72, s72
	v_mov_b32_e32 v20, 0x7f800001
	s_xor_b32 exec_lo, exec_lo, s72
	s_cbranch_execz .LBB4_519
.LBB4_1543:                             ;   in Loop: Header=BB4_356 Depth=4
	v_cmp_ne_u16_sdwa s73, v21, v2 src0_sel:BYTE_0 src1_sel:DWORD
	v_mov_b32_e32 v20, 0
	s_andn2_b32 s16, s16, exec_lo
	s_and_b32 s73, s73, exec_lo
	s_or_b32 s16, s16, s73
	s_or_b32 exec_lo, exec_lo, s72
	s_and_saveexec_b32 s72, s16
	s_cbranch_execnz .LBB4_520
	s_branch .LBB4_521
.LBB4_1544:                             ;   in Loop: Header=BB4_356 Depth=4
	s_or_saveexec_b32 s72, s72
	v_mov_b32_e32 v78, 0x7f800001
	s_xor_b32 exec_lo, exec_lo, s72
	s_cbranch_execz .LBB4_525
.LBB4_1545:                             ;   in Loop: Header=BB4_356 Depth=4
	v_cmp_ne_u16_sdwa s73, v17, v2 src0_sel:BYTE_0 src1_sel:DWORD
	v_mov_b32_e32 v78, 0
	s_andn2_b32 s16, s16, exec_lo
	s_and_b32 s73, s73, exec_lo
	s_or_b32 s16, s16, s73
	s_or_b32 exec_lo, exec_lo, s72
	s_and_saveexec_b32 s72, s16
	s_cbranch_execnz .LBB4_526
	s_branch .LBB4_527
.LBB4_1546:                             ;   in Loop: Header=BB4_356 Depth=4
	s_or_saveexec_b32 s72, s72
	v_mov_b32_e32 v78, 0x7f800001
	s_xor_b32 exec_lo, exec_lo, s72
	s_cbranch_execz .LBB4_541
.LBB4_1547:                             ;   in Loop: Header=BB4_356 Depth=4
	v_cmp_ne_u16_sdwa s73, v21, v2 src0_sel:BYTE_1 src1_sel:DWORD
	v_mov_b32_e32 v78, 0
	s_andn2_b32 s16, s16, exec_lo
	s_and_b32 s73, s73, exec_lo
	s_or_b32 s16, s16, s73
	s_or_b32 exec_lo, exec_lo, s72
	s_and_saveexec_b32 s72, s16
	s_cbranch_execnz .LBB4_542
	s_branch .LBB4_543
.LBB4_1548:                             ;   in Loop: Header=BB4_356 Depth=4
	s_or_saveexec_b32 s72, s72
	v_mov_b32_e32 v79, 0x7f800001
	s_xor_b32 exec_lo, exec_lo, s72
	s_cbranch_execz .LBB4_547
.LBB4_1549:                             ;   in Loop: Header=BB4_356 Depth=4
	v_cmp_ne_u16_sdwa s73, v17, v2 src0_sel:BYTE_1 src1_sel:DWORD
	v_mov_b32_e32 v79, 0
	s_andn2_b32 s16, s16, exec_lo
	s_and_b32 s73, s73, exec_lo
	s_or_b32 s16, s16, s73
	s_or_b32 exec_lo, exec_lo, s72
	s_and_saveexec_b32 s72, s16
	s_cbranch_execnz .LBB4_548
	s_branch .LBB4_549
.LBB4_1550:                             ;   in Loop: Header=BB4_356 Depth=4
	s_or_saveexec_b32 s72, s72
	v_mov_b32_e32 v78, 0x7f800001
	s_xor_b32 exec_lo, exec_lo, s72
	s_cbranch_execz .LBB4_555
.LBB4_1551:                             ;   in Loop: Header=BB4_356 Depth=4
	v_cmp_ne_u16_sdwa s73, v21, v2 src0_sel:BYTE_1 src1_sel:DWORD
	v_mov_b32_e32 v78, 0
	s_andn2_b32 s16, s16, exec_lo
	s_and_b32 s73, s73, exec_lo
	s_or_b32 s16, s16, s73
	s_or_b32 exec_lo, exec_lo, s72
	s_and_saveexec_b32 s72, s16
	s_cbranch_execnz .LBB4_556
	s_branch .LBB4_557
.LBB4_1552:                             ;   in Loop: Header=BB4_356 Depth=4
	s_or_saveexec_b32 s72, s72
	v_mov_b32_e32 v79, 0x7f800001
	s_xor_b32 exec_lo, exec_lo, s72
	s_cbranch_execz .LBB4_561
.LBB4_1553:                             ;   in Loop: Header=BB4_356 Depth=4
	v_cmp_ne_u16_sdwa s73, v17, v2 src0_sel:BYTE_1 src1_sel:DWORD
	v_mov_b32_e32 v79, 0
	s_andn2_b32 s16, s16, exec_lo
	s_and_b32 s73, s73, exec_lo
	s_or_b32 s16, s16, s73
	s_or_b32 exec_lo, exec_lo, s72
	s_and_saveexec_b32 s72, s16
	s_cbranch_execnz .LBB4_562
	s_branch .LBB4_563
.LBB4_1554:                             ;   in Loop: Header=BB4_356 Depth=4
	s_or_saveexec_b32 s16, s16
	v_mov_b32_e32 v88, 0x7f800001
	s_xor_b32 exec_lo, exec_lo, s16
	s_cbranch_execz .LBB4_577
.LBB4_1555:                             ;   in Loop: Header=BB4_356 Depth=4
	v_cmp_ne_u16_e32 vcc_lo, 0, v79
	v_mov_b32_e32 v88, 0
	s_andn2_b32 s72, s72, exec_lo
	s_and_b32 s73, vcc_lo, exec_lo
	s_or_b32 s72, s72, s73
	s_or_b32 exec_lo, exec_lo, s16
	s_and_saveexec_b32 s16, s72
	s_cbranch_execnz .LBB4_578
	s_branch .LBB4_579
.LBB4_1556:                             ;   in Loop: Header=BB4_356 Depth=4
	s_or_saveexec_b32 s72, s72
	v_mov_b32_e32 v89, 0x7f800001
	s_xor_b32 exec_lo, exec_lo, s72
	s_cbranch_execz .LBB4_583
.LBB4_1557:                             ;   in Loop: Header=BB4_356 Depth=4
	v_cmp_ne_u16_e32 vcc_lo, 0, v90
	v_mov_b32_e32 v89, 0
	s_andn2_b32 s16, s16, exec_lo
	s_and_b32 s73, vcc_lo, exec_lo
	s_or_b32 s16, s16, s73
	s_or_b32 exec_lo, exec_lo, s72
	s_and_saveexec_b32 s72, s16
	s_cbranch_execnz .LBB4_584
	s_branch .LBB4_585
.LBB4_1558:                             ;   in Loop: Header=BB4_356 Depth=4
	s_or_saveexec_b32 s72, s72
	v_mov_b32_e32 v88, 0x7f800001
	s_xor_b32 exec_lo, exec_lo, s72
	s_cbranch_execz .LBB4_591
.LBB4_1559:                             ;   in Loop: Header=BB4_356 Depth=4
	v_cmp_ne_u16_e32 vcc_lo, 0, v79
	v_mov_b32_e32 v88, 0
	s_andn2_b32 s16, s16, exec_lo
	s_and_b32 s73, vcc_lo, exec_lo
	s_or_b32 s16, s16, s73
	s_or_b32 exec_lo, exec_lo, s72
	s_and_saveexec_b32 s72, s16
	s_cbranch_execnz .LBB4_592
	s_branch .LBB4_593
.LBB4_1560:                             ;   in Loop: Header=BB4_356 Depth=4
	s_or_saveexec_b32 s72, s72
	v_mov_b32_e32 v79, 0x7f800001
	s_xor_b32 exec_lo, exec_lo, s72
	s_cbranch_execz .LBB4_597
.LBB4_1561:                             ;   in Loop: Header=BB4_356 Depth=4
	v_cmp_ne_u16_e32 vcc_lo, 0, v89
	v_mov_b32_e32 v79, 0
	s_andn2_b32 s16, s16, exec_lo
	s_and_b32 s73, vcc_lo, exec_lo
	s_or_b32 s16, s16, s73
	s_or_b32 exec_lo, exec_lo, s72
	s_and_saveexec_b32 s72, s16
	s_cbranch_execnz .LBB4_598
	s_branch .LBB4_599
.LBB4_1562:                             ;   in Loop: Header=BB4_356 Depth=4
	s_or_saveexec_b32 s72, s72
	v_mov_b32_e32 v88, 0x7f800001
	s_xor_b32 exec_lo, exec_lo, s72
	s_cbranch_execz .LBB4_613
.LBB4_1563:                             ;   in Loop: Header=BB4_356 Depth=4
	v_cmp_ne_u16_sdwa s73, v21, v2 src0_sel:BYTE_3 src1_sel:DWORD
	v_mov_b32_e32 v88, 0
	s_andn2_b32 s16, s16, exec_lo
	s_and_b32 s73, s73, exec_lo
	s_or_b32 s16, s16, s73
	s_or_b32 exec_lo, exec_lo, s72
	s_and_saveexec_b32 s72, s16
	s_cbranch_execnz .LBB4_614
	s_branch .LBB4_615
.LBB4_1564:                             ;   in Loop: Header=BB4_356 Depth=4
	s_or_saveexec_b32 s72, s72
	v_mov_b32_e32 v89, 0x7f800001
	s_xor_b32 exec_lo, exec_lo, s72
	s_cbranch_execz .LBB4_619
.LBB4_1565:                             ;   in Loop: Header=BB4_356 Depth=4
	v_cmp_ne_u16_sdwa s73, v17, v2 src0_sel:BYTE_3 src1_sel:DWORD
	v_mov_b32_e32 v89, 0
	s_andn2_b32 s16, s16, exec_lo
	s_and_b32 s73, s73, exec_lo
	s_or_b32 s16, s16, s73
	s_or_b32 exec_lo, exec_lo, s72
	s_and_saveexec_b32 s72, s16
	s_cbranch_execnz .LBB4_620
	s_branch .LBB4_621
.LBB4_1566:                             ;   in Loop: Header=BB4_356 Depth=4
	s_or_saveexec_b32 s72, s72
	v_mov_b32_e32 v88, 0x7f800001
	s_xor_b32 exec_lo, exec_lo, s72
	s_cbranch_execz .LBB4_627
.LBB4_1567:                             ;   in Loop: Header=BB4_356 Depth=4
	v_cmp_ne_u16_sdwa s73, v21, v2 src0_sel:BYTE_3 src1_sel:DWORD
	v_mov_b32_e32 v88, 0
	s_andn2_b32 s16, s16, exec_lo
	s_and_b32 s73, s73, exec_lo
	s_or_b32 s16, s16, s73
	s_or_b32 exec_lo, exec_lo, s72
	s_and_saveexec_b32 s72, s16
	s_cbranch_execnz .LBB4_628
	s_branch .LBB4_629
.LBB4_1568:                             ;   in Loop: Header=BB4_356 Depth=4
	s_or_saveexec_b32 s72, s72
	v_mov_b32_e32 v21, 0x7f800001
	s_xor_b32 exec_lo, exec_lo, s72
	s_cbranch_execz .LBB4_633
.LBB4_1569:                             ;   in Loop: Header=BB4_356 Depth=4
	v_cmp_ne_u16_sdwa s73, v17, v2 src0_sel:BYTE_3 src1_sel:DWORD
	v_mov_b32_e32 v21, 0
	s_andn2_b32 s16, s16, exec_lo
	s_and_b32 s73, s73, exec_lo
	s_or_b32 s16, s16, s73
	s_or_b32 exec_lo, exec_lo, s72
	s_and_saveexec_b32 s72, s16
	s_cbranch_execnz .LBB4_634
	s_branch .LBB4_635
.LBB4_1570:                             ;   in Loop: Header=BB4_356 Depth=4
	s_or_saveexec_b32 s72, s72
	v_mov_b32_e32 v21, 0x7f800001
	s_xor_b32 exec_lo, exec_lo, s72
	s_cbranch_execz .LBB4_649
.LBB4_1571:                             ;   in Loop: Header=BB4_356 Depth=4
	v_cmp_ne_u16_sdwa s73, v22, v2 src0_sel:BYTE_0 src1_sel:DWORD
	v_mov_b32_e32 v21, 0
	s_andn2_b32 s16, s16, exec_lo
	s_and_b32 s73, s73, exec_lo
	s_or_b32 s16, s16, s73
	s_or_b32 exec_lo, exec_lo, s72
	s_and_saveexec_b32 s72, s16
	s_cbranch_execnz .LBB4_650
	s_branch .LBB4_651
.LBB4_1572:                             ;   in Loop: Header=BB4_356 Depth=4
	s_or_saveexec_b32 s72, s72
	v_mov_b32_e32 v88, 0x7f800001
	s_xor_b32 exec_lo, exec_lo, s72
	s_cbranch_execz .LBB4_655
.LBB4_1573:                             ;   in Loop: Header=BB4_356 Depth=4
	v_cmp_ne_u16_sdwa s73, v18, v2 src0_sel:BYTE_0 src1_sel:DWORD
	v_mov_b32_e32 v88, 0
	s_andn2_b32 s16, s16, exec_lo
	s_and_b32 s73, s73, exec_lo
	s_or_b32 s16, s16, s73
	s_or_b32 exec_lo, exec_lo, s72
	s_and_saveexec_b32 s72, s16
	s_cbranch_execnz .LBB4_656
	s_branch .LBB4_657
.LBB4_1574:                             ;   in Loop: Header=BB4_356 Depth=4
	s_or_saveexec_b32 s72, s72
	v_mov_b32_e32 v21, 0x7f800001
	s_xor_b32 exec_lo, exec_lo, s72
	s_cbranch_execz .LBB4_663
.LBB4_1575:                             ;   in Loop: Header=BB4_356 Depth=4
	v_cmp_ne_u16_sdwa s73, v22, v2 src0_sel:BYTE_0 src1_sel:DWORD
	v_mov_b32_e32 v21, 0
	s_andn2_b32 s16, s16, exec_lo
	s_and_b32 s73, s73, exec_lo
	s_or_b32 s16, s16, s73
	s_or_b32 exec_lo, exec_lo, s72
	s_and_saveexec_b32 s72, s16
	s_cbranch_execnz .LBB4_664
	s_branch .LBB4_665
.LBB4_1576:                             ;   in Loop: Header=BB4_356 Depth=4
	s_or_saveexec_b32 s72, s72
	v_mov_b32_e32 v88, 0x7f800001
	s_xor_b32 exec_lo, exec_lo, s72
	s_cbranch_execz .LBB4_669
.LBB4_1577:                             ;   in Loop: Header=BB4_356 Depth=4
	v_cmp_ne_u16_sdwa s73, v18, v2 src0_sel:BYTE_0 src1_sel:DWORD
	v_mov_b32_e32 v88, 0
	s_andn2_b32 s16, s16, exec_lo
	s_and_b32 s73, s73, exec_lo
	s_or_b32 s16, s16, s73
	s_or_b32 exec_lo, exec_lo, s72
	s_and_saveexec_b32 s72, s16
	s_cbranch_execnz .LBB4_670
	s_branch .LBB4_671
.LBB4_1578:                             ;   in Loop: Header=BB4_356 Depth=4
	s_or_saveexec_b32 s72, s72
	v_mov_b32_e32 v88, 0x7f800001
	s_xor_b32 exec_lo, exec_lo, s72
	s_cbranch_execz .LBB4_685
.LBB4_1579:                             ;   in Loop: Header=BB4_356 Depth=4
	v_cmp_ne_u16_sdwa s73, v22, v2 src0_sel:BYTE_1 src1_sel:DWORD
	v_mov_b32_e32 v88, 0
	s_andn2_b32 s16, s16, exec_lo
	s_and_b32 s73, s73, exec_lo
	s_or_b32 s16, s16, s73
	s_or_b32 exec_lo, exec_lo, s72
	s_and_saveexec_b32 s72, s16
	s_cbranch_execnz .LBB4_686
	s_branch .LBB4_687
.LBB4_1580:                             ;   in Loop: Header=BB4_356 Depth=4
	s_or_saveexec_b32 s72, s72
	v_mov_b32_e32 v89, 0x7f800001
	s_xor_b32 exec_lo, exec_lo, s72
	s_cbranch_execz .LBB4_691
.LBB4_1581:                             ;   in Loop: Header=BB4_356 Depth=4
	v_cmp_ne_u16_sdwa s73, v18, v2 src0_sel:BYTE_1 src1_sel:DWORD
	v_mov_b32_e32 v89, 0
	s_andn2_b32 s16, s16, exec_lo
	s_and_b32 s73, s73, exec_lo
	s_or_b32 s16, s16, s73
	s_or_b32 exec_lo, exec_lo, s72
	s_and_saveexec_b32 s72, s16
	s_cbranch_execnz .LBB4_692
	s_branch .LBB4_693
.LBB4_1582:                             ;   in Loop: Header=BB4_356 Depth=4
	s_or_saveexec_b32 s72, s72
	v_mov_b32_e32 v88, 0x7f800001
	s_xor_b32 exec_lo, exec_lo, s72
	s_cbranch_execz .LBB4_699
.LBB4_1583:                             ;   in Loop: Header=BB4_356 Depth=4
	v_cmp_ne_u16_sdwa s73, v22, v2 src0_sel:BYTE_1 src1_sel:DWORD
	v_mov_b32_e32 v88, 0
	s_andn2_b32 s16, s16, exec_lo
	s_and_b32 s73, s73, exec_lo
	s_or_b32 s16, s16, s73
	s_or_b32 exec_lo, exec_lo, s72
	s_and_saveexec_b32 s72, s16
	s_cbranch_execnz .LBB4_700
	s_branch .LBB4_701
.LBB4_1584:                             ;   in Loop: Header=BB4_356 Depth=4
	s_or_saveexec_b32 s72, s72
	v_mov_b32_e32 v89, 0x7f800001
	s_xor_b32 exec_lo, exec_lo, s72
	s_cbranch_execz .LBB4_705
.LBB4_1585:                             ;   in Loop: Header=BB4_356 Depth=4
	v_cmp_ne_u16_sdwa s73, v18, v2 src0_sel:BYTE_1 src1_sel:DWORD
	v_mov_b32_e32 v89, 0
	s_andn2_b32 s16, s16, exec_lo
	s_and_b32 s73, s73, exec_lo
	s_or_b32 s16, s16, s73
	s_or_b32 exec_lo, exec_lo, s72
	s_and_saveexec_b32 s72, s16
	s_cbranch_execnz .LBB4_706
	s_branch .LBB4_707
.LBB4_1586:                             ;   in Loop: Header=BB4_356 Depth=4
	s_or_saveexec_b32 s16, s16
	v_mov_b32_e32 v90, 0x7f800001
	s_xor_b32 exec_lo, exec_lo, s16
	s_cbranch_execz .LBB4_721
.LBB4_1587:                             ;   in Loop: Header=BB4_356 Depth=4
	v_cmp_ne_u16_e32 vcc_lo, 0, v89
	v_mov_b32_e32 v90, 0
	s_andn2_b32 s72, s72, exec_lo
	s_and_b32 s73, vcc_lo, exec_lo
	s_or_b32 s72, s72, s73
	s_or_b32 exec_lo, exec_lo, s16
	s_and_saveexec_b32 s16, s72
	s_cbranch_execnz .LBB4_722
	s_branch .LBB4_723
.LBB4_1588:                             ;   in Loop: Header=BB4_356 Depth=4
	s_or_saveexec_b32 s72, s72
	v_mov_b32_e32 v91, 0x7f800001
	s_xor_b32 exec_lo, exec_lo, s72
	s_cbranch_execz .LBB4_727
.LBB4_1589:                             ;   in Loop: Header=BB4_356 Depth=4
	v_cmp_ne_u16_e32 vcc_lo, 0, v92
	v_mov_b32_e32 v91, 0
	s_andn2_b32 s16, s16, exec_lo
	s_and_b32 s73, vcc_lo, exec_lo
	s_or_b32 s16, s16, s73
	s_or_b32 exec_lo, exec_lo, s72
	s_and_saveexec_b32 s72, s16
	s_cbranch_execnz .LBB4_728
	s_branch .LBB4_729
.LBB4_1590:                             ;   in Loop: Header=BB4_356 Depth=4
	s_or_saveexec_b32 s72, s72
	v_mov_b32_e32 v90, 0x7f800001
	s_xor_b32 exec_lo, exec_lo, s72
	s_cbranch_execz .LBB4_735
.LBB4_1591:                             ;   in Loop: Header=BB4_356 Depth=4
	v_cmp_ne_u16_e32 vcc_lo, 0, v89
	v_mov_b32_e32 v90, 0
	s_andn2_b32 s16, s16, exec_lo
	s_and_b32 s73, vcc_lo, exec_lo
	s_or_b32 s16, s16, s73
	s_or_b32 exec_lo, exec_lo, s72
	s_and_saveexec_b32 s72, s16
	s_cbranch_execnz .LBB4_736
	s_branch .LBB4_737
.LBB4_1592:                             ;   in Loop: Header=BB4_356 Depth=4
	s_or_saveexec_b32 s72, s72
	v_mov_b32_e32 v89, 0x7f800001
	s_xor_b32 exec_lo, exec_lo, s72
	s_cbranch_execz .LBB4_741
.LBB4_1593:                             ;   in Loop: Header=BB4_356 Depth=4
	v_cmp_ne_u16_e32 vcc_lo, 0, v91
	v_mov_b32_e32 v89, 0
	s_andn2_b32 s16, s16, exec_lo
	s_and_b32 s73, vcc_lo, exec_lo
	s_or_b32 s16, s16, s73
	s_or_b32 exec_lo, exec_lo, s72
	s_and_saveexec_b32 s72, s16
	s_cbranch_execnz .LBB4_742
	s_branch .LBB4_743
.LBB4_1594:                             ;   in Loop: Header=BB4_356 Depth=4
	s_or_saveexec_b32 s72, s72
	v_mov_b32_e32 v90, 0x7f800001
	s_xor_b32 exec_lo, exec_lo, s72
	s_cbranch_execz .LBB4_757
.LBB4_1595:                             ;   in Loop: Header=BB4_356 Depth=4
	v_cmp_ne_u16_sdwa s73, v22, v2 src0_sel:BYTE_3 src1_sel:DWORD
	v_mov_b32_e32 v90, 0
	s_andn2_b32 s16, s16, exec_lo
	s_and_b32 s73, s73, exec_lo
	s_or_b32 s16, s16, s73
	s_or_b32 exec_lo, exec_lo, s72
	s_and_saveexec_b32 s72, s16
	s_cbranch_execnz .LBB4_758
	s_branch .LBB4_759
.LBB4_1596:                             ;   in Loop: Header=BB4_356 Depth=4
	s_or_saveexec_b32 s72, s72
	v_mov_b32_e32 v91, 0x7f800001
	s_xor_b32 exec_lo, exec_lo, s72
	s_cbranch_execz .LBB4_763
.LBB4_1597:                             ;   in Loop: Header=BB4_356 Depth=4
	v_cmp_ne_u16_sdwa s73, v18, v2 src0_sel:BYTE_3 src1_sel:DWORD
	v_mov_b32_e32 v91, 0
	s_andn2_b32 s16, s16, exec_lo
	s_and_b32 s73, s73, exec_lo
	s_or_b32 s16, s16, s73
	s_or_b32 exec_lo, exec_lo, s72
	s_and_saveexec_b32 s72, s16
	s_cbranch_execnz .LBB4_764
	s_branch .LBB4_765
.LBB4_1598:                             ;   in Loop: Header=BB4_356 Depth=4
	s_or_saveexec_b32 s72, s72
	v_mov_b32_e32 v90, 0x7f800001
	s_xor_b32 exec_lo, exec_lo, s72
	s_cbranch_execz .LBB4_771
.LBB4_1599:                             ;   in Loop: Header=BB4_356 Depth=4
	v_cmp_ne_u16_sdwa s73, v22, v2 src0_sel:BYTE_3 src1_sel:DWORD
	v_mov_b32_e32 v90, 0
	s_andn2_b32 s16, s16, exec_lo
	s_and_b32 s73, s73, exec_lo
	s_or_b32 s16, s16, s73
	s_or_b32 exec_lo, exec_lo, s72
	s_and_saveexec_b32 s72, s16
	s_cbranch_execnz .LBB4_772
	s_branch .LBB4_773
.LBB4_1600:                             ;   in Loop: Header=BB4_356 Depth=4
	s_or_saveexec_b32 s72, s72
	v_mov_b32_e32 v22, 0x7f800001
	s_xor_b32 exec_lo, exec_lo, s72
	s_cbranch_execz .LBB4_777
.LBB4_1601:                             ;   in Loop: Header=BB4_356 Depth=4
	v_cmp_ne_u16_sdwa s73, v18, v2 src0_sel:BYTE_3 src1_sel:DWORD
	v_mov_b32_e32 v22, 0
	s_andn2_b32 s16, s16, exec_lo
	s_and_b32 s73, s73, exec_lo
	s_or_b32 s16, s16, s73
	s_or_b32 exec_lo, exec_lo, s72
	s_and_saveexec_b32 s72, s16
	s_cbranch_execnz .LBB4_778
	s_branch .LBB4_779
.LBB4_1602:                             ;   in Loop: Header=BB4_356 Depth=4
	s_or_saveexec_b32 s72, s72
	v_mov_b32_e32 v22, 0x7f800001
	s_xor_b32 exec_lo, exec_lo, s72
	s_cbranch_execz .LBB4_793
.LBB4_1603:                             ;   in Loop: Header=BB4_356 Depth=4
	v_cmp_ne_u16_sdwa s73, v23, v2 src0_sel:BYTE_0 src1_sel:DWORD
	v_mov_b32_e32 v22, 0
	s_andn2_b32 s16, s16, exec_lo
	s_and_b32 s73, s73, exec_lo
	s_or_b32 s16, s16, s73
	s_or_b32 exec_lo, exec_lo, s72
	s_and_saveexec_b32 s72, s16
	s_cbranch_execnz .LBB4_794
	s_branch .LBB4_795
.LBB4_1604:                             ;   in Loop: Header=BB4_356 Depth=4
	s_or_saveexec_b32 s72, s72
	v_mov_b32_e32 v90, 0x7f800001
	s_xor_b32 exec_lo, exec_lo, s72
	s_cbranch_execz .LBB4_799
.LBB4_1605:                             ;   in Loop: Header=BB4_356 Depth=4
	v_cmp_ne_u16_sdwa s73, v19, v2 src0_sel:BYTE_0 src1_sel:DWORD
	v_mov_b32_e32 v90, 0
	s_andn2_b32 s16, s16, exec_lo
	s_and_b32 s73, s73, exec_lo
	s_or_b32 s16, s16, s73
	s_or_b32 exec_lo, exec_lo, s72
	s_and_saveexec_b32 s72, s16
	s_cbranch_execnz .LBB4_800
	s_branch .LBB4_801
.LBB4_1606:                             ;   in Loop: Header=BB4_356 Depth=4
	s_or_saveexec_b32 s72, s72
	v_mov_b32_e32 v22, 0x7f800001
	s_xor_b32 exec_lo, exec_lo, s72
	s_cbranch_execz .LBB4_807
.LBB4_1607:                             ;   in Loop: Header=BB4_356 Depth=4
	v_cmp_ne_u16_sdwa s73, v23, v2 src0_sel:BYTE_0 src1_sel:DWORD
	v_mov_b32_e32 v22, 0
	s_andn2_b32 s16, s16, exec_lo
	s_and_b32 s73, s73, exec_lo
	s_or_b32 s16, s16, s73
	s_or_b32 exec_lo, exec_lo, s72
	s_and_saveexec_b32 s72, s16
	s_cbranch_execnz .LBB4_808
	s_branch .LBB4_809
.LBB4_1608:                             ;   in Loop: Header=BB4_356 Depth=4
	s_or_saveexec_b32 s72, s72
	v_mov_b32_e32 v90, 0x7f800001
	s_xor_b32 exec_lo, exec_lo, s72
	s_cbranch_execz .LBB4_813
.LBB4_1609:                             ;   in Loop: Header=BB4_356 Depth=4
	v_cmp_ne_u16_sdwa s73, v19, v2 src0_sel:BYTE_0 src1_sel:DWORD
	v_mov_b32_e32 v90, 0
	s_andn2_b32 s16, s16, exec_lo
	s_and_b32 s73, s73, exec_lo
	s_or_b32 s16, s16, s73
	s_or_b32 exec_lo, exec_lo, s72
	s_and_saveexec_b32 s72, s16
	s_cbranch_execnz .LBB4_814
	s_branch .LBB4_815
.LBB4_1610:                             ;   in Loop: Header=BB4_356 Depth=4
	s_or_saveexec_b32 s72, s72
	v_mov_b32_e32 v90, 0x7f800001
	s_xor_b32 exec_lo, exec_lo, s72
	s_cbranch_execz .LBB4_829
.LBB4_1611:                             ;   in Loop: Header=BB4_356 Depth=4
	v_cmp_ne_u16_sdwa s73, v23, v2 src0_sel:BYTE_1 src1_sel:DWORD
	v_mov_b32_e32 v90, 0
	s_andn2_b32 s16, s16, exec_lo
	s_and_b32 s73, s73, exec_lo
	s_or_b32 s16, s16, s73
	s_or_b32 exec_lo, exec_lo, s72
	s_and_saveexec_b32 s72, s16
	s_cbranch_execnz .LBB4_830
	s_branch .LBB4_831
.LBB4_1612:                             ;   in Loop: Header=BB4_356 Depth=4
	s_or_saveexec_b32 s72, s72
	v_mov_b32_e32 v91, 0x7f800001
	s_xor_b32 exec_lo, exec_lo, s72
	s_cbranch_execz .LBB4_835
.LBB4_1613:                             ;   in Loop: Header=BB4_356 Depth=4
	v_cmp_ne_u16_sdwa s73, v19, v2 src0_sel:BYTE_1 src1_sel:DWORD
	v_mov_b32_e32 v91, 0
	s_andn2_b32 s16, s16, exec_lo
	s_and_b32 s73, s73, exec_lo
	s_or_b32 s16, s16, s73
	s_or_b32 exec_lo, exec_lo, s72
	s_and_saveexec_b32 s72, s16
	s_cbranch_execnz .LBB4_836
	s_branch .LBB4_837
.LBB4_1614:                             ;   in Loop: Header=BB4_356 Depth=4
	s_or_saveexec_b32 s72, s72
	v_mov_b32_e32 v90, 0x7f800001
	s_xor_b32 exec_lo, exec_lo, s72
	s_cbranch_execz .LBB4_843
.LBB4_1615:                             ;   in Loop: Header=BB4_356 Depth=4
	v_cmp_ne_u16_sdwa s73, v23, v2 src0_sel:BYTE_1 src1_sel:DWORD
	v_mov_b32_e32 v90, 0
	s_andn2_b32 s16, s16, exec_lo
	s_and_b32 s73, s73, exec_lo
	s_or_b32 s16, s16, s73
	s_or_b32 exec_lo, exec_lo, s72
	s_and_saveexec_b32 s72, s16
	s_cbranch_execnz .LBB4_844
	s_branch .LBB4_845
.LBB4_1616:                             ;   in Loop: Header=BB4_356 Depth=4
	s_or_saveexec_b32 s72, s72
	v_mov_b32_e32 v91, 0x7f800001
	s_xor_b32 exec_lo, exec_lo, s72
	s_cbranch_execz .LBB4_849
.LBB4_1617:                             ;   in Loop: Header=BB4_356 Depth=4
	v_cmp_ne_u16_sdwa s73, v19, v2 src0_sel:BYTE_1 src1_sel:DWORD
	v_mov_b32_e32 v91, 0
	s_andn2_b32 s16, s16, exec_lo
	s_and_b32 s73, s73, exec_lo
	s_or_b32 s16, s16, s73
	s_or_b32 exec_lo, exec_lo, s72
	s_and_saveexec_b32 s72, s16
	s_cbranch_execnz .LBB4_850
	s_branch .LBB4_851
.LBB4_1618:                             ;   in Loop: Header=BB4_356 Depth=4
	s_or_saveexec_b32 s16, s16
	v_mov_b32_e32 v92, 0x7f800001
	s_xor_b32 exec_lo, exec_lo, s16
	s_cbranch_execz .LBB4_865
.LBB4_1619:                             ;   in Loop: Header=BB4_356 Depth=4
	v_cmp_ne_u16_e32 vcc_lo, 0, v91
	v_mov_b32_e32 v92, 0
	s_andn2_b32 s72, s72, exec_lo
	s_and_b32 s73, vcc_lo, exec_lo
	s_or_b32 s72, s72, s73
	s_or_b32 exec_lo, exec_lo, s16
	s_and_saveexec_b32 s16, s72
	s_cbranch_execnz .LBB4_866
	s_branch .LBB4_867
.LBB4_1620:                             ;   in Loop: Header=BB4_356 Depth=4
	s_or_saveexec_b32 s72, s72
	v_mov_b32_e32 v93, 0x7f800001
	s_xor_b32 exec_lo, exec_lo, s72
	s_cbranch_execz .LBB4_871
.LBB4_1621:                             ;   in Loop: Header=BB4_356 Depth=4
	v_cmp_ne_u16_e32 vcc_lo, 0, v94
	v_mov_b32_e32 v93, 0
	s_andn2_b32 s16, s16, exec_lo
	s_and_b32 s73, vcc_lo, exec_lo
	s_or_b32 s16, s16, s73
	s_or_b32 exec_lo, exec_lo, s72
	s_and_saveexec_b32 s72, s16
	s_cbranch_execnz .LBB4_872
	s_branch .LBB4_873
.LBB4_1622:                             ;   in Loop: Header=BB4_356 Depth=4
	s_or_saveexec_b32 s72, s72
	v_mov_b32_e32 v92, 0x7f800001
	s_xor_b32 exec_lo, exec_lo, s72
	s_cbranch_execz .LBB4_879
.LBB4_1623:                             ;   in Loop: Header=BB4_356 Depth=4
	v_cmp_ne_u16_e32 vcc_lo, 0, v91
	v_mov_b32_e32 v92, 0
	s_andn2_b32 s16, s16, exec_lo
	s_and_b32 s73, vcc_lo, exec_lo
	s_or_b32 s16, s16, s73
	s_or_b32 exec_lo, exec_lo, s72
	s_and_saveexec_b32 s72, s16
	s_cbranch_execnz .LBB4_880
	s_branch .LBB4_881
.LBB4_1624:                             ;   in Loop: Header=BB4_356 Depth=4
	s_or_saveexec_b32 s72, s72
	v_mov_b32_e32 v91, 0x7f800001
	s_xor_b32 exec_lo, exec_lo, s72
	s_cbranch_execz .LBB4_885
.LBB4_1625:                             ;   in Loop: Header=BB4_356 Depth=4
	v_cmp_ne_u16_e32 vcc_lo, 0, v93
	v_mov_b32_e32 v91, 0
	s_andn2_b32 s16, s16, exec_lo
	s_and_b32 s73, vcc_lo, exec_lo
	s_or_b32 s16, s16, s73
	s_or_b32 exec_lo, exec_lo, s72
	s_and_saveexec_b32 s72, s16
	s_cbranch_execnz .LBB4_886
	s_branch .LBB4_887
.LBB4_1626:                             ;   in Loop: Header=BB4_356 Depth=4
	s_or_saveexec_b32 s72, s72
	v_mov_b32_e32 v92, 0x7f800001
	s_xor_b32 exec_lo, exec_lo, s72
	s_cbranch_execz .LBB4_901
.LBB4_1627:                             ;   in Loop: Header=BB4_356 Depth=4
	v_cmp_ne_u16_sdwa s73, v23, v2 src0_sel:BYTE_3 src1_sel:DWORD
	v_mov_b32_e32 v92, 0
	s_andn2_b32 s16, s16, exec_lo
	s_and_b32 s73, s73, exec_lo
	s_or_b32 s16, s16, s73
	s_or_b32 exec_lo, exec_lo, s72
	s_and_saveexec_b32 s72, s16
	s_cbranch_execnz .LBB4_902
	s_branch .LBB4_903
.LBB4_1628:                             ;   in Loop: Header=BB4_356 Depth=4
	s_or_saveexec_b32 s72, s72
	v_mov_b32_e32 v93, 0x7f800001
	s_xor_b32 exec_lo, exec_lo, s72
	s_cbranch_execz .LBB4_907
.LBB4_1629:                             ;   in Loop: Header=BB4_356 Depth=4
	v_cmp_ne_u16_sdwa s73, v19, v2 src0_sel:BYTE_3 src1_sel:DWORD
	v_mov_b32_e32 v93, 0
	s_andn2_b32 s16, s16, exec_lo
	s_and_b32 s73, s73, exec_lo
	s_or_b32 s16, s16, s73
	s_or_b32 exec_lo, exec_lo, s72
	s_and_saveexec_b32 s72, s16
	s_cbranch_execnz .LBB4_908
	s_branch .LBB4_909
.LBB4_1630:                             ;   in Loop: Header=BB4_356 Depth=4
	s_or_saveexec_b32 s72, s72
	v_mov_b32_e32 v92, 0x7f800001
	s_xor_b32 exec_lo, exec_lo, s72
	s_cbranch_execz .LBB4_915
.LBB4_1631:                             ;   in Loop: Header=BB4_356 Depth=4
	v_cmp_ne_u16_sdwa s73, v23, v2 src0_sel:BYTE_3 src1_sel:DWORD
	v_mov_b32_e32 v92, 0
	s_andn2_b32 s16, s16, exec_lo
	s_and_b32 s73, s73, exec_lo
	s_or_b32 s16, s16, s73
	s_or_b32 exec_lo, exec_lo, s72
	s_and_saveexec_b32 s72, s16
	s_cbranch_execnz .LBB4_916
	s_branch .LBB4_917
.LBB4_1632:                             ;   in Loop: Header=BB4_356 Depth=4
	s_or_saveexec_b32 s72, s72
	v_mov_b32_e32 v23, 0x7f800001
	s_xor_b32 exec_lo, exec_lo, s72
	s_cbranch_execz .LBB4_921
.LBB4_1633:                             ;   in Loop: Header=BB4_356 Depth=4
	v_cmp_ne_u16_sdwa s73, v19, v2 src0_sel:BYTE_3 src1_sel:DWORD
	v_mov_b32_e32 v23, 0
	s_andn2_b32 s16, s16, exec_lo
	s_and_b32 s73, s73, exec_lo
	s_or_b32 s16, s16, s73
	s_or_b32 exec_lo, exec_lo, s72
	s_and_saveexec_b32 s72, s16
	s_cbranch_execnz .LBB4_922
	s_branch .LBB4_923
.LBB4_1634:                             ;   in Loop: Header=BB4_356 Depth=4
	s_or_saveexec_b32 s72, s72
	v_mov_b32_e32 v23, 0x7f800001
	s_xor_b32 exec_lo, exec_lo, s72
	s_cbranch_execz .LBB4_937
.LBB4_1635:                             ;   in Loop: Header=BB4_356 Depth=4
	v_cmp_ne_u16_sdwa s73, v12, v2 src0_sel:BYTE_0 src1_sel:DWORD
	v_mov_b32_e32 v23, 0
	s_andn2_b32 s16, s16, exec_lo
	s_and_b32 s73, s73, exec_lo
	s_or_b32 s16, s16, s73
	s_or_b32 exec_lo, exec_lo, s72
	s_and_saveexec_b32 s72, s16
	s_cbranch_execnz .LBB4_938
	s_branch .LBB4_939
.LBB4_1636:                             ;   in Loop: Header=BB4_356 Depth=4
	s_or_saveexec_b32 s72, s72
	v_mov_b32_e32 v92, 0x7f800001
	s_xor_b32 exec_lo, exec_lo, s72
	s_cbranch_execz .LBB4_943
.LBB4_1637:                             ;   in Loop: Header=BB4_356 Depth=4
	v_cmp_ne_u16_sdwa s73, v8, v2 src0_sel:BYTE_0 src1_sel:DWORD
	v_mov_b32_e32 v92, 0
	s_andn2_b32 s16, s16, exec_lo
	s_and_b32 s73, s73, exec_lo
	s_or_b32 s16, s16, s73
	s_or_b32 exec_lo, exec_lo, s72
	s_and_saveexec_b32 s72, s16
	s_cbranch_execnz .LBB4_944
	s_branch .LBB4_945
.LBB4_1638:                             ;   in Loop: Header=BB4_356 Depth=4
	s_or_saveexec_b32 s72, s72
	v_mov_b32_e32 v23, 0x7f800001
	s_xor_b32 exec_lo, exec_lo, s72
	s_cbranch_execz .LBB4_951
.LBB4_1639:                             ;   in Loop: Header=BB4_356 Depth=4
	v_cmp_ne_u16_sdwa s73, v12, v2 src0_sel:BYTE_0 src1_sel:DWORD
	v_mov_b32_e32 v23, 0
	s_andn2_b32 s16, s16, exec_lo
	s_and_b32 s73, s73, exec_lo
	s_or_b32 s16, s16, s73
	s_or_b32 exec_lo, exec_lo, s72
	s_and_saveexec_b32 s72, s16
	s_cbranch_execnz .LBB4_952
	s_branch .LBB4_953
.LBB4_1640:                             ;   in Loop: Header=BB4_356 Depth=4
	s_or_saveexec_b32 s72, s72
	v_mov_b32_e32 v92, 0x7f800001
	s_xor_b32 exec_lo, exec_lo, s72
	s_cbranch_execz .LBB4_957
.LBB4_1641:                             ;   in Loop: Header=BB4_356 Depth=4
	v_cmp_ne_u16_sdwa s73, v8, v2 src0_sel:BYTE_0 src1_sel:DWORD
	v_mov_b32_e32 v92, 0
	s_andn2_b32 s16, s16, exec_lo
	s_and_b32 s73, s73, exec_lo
	s_or_b32 s16, s16, s73
	s_or_b32 exec_lo, exec_lo, s72
	s_and_saveexec_b32 s72, s16
	s_cbranch_execnz .LBB4_958
	s_branch .LBB4_959
.LBB4_1642:                             ;   in Loop: Header=BB4_356 Depth=4
	s_or_saveexec_b32 s72, s72
	v_mov_b32_e32 v92, 0x7f800001
	s_xor_b32 exec_lo, exec_lo, s72
	s_cbranch_execz .LBB4_973
.LBB4_1643:                             ;   in Loop: Header=BB4_356 Depth=4
	v_cmp_ne_u16_sdwa s73, v12, v2 src0_sel:BYTE_1 src1_sel:DWORD
	v_mov_b32_e32 v92, 0
	s_andn2_b32 s16, s16, exec_lo
	s_and_b32 s73, s73, exec_lo
	s_or_b32 s16, s16, s73
	s_or_b32 exec_lo, exec_lo, s72
	s_and_saveexec_b32 s72, s16
	s_cbranch_execnz .LBB4_974
	s_branch .LBB4_975
.LBB4_1644:                             ;   in Loop: Header=BB4_356 Depth=4
	s_or_saveexec_b32 s72, s72
	v_mov_b32_e32 v93, 0x7f800001
	s_xor_b32 exec_lo, exec_lo, s72
	s_cbranch_execz .LBB4_979
.LBB4_1645:                             ;   in Loop: Header=BB4_356 Depth=4
	v_cmp_ne_u16_sdwa s73, v8, v2 src0_sel:BYTE_1 src1_sel:DWORD
	v_mov_b32_e32 v93, 0
	s_andn2_b32 s16, s16, exec_lo
	s_and_b32 s73, s73, exec_lo
	s_or_b32 s16, s16, s73
	s_or_b32 exec_lo, exec_lo, s72
	s_and_saveexec_b32 s72, s16
	s_cbranch_execnz .LBB4_980
	s_branch .LBB4_981
.LBB4_1646:                             ;   in Loop: Header=BB4_356 Depth=4
	s_or_saveexec_b32 s72, s72
	v_mov_b32_e32 v92, 0x7f800001
	s_xor_b32 exec_lo, exec_lo, s72
	s_cbranch_execz .LBB4_987
.LBB4_1647:                             ;   in Loop: Header=BB4_356 Depth=4
	v_cmp_ne_u16_sdwa s73, v12, v2 src0_sel:BYTE_1 src1_sel:DWORD
	v_mov_b32_e32 v92, 0
	s_andn2_b32 s16, s16, exec_lo
	s_and_b32 s73, s73, exec_lo
	s_or_b32 s16, s16, s73
	s_or_b32 exec_lo, exec_lo, s72
	s_and_saveexec_b32 s72, s16
	s_cbranch_execnz .LBB4_988
	s_branch .LBB4_989
.LBB4_1648:                             ;   in Loop: Header=BB4_356 Depth=4
	s_or_saveexec_b32 s72, s72
	v_mov_b32_e32 v93, 0x7f800001
	s_xor_b32 exec_lo, exec_lo, s72
	s_cbranch_execz .LBB4_993
.LBB4_1649:                             ;   in Loop: Header=BB4_356 Depth=4
	v_cmp_ne_u16_sdwa s73, v8, v2 src0_sel:BYTE_1 src1_sel:DWORD
	v_mov_b32_e32 v93, 0
	s_andn2_b32 s16, s16, exec_lo
	s_and_b32 s73, s73, exec_lo
	s_or_b32 s16, s16, s73
	s_or_b32 exec_lo, exec_lo, s72
	s_and_saveexec_b32 s72, s16
	s_cbranch_execnz .LBB4_994
	s_branch .LBB4_995
.LBB4_1650:                             ;   in Loop: Header=BB4_356 Depth=4
	s_or_saveexec_b32 s16, s16
	v_mov_b32_e32 v94, 0x7f800001
	s_xor_b32 exec_lo, exec_lo, s16
	s_cbranch_execz .LBB4_1009
.LBB4_1651:                             ;   in Loop: Header=BB4_356 Depth=4
	v_cmp_ne_u16_e32 vcc_lo, 0, v93
	v_mov_b32_e32 v94, 0
	s_andn2_b32 s72, s72, exec_lo
	s_and_b32 s73, vcc_lo, exec_lo
	s_or_b32 s72, s72, s73
	s_or_b32 exec_lo, exec_lo, s16
	s_and_saveexec_b32 s16, s72
	s_cbranch_execnz .LBB4_1010
	s_branch .LBB4_1011
.LBB4_1652:                             ;   in Loop: Header=BB4_356 Depth=4
	s_or_saveexec_b32 s72, s72
	v_mov_b32_e32 v95, 0x7f800001
	s_xor_b32 exec_lo, exec_lo, s72
	s_cbranch_execz .LBB4_1015
.LBB4_1653:                             ;   in Loop: Header=BB4_356 Depth=4
	v_cmp_ne_u16_e32 vcc_lo, 0, v104
	v_mov_b32_e32 v95, 0
	s_andn2_b32 s16, s16, exec_lo
	s_and_b32 s73, vcc_lo, exec_lo
	s_or_b32 s16, s16, s73
	s_or_b32 exec_lo, exec_lo, s72
	s_and_saveexec_b32 s72, s16
	s_cbranch_execnz .LBB4_1016
	s_branch .LBB4_1017
.LBB4_1654:                             ;   in Loop: Header=BB4_356 Depth=4
	s_or_saveexec_b32 s72, s72
	v_mov_b32_e32 v94, 0x7f800001
	s_xor_b32 exec_lo, exec_lo, s72
	s_cbranch_execz .LBB4_1023
.LBB4_1655:                             ;   in Loop: Header=BB4_356 Depth=4
	v_cmp_ne_u16_e32 vcc_lo, 0, v93
	v_mov_b32_e32 v94, 0
	s_andn2_b32 s16, s16, exec_lo
	s_and_b32 s73, vcc_lo, exec_lo
	s_or_b32 s16, s16, s73
	s_or_b32 exec_lo, exec_lo, s72
	s_and_saveexec_b32 s72, s16
	s_cbranch_execnz .LBB4_1024
	s_branch .LBB4_1025
.LBB4_1656:                             ;   in Loop: Header=BB4_356 Depth=4
	s_or_saveexec_b32 s72, s72
	v_mov_b32_e32 v93, 0x7f800001
	s_xor_b32 exec_lo, exec_lo, s72
	s_cbranch_execz .LBB4_1029
.LBB4_1657:                             ;   in Loop: Header=BB4_356 Depth=4
	v_cmp_ne_u16_e32 vcc_lo, 0, v95
	v_mov_b32_e32 v93, 0
	s_andn2_b32 s16, s16, exec_lo
	s_and_b32 s73, vcc_lo, exec_lo
	s_or_b32 s16, s16, s73
	s_or_b32 exec_lo, exec_lo, s72
	s_and_saveexec_b32 s72, s16
	s_cbranch_execnz .LBB4_1030
	s_branch .LBB4_1031
.LBB4_1658:                             ;   in Loop: Header=BB4_356 Depth=4
	s_or_saveexec_b32 s72, s72
	v_mov_b32_e32 v94, 0x7f800001
	s_xor_b32 exec_lo, exec_lo, s72
	s_cbranch_execz .LBB4_1045
.LBB4_1659:                             ;   in Loop: Header=BB4_356 Depth=4
	v_cmp_ne_u16_sdwa s73, v12, v2 src0_sel:BYTE_3 src1_sel:DWORD
	v_mov_b32_e32 v94, 0
	s_andn2_b32 s16, s16, exec_lo
	s_and_b32 s73, s73, exec_lo
	s_or_b32 s16, s16, s73
	s_or_b32 exec_lo, exec_lo, s72
	s_and_saveexec_b32 s72, s16
	s_cbranch_execnz .LBB4_1046
	s_branch .LBB4_1047
.LBB4_1660:                             ;   in Loop: Header=BB4_356 Depth=4
	s_or_saveexec_b32 s72, s72
	v_mov_b32_e32 v95, 0x7f800001
	s_xor_b32 exec_lo, exec_lo, s72
	s_cbranch_execz .LBB4_1051
.LBB4_1661:                             ;   in Loop: Header=BB4_356 Depth=4
	v_cmp_ne_u16_sdwa s73, v8, v2 src0_sel:BYTE_3 src1_sel:DWORD
	v_mov_b32_e32 v95, 0
	s_andn2_b32 s16, s16, exec_lo
	s_and_b32 s73, s73, exec_lo
	s_or_b32 s16, s16, s73
	s_or_b32 exec_lo, exec_lo, s72
	s_and_saveexec_b32 s72, s16
	s_cbranch_execnz .LBB4_1052
	s_branch .LBB4_1053
.LBB4_1662:                             ;   in Loop: Header=BB4_356 Depth=4
	s_or_saveexec_b32 s72, s72
	v_mov_b32_e32 v94, 0x7f800001
	s_xor_b32 exec_lo, exec_lo, s72
	s_cbranch_execz .LBB4_1059
.LBB4_1663:                             ;   in Loop: Header=BB4_356 Depth=4
	v_cmp_ne_u16_sdwa s73, v12, v2 src0_sel:BYTE_3 src1_sel:DWORD
	v_mov_b32_e32 v94, 0
	s_andn2_b32 s16, s16, exec_lo
	s_and_b32 s73, s73, exec_lo
	s_or_b32 s16, s16, s73
	s_or_b32 exec_lo, exec_lo, s72
	s_and_saveexec_b32 s72, s16
	s_cbranch_execnz .LBB4_1060
	s_branch .LBB4_1061
.LBB4_1664:                             ;   in Loop: Header=BB4_356 Depth=4
	s_or_saveexec_b32 s72, s72
	v_mov_b32_e32 v12, 0x7f800001
	s_xor_b32 exec_lo, exec_lo, s72
	s_cbranch_execz .LBB4_1065
.LBB4_1665:                             ;   in Loop: Header=BB4_356 Depth=4
	v_cmp_ne_u16_sdwa s73, v8, v2 src0_sel:BYTE_3 src1_sel:DWORD
	v_mov_b32_e32 v12, 0
	s_andn2_b32 s16, s16, exec_lo
	s_and_b32 s73, s73, exec_lo
	s_or_b32 s16, s16, s73
	s_or_b32 exec_lo, exec_lo, s72
	s_and_saveexec_b32 s72, s16
	s_cbranch_execnz .LBB4_1066
	s_branch .LBB4_1067
.LBB4_1666:                             ;   in Loop: Header=BB4_356 Depth=4
	s_or_saveexec_b32 s72, s72
	v_mov_b32_e32 v12, 0x7f800001
	s_xor_b32 exec_lo, exec_lo, s72
	s_cbranch_execz .LBB4_1081
.LBB4_1667:                             ;   in Loop: Header=BB4_356 Depth=4
	v_cmp_ne_u16_sdwa s73, v13, v2 src0_sel:BYTE_0 src1_sel:DWORD
	v_mov_b32_e32 v12, 0
	s_andn2_b32 s16, s16, exec_lo
	s_and_b32 s73, s73, exec_lo
	s_or_b32 s16, s16, s73
	s_or_b32 exec_lo, exec_lo, s72
	s_and_saveexec_b32 s72, s16
	s_cbranch_execnz .LBB4_1082
	s_branch .LBB4_1083
.LBB4_1668:                             ;   in Loop: Header=BB4_356 Depth=4
	s_or_saveexec_b32 s72, s72
	v_mov_b32_e32 v94, 0x7f800001
	s_xor_b32 exec_lo, exec_lo, s72
	s_cbranch_execz .LBB4_1087
.LBB4_1669:                             ;   in Loop: Header=BB4_356 Depth=4
	v_cmp_ne_u16_sdwa s73, v9, v2 src0_sel:BYTE_0 src1_sel:DWORD
	v_mov_b32_e32 v94, 0
	s_andn2_b32 s16, s16, exec_lo
	s_and_b32 s73, s73, exec_lo
	s_or_b32 s16, s16, s73
	s_or_b32 exec_lo, exec_lo, s72
	s_and_saveexec_b32 s72, s16
	s_cbranch_execnz .LBB4_1088
	s_branch .LBB4_1089
.LBB4_1670:                             ;   in Loop: Header=BB4_356 Depth=4
	s_or_saveexec_b32 s72, s72
	v_mov_b32_e32 v12, 0x7f800001
	s_xor_b32 exec_lo, exec_lo, s72
	s_cbranch_execz .LBB4_1095
.LBB4_1671:                             ;   in Loop: Header=BB4_356 Depth=4
	v_cmp_ne_u16_sdwa s73, v13, v2 src0_sel:BYTE_0 src1_sel:DWORD
	v_mov_b32_e32 v12, 0
	s_andn2_b32 s16, s16, exec_lo
	s_and_b32 s73, s73, exec_lo
	s_or_b32 s16, s16, s73
	s_or_b32 exec_lo, exec_lo, s72
	s_and_saveexec_b32 s72, s16
	s_cbranch_execnz .LBB4_1096
	s_branch .LBB4_1097
.LBB4_1672:                             ;   in Loop: Header=BB4_356 Depth=4
	s_or_saveexec_b32 s72, s72
	v_mov_b32_e32 v94, 0x7f800001
	s_xor_b32 exec_lo, exec_lo, s72
	s_cbranch_execz .LBB4_1101
.LBB4_1673:                             ;   in Loop: Header=BB4_356 Depth=4
	v_cmp_ne_u16_sdwa s73, v9, v2 src0_sel:BYTE_0 src1_sel:DWORD
	v_mov_b32_e32 v94, 0
	s_andn2_b32 s16, s16, exec_lo
	s_and_b32 s73, s73, exec_lo
	s_or_b32 s16, s16, s73
	s_or_b32 exec_lo, exec_lo, s72
	s_and_saveexec_b32 s72, s16
	s_cbranch_execnz .LBB4_1102
	s_branch .LBB4_1103
.LBB4_1674:                             ;   in Loop: Header=BB4_356 Depth=4
	s_or_saveexec_b32 s72, s72
	v_mov_b32_e32 v94, 0x7f800001
	s_xor_b32 exec_lo, exec_lo, s72
	s_cbranch_execz .LBB4_1117
.LBB4_1675:                             ;   in Loop: Header=BB4_356 Depth=4
	v_cmp_ne_u16_sdwa s73, v13, v2 src0_sel:BYTE_1 src1_sel:DWORD
	v_mov_b32_e32 v94, 0
	s_andn2_b32 s16, s16, exec_lo
	s_and_b32 s73, s73, exec_lo
	s_or_b32 s16, s16, s73
	s_or_b32 exec_lo, exec_lo, s72
	s_and_saveexec_b32 s72, s16
	s_cbranch_execnz .LBB4_1118
	s_branch .LBB4_1119
.LBB4_1676:                             ;   in Loop: Header=BB4_356 Depth=4
	s_or_saveexec_b32 s72, s72
	v_mov_b32_e32 v95, 0x7f800001
	s_xor_b32 exec_lo, exec_lo, s72
	s_cbranch_execz .LBB4_1123
.LBB4_1677:                             ;   in Loop: Header=BB4_356 Depth=4
	v_cmp_ne_u16_sdwa s73, v9, v2 src0_sel:BYTE_1 src1_sel:DWORD
	v_mov_b32_e32 v95, 0
	s_andn2_b32 s16, s16, exec_lo
	s_and_b32 s73, s73, exec_lo
	s_or_b32 s16, s16, s73
	s_or_b32 exec_lo, exec_lo, s72
	s_and_saveexec_b32 s72, s16
	s_cbranch_execnz .LBB4_1124
	s_branch .LBB4_1125
.LBB4_1678:                             ;   in Loop: Header=BB4_356 Depth=4
	s_or_saveexec_b32 s72, s72
	v_mov_b32_e32 v94, 0x7f800001
	s_xor_b32 exec_lo, exec_lo, s72
	s_cbranch_execz .LBB4_1131
.LBB4_1679:                             ;   in Loop: Header=BB4_356 Depth=4
	v_cmp_ne_u16_sdwa s73, v13, v2 src0_sel:BYTE_1 src1_sel:DWORD
	v_mov_b32_e32 v94, 0
	s_andn2_b32 s16, s16, exec_lo
	s_and_b32 s73, s73, exec_lo
	s_or_b32 s16, s16, s73
	s_or_b32 exec_lo, exec_lo, s72
	s_and_saveexec_b32 s72, s16
	s_cbranch_execnz .LBB4_1132
	s_branch .LBB4_1133
.LBB4_1680:                             ;   in Loop: Header=BB4_356 Depth=4
	s_or_saveexec_b32 s72, s72
	v_mov_b32_e32 v95, 0x7f800001
	s_xor_b32 exec_lo, exec_lo, s72
	s_cbranch_execz .LBB4_1137
.LBB4_1681:                             ;   in Loop: Header=BB4_356 Depth=4
	v_cmp_ne_u16_sdwa s73, v9, v2 src0_sel:BYTE_1 src1_sel:DWORD
	v_mov_b32_e32 v95, 0
	s_andn2_b32 s16, s16, exec_lo
	s_and_b32 s73, s73, exec_lo
	s_or_b32 s16, s16, s73
	s_or_b32 exec_lo, exec_lo, s72
	s_and_saveexec_b32 s72, s16
	s_cbranch_execnz .LBB4_1138
	s_branch .LBB4_1139
.LBB4_1682:                             ;   in Loop: Header=BB4_356 Depth=4
	s_or_saveexec_b32 s16, s16
	v_mov_b32_e32 v104, 0x7f800001
	s_xor_b32 exec_lo, exec_lo, s16
	s_cbranch_execz .LBB4_1153
.LBB4_1683:                             ;   in Loop: Header=BB4_356 Depth=4
	v_cmp_ne_u16_e32 vcc_lo, 0, v95
	v_mov_b32_e32 v104, 0
	s_andn2_b32 s72, s72, exec_lo
	s_and_b32 s73, vcc_lo, exec_lo
	s_or_b32 s72, s72, s73
	s_or_b32 exec_lo, exec_lo, s16
	s_and_saveexec_b32 s16, s72
	s_cbranch_execnz .LBB4_1154
	s_branch .LBB4_1155
.LBB4_1684:                             ;   in Loop: Header=BB4_356 Depth=4
	s_or_saveexec_b32 s72, s72
	v_mov_b32_e32 v105, 0x7f800001
	s_xor_b32 exec_lo, exec_lo, s72
	s_cbranch_execz .LBB4_1159
.LBB4_1685:                             ;   in Loop: Header=BB4_356 Depth=4
	v_cmp_ne_u16_e32 vcc_lo, 0, v106
	v_mov_b32_e32 v105, 0
	s_andn2_b32 s16, s16, exec_lo
	s_and_b32 s73, vcc_lo, exec_lo
	s_or_b32 s16, s16, s73
	s_or_b32 exec_lo, exec_lo, s72
	s_and_saveexec_b32 s72, s16
	s_cbranch_execnz .LBB4_1160
	s_branch .LBB4_1161
.LBB4_1686:                             ;   in Loop: Header=BB4_356 Depth=4
	s_or_saveexec_b32 s72, s72
	v_mov_b32_e32 v104, 0x7f800001
	s_xor_b32 exec_lo, exec_lo, s72
	s_cbranch_execz .LBB4_1167
.LBB4_1687:                             ;   in Loop: Header=BB4_356 Depth=4
	v_cmp_ne_u16_e32 vcc_lo, 0, v95
	v_mov_b32_e32 v104, 0
	s_andn2_b32 s16, s16, exec_lo
	s_and_b32 s73, vcc_lo, exec_lo
	s_or_b32 s16, s16, s73
	s_or_b32 exec_lo, exec_lo, s72
	s_and_saveexec_b32 s72, s16
	s_cbranch_execnz .LBB4_1168
	s_branch .LBB4_1169
.LBB4_1688:                             ;   in Loop: Header=BB4_356 Depth=4
	s_or_saveexec_b32 s72, s72
	v_mov_b32_e32 v95, 0x7f800001
	s_xor_b32 exec_lo, exec_lo, s72
	s_cbranch_execz .LBB4_1173
.LBB4_1689:                             ;   in Loop: Header=BB4_356 Depth=4
	v_cmp_ne_u16_e32 vcc_lo, 0, v105
	v_mov_b32_e32 v95, 0
	s_andn2_b32 s16, s16, exec_lo
	s_and_b32 s73, vcc_lo, exec_lo
	s_or_b32 s16, s16, s73
	s_or_b32 exec_lo, exec_lo, s72
	s_and_saveexec_b32 s72, s16
	s_cbranch_execnz .LBB4_1174
	s_branch .LBB4_1175
.LBB4_1690:                             ;   in Loop: Header=BB4_356 Depth=4
	s_or_saveexec_b32 s72, s72
	v_mov_b32_e32 v104, 0x7f800001
	s_xor_b32 exec_lo, exec_lo, s72
	s_cbranch_execz .LBB4_1189
.LBB4_1691:                             ;   in Loop: Header=BB4_356 Depth=4
	v_cmp_ne_u16_sdwa s73, v13, v2 src0_sel:BYTE_3 src1_sel:DWORD
	v_mov_b32_e32 v104, 0
	s_andn2_b32 s16, s16, exec_lo
	s_and_b32 s73, s73, exec_lo
	s_or_b32 s16, s16, s73
	s_or_b32 exec_lo, exec_lo, s72
	s_and_saveexec_b32 s72, s16
	s_cbranch_execnz .LBB4_1190
	s_branch .LBB4_1191
.LBB4_1692:                             ;   in Loop: Header=BB4_356 Depth=4
	s_or_saveexec_b32 s72, s72
	v_mov_b32_e32 v105, 0x7f800001
	s_xor_b32 exec_lo, exec_lo, s72
	s_cbranch_execz .LBB4_1195
.LBB4_1693:                             ;   in Loop: Header=BB4_356 Depth=4
	v_cmp_ne_u16_sdwa s73, v9, v2 src0_sel:BYTE_3 src1_sel:DWORD
	v_mov_b32_e32 v105, 0
	s_andn2_b32 s16, s16, exec_lo
	s_and_b32 s73, s73, exec_lo
	s_or_b32 s16, s16, s73
	s_or_b32 exec_lo, exec_lo, s72
	s_and_saveexec_b32 s72, s16
	s_cbranch_execnz .LBB4_1196
	s_branch .LBB4_1197
.LBB4_1694:                             ;   in Loop: Header=BB4_356 Depth=4
	s_or_saveexec_b32 s72, s72
	v_mov_b32_e32 v104, 0x7f800001
	s_xor_b32 exec_lo, exec_lo, s72
	s_cbranch_execz .LBB4_1203
.LBB4_1695:                             ;   in Loop: Header=BB4_356 Depth=4
	v_cmp_ne_u16_sdwa s73, v13, v2 src0_sel:BYTE_3 src1_sel:DWORD
	v_mov_b32_e32 v104, 0
	s_andn2_b32 s16, s16, exec_lo
	s_and_b32 s73, s73, exec_lo
	s_or_b32 s16, s16, s73
	s_or_b32 exec_lo, exec_lo, s72
	s_and_saveexec_b32 s72, s16
	s_cbranch_execnz .LBB4_1204
	s_branch .LBB4_1205
.LBB4_1696:                             ;   in Loop: Header=BB4_356 Depth=4
	s_or_saveexec_b32 s72, s72
	v_mov_b32_e32 v13, 0x7f800001
	s_xor_b32 exec_lo, exec_lo, s72
	s_cbranch_execz .LBB4_1209
.LBB4_1697:                             ;   in Loop: Header=BB4_356 Depth=4
	v_cmp_ne_u16_sdwa s73, v9, v2 src0_sel:BYTE_3 src1_sel:DWORD
	v_mov_b32_e32 v13, 0
	s_andn2_b32 s16, s16, exec_lo
	s_and_b32 s73, s73, exec_lo
	s_or_b32 s16, s16, s73
	s_or_b32 exec_lo, exec_lo, s72
	s_and_saveexec_b32 s72, s16
	s_cbranch_execnz .LBB4_1210
	s_branch .LBB4_1211
.LBB4_1698:                             ;   in Loop: Header=BB4_356 Depth=4
	s_or_saveexec_b32 s72, s72
	v_mov_b32_e32 v13, 0x7f800001
	s_xor_b32 exec_lo, exec_lo, s72
	s_cbranch_execz .LBB4_1225
.LBB4_1699:                             ;   in Loop: Header=BB4_356 Depth=4
	v_cmp_ne_u16_sdwa s73, v14, v2 src0_sel:BYTE_0 src1_sel:DWORD
	v_mov_b32_e32 v13, 0
	s_andn2_b32 s16, s16, exec_lo
	s_and_b32 s73, s73, exec_lo
	s_or_b32 s16, s16, s73
	s_or_b32 exec_lo, exec_lo, s72
	s_and_saveexec_b32 s72, s16
	s_cbranch_execnz .LBB4_1226
	s_branch .LBB4_1227
.LBB4_1700:                             ;   in Loop: Header=BB4_356 Depth=4
	s_or_saveexec_b32 s72, s72
	v_mov_b32_e32 v104, 0x7f800001
	s_xor_b32 exec_lo, exec_lo, s72
	s_cbranch_execz .LBB4_1231
.LBB4_1701:                             ;   in Loop: Header=BB4_356 Depth=4
	v_cmp_ne_u16_sdwa s73, v10, v2 src0_sel:BYTE_0 src1_sel:DWORD
	v_mov_b32_e32 v104, 0
	s_andn2_b32 s16, s16, exec_lo
	s_and_b32 s73, s73, exec_lo
	s_or_b32 s16, s16, s73
	s_or_b32 exec_lo, exec_lo, s72
	s_and_saveexec_b32 s72, s16
	s_cbranch_execnz .LBB4_1232
	s_branch .LBB4_1233
.LBB4_1702:                             ;   in Loop: Header=BB4_356 Depth=4
	s_or_saveexec_b32 s72, s72
	v_mov_b32_e32 v13, 0x7f800001
	s_xor_b32 exec_lo, exec_lo, s72
	s_cbranch_execz .LBB4_1239
.LBB4_1703:                             ;   in Loop: Header=BB4_356 Depth=4
	v_cmp_ne_u16_sdwa s73, v14, v2 src0_sel:BYTE_0 src1_sel:DWORD
	v_mov_b32_e32 v13, 0
	s_andn2_b32 s16, s16, exec_lo
	s_and_b32 s73, s73, exec_lo
	s_or_b32 s16, s16, s73
	s_or_b32 exec_lo, exec_lo, s72
	s_and_saveexec_b32 s72, s16
	s_cbranch_execnz .LBB4_1240
	s_branch .LBB4_1241
.LBB4_1704:                             ;   in Loop: Header=BB4_356 Depth=4
	s_or_saveexec_b32 s72, s72
	v_mov_b32_e32 v104, 0x7f800001
	s_xor_b32 exec_lo, exec_lo, s72
	s_cbranch_execz .LBB4_1245
.LBB4_1705:                             ;   in Loop: Header=BB4_356 Depth=4
	v_cmp_ne_u16_sdwa s73, v10, v2 src0_sel:BYTE_0 src1_sel:DWORD
	v_mov_b32_e32 v104, 0
	s_andn2_b32 s16, s16, exec_lo
	s_and_b32 s73, s73, exec_lo
	s_or_b32 s16, s16, s73
	s_or_b32 exec_lo, exec_lo, s72
	s_and_saveexec_b32 s72, s16
	s_cbranch_execnz .LBB4_1246
	s_branch .LBB4_1247
.LBB4_1706:                             ;   in Loop: Header=BB4_356 Depth=4
	s_or_saveexec_b32 s72, s72
	v_mov_b32_e32 v104, 0x7f800001
	s_xor_b32 exec_lo, exec_lo, s72
	s_cbranch_execz .LBB4_1261
.LBB4_1707:                             ;   in Loop: Header=BB4_356 Depth=4
	v_cmp_ne_u16_sdwa s73, v14, v2 src0_sel:BYTE_1 src1_sel:DWORD
	v_mov_b32_e32 v104, 0
	s_andn2_b32 s16, s16, exec_lo
	s_and_b32 s73, s73, exec_lo
	s_or_b32 s16, s16, s73
	s_or_b32 exec_lo, exec_lo, s72
	s_and_saveexec_b32 s72, s16
	s_cbranch_execnz .LBB4_1262
	s_branch .LBB4_1263
.LBB4_1708:                             ;   in Loop: Header=BB4_356 Depth=4
	s_or_saveexec_b32 s72, s72
	v_mov_b32_e32 v105, 0x7f800001
	s_xor_b32 exec_lo, exec_lo, s72
	s_cbranch_execz .LBB4_1267
.LBB4_1709:                             ;   in Loop: Header=BB4_356 Depth=4
	v_cmp_ne_u16_sdwa s73, v10, v2 src0_sel:BYTE_1 src1_sel:DWORD
	v_mov_b32_e32 v105, 0
	s_andn2_b32 s16, s16, exec_lo
	s_and_b32 s73, s73, exec_lo
	s_or_b32 s16, s16, s73
	s_or_b32 exec_lo, exec_lo, s72
	s_and_saveexec_b32 s72, s16
	s_cbranch_execnz .LBB4_1268
	s_branch .LBB4_1269
.LBB4_1710:                             ;   in Loop: Header=BB4_356 Depth=4
	s_or_saveexec_b32 s72, s72
	v_mov_b32_e32 v104, 0x7f800001
	s_xor_b32 exec_lo, exec_lo, s72
	s_cbranch_execz .LBB4_1275
.LBB4_1711:                             ;   in Loop: Header=BB4_356 Depth=4
	v_cmp_ne_u16_sdwa s73, v14, v2 src0_sel:BYTE_1 src1_sel:DWORD
	v_mov_b32_e32 v104, 0
	s_andn2_b32 s16, s16, exec_lo
	s_and_b32 s73, s73, exec_lo
	s_or_b32 s16, s16, s73
	s_or_b32 exec_lo, exec_lo, s72
	s_and_saveexec_b32 s72, s16
	s_cbranch_execnz .LBB4_1276
	s_branch .LBB4_1277
.LBB4_1712:                             ;   in Loop: Header=BB4_356 Depth=4
	s_or_saveexec_b32 s72, s72
	v_mov_b32_e32 v105, 0x7f800001
	s_xor_b32 exec_lo, exec_lo, s72
	s_cbranch_execz .LBB4_1281
.LBB4_1713:                             ;   in Loop: Header=BB4_356 Depth=4
	v_cmp_ne_u16_sdwa s73, v10, v2 src0_sel:BYTE_1 src1_sel:DWORD
	v_mov_b32_e32 v105, 0
	s_andn2_b32 s16, s16, exec_lo
	s_and_b32 s73, s73, exec_lo
	s_or_b32 s16, s16, s73
	s_or_b32 exec_lo, exec_lo, s72
	s_and_saveexec_b32 s72, s16
	s_cbranch_execnz .LBB4_1282
	s_branch .LBB4_1283
.LBB4_1714:                             ;   in Loop: Header=BB4_356 Depth=4
	s_or_saveexec_b32 s16, s16
	v_mov_b32_e32 v106, 0x7f800001
	s_xor_b32 exec_lo, exec_lo, s16
	s_cbranch_execz .LBB4_1297
.LBB4_1715:                             ;   in Loop: Header=BB4_356 Depth=4
	v_cmp_ne_u16_e32 vcc_lo, 0, v105
	v_mov_b32_e32 v106, 0
	s_andn2_b32 s72, s72, exec_lo
	s_and_b32 s73, vcc_lo, exec_lo
	s_or_b32 s72, s72, s73
	s_or_b32 exec_lo, exec_lo, s16
	s_and_saveexec_b32 s16, s72
	s_cbranch_execnz .LBB4_1298
	s_branch .LBB4_1299
.LBB4_1716:                             ;   in Loop: Header=BB4_356 Depth=4
	s_or_saveexec_b32 s72, s72
	v_mov_b32_e32 v107, 0x7f800001
	s_xor_b32 exec_lo, exec_lo, s72
	s_cbranch_execz .LBB4_1303
.LBB4_1717:                             ;   in Loop: Header=BB4_356 Depth=4
	v_cmp_ne_u16_e32 vcc_lo, 0, v108
	v_mov_b32_e32 v107, 0
	s_andn2_b32 s16, s16, exec_lo
	s_and_b32 s73, vcc_lo, exec_lo
	s_or_b32 s16, s16, s73
	s_or_b32 exec_lo, exec_lo, s72
	s_and_saveexec_b32 s72, s16
	s_cbranch_execnz .LBB4_1304
	s_branch .LBB4_1305
.LBB4_1718:                             ;   in Loop: Header=BB4_356 Depth=4
	s_or_saveexec_b32 s72, s72
	v_mov_b32_e32 v106, 0x7f800001
	s_xor_b32 exec_lo, exec_lo, s72
	s_cbranch_execz .LBB4_1311
.LBB4_1719:                             ;   in Loop: Header=BB4_356 Depth=4
	v_cmp_ne_u16_e32 vcc_lo, 0, v105
	v_mov_b32_e32 v106, 0
	s_andn2_b32 s16, s16, exec_lo
	s_and_b32 s73, vcc_lo, exec_lo
	s_or_b32 s16, s16, s73
	s_or_b32 exec_lo, exec_lo, s72
	s_and_saveexec_b32 s72, s16
	s_cbranch_execnz .LBB4_1312
	s_branch .LBB4_1313
.LBB4_1720:                             ;   in Loop: Header=BB4_356 Depth=4
	s_or_saveexec_b32 s72, s72
	v_mov_b32_e32 v105, 0x7f800001
	s_xor_b32 exec_lo, exec_lo, s72
	s_cbranch_execz .LBB4_1317
.LBB4_1721:                             ;   in Loop: Header=BB4_356 Depth=4
	v_cmp_ne_u16_e32 vcc_lo, 0, v107
	v_mov_b32_e32 v105, 0
	s_andn2_b32 s16, s16, exec_lo
	s_and_b32 s73, vcc_lo, exec_lo
	s_or_b32 s16, s16, s73
	s_or_b32 exec_lo, exec_lo, s72
	s_and_saveexec_b32 s72, s16
	s_cbranch_execnz .LBB4_1318
	s_branch .LBB4_1319
.LBB4_1722:                             ;   in Loop: Header=BB4_356 Depth=4
	s_or_saveexec_b32 s72, s72
	v_mov_b32_e32 v106, 0x7f800001
	s_xor_b32 exec_lo, exec_lo, s72
	s_cbranch_execz .LBB4_1333
.LBB4_1723:                             ;   in Loop: Header=BB4_356 Depth=4
	v_cmp_ne_u16_sdwa s73, v14, v2 src0_sel:BYTE_3 src1_sel:DWORD
	v_mov_b32_e32 v106, 0
	s_andn2_b32 s16, s16, exec_lo
	s_and_b32 s73, s73, exec_lo
	s_or_b32 s16, s16, s73
	s_or_b32 exec_lo, exec_lo, s72
	s_and_saveexec_b32 s72, s16
	s_cbranch_execnz .LBB4_1334
	s_branch .LBB4_1335
.LBB4_1724:                             ;   in Loop: Header=BB4_356 Depth=4
	s_or_saveexec_b32 s72, s72
	v_mov_b32_e32 v107, 0x7f800001
	s_xor_b32 exec_lo, exec_lo, s72
	s_cbranch_execz .LBB4_1339
.LBB4_1725:                             ;   in Loop: Header=BB4_356 Depth=4
	v_cmp_ne_u16_sdwa s73, v10, v2 src0_sel:BYTE_3 src1_sel:DWORD
	v_mov_b32_e32 v107, 0
	s_andn2_b32 s16, s16, exec_lo
	s_and_b32 s73, s73, exec_lo
	s_or_b32 s16, s16, s73
	s_or_b32 exec_lo, exec_lo, s72
	s_and_saveexec_b32 s72, s16
	s_cbranch_execnz .LBB4_1340
	s_branch .LBB4_1341
.LBB4_1726:                             ;   in Loop: Header=BB4_356 Depth=4
	s_or_saveexec_b32 s72, s72
	v_mov_b32_e32 v106, 0x7f800001
	s_xor_b32 exec_lo, exec_lo, s72
	s_cbranch_execz .LBB4_1347
.LBB4_1727:                             ;   in Loop: Header=BB4_356 Depth=4
	v_cmp_ne_u16_sdwa s73, v14, v2 src0_sel:BYTE_3 src1_sel:DWORD
	v_mov_b32_e32 v106, 0
	s_andn2_b32 s16, s16, exec_lo
	s_and_b32 s73, s73, exec_lo
	s_or_b32 s16, s16, s73
	s_or_b32 exec_lo, exec_lo, s72
	s_and_saveexec_b32 s72, s16
	s_cbranch_execnz .LBB4_1348
	s_branch .LBB4_1349
.LBB4_1728:                             ;   in Loop: Header=BB4_356 Depth=4
	s_or_saveexec_b32 s72, s72
	v_mov_b32_e32 v14, 0x7f800001
	s_xor_b32 exec_lo, exec_lo, s72
	s_cbranch_execz .LBB4_1353
.LBB4_1729:                             ;   in Loop: Header=BB4_356 Depth=4
	v_cmp_ne_u16_sdwa s73, v10, v2 src0_sel:BYTE_3 src1_sel:DWORD
	v_mov_b32_e32 v14, 0
	s_andn2_b32 s16, s16, exec_lo
	s_and_b32 s73, s73, exec_lo
	s_or_b32 s16, s16, s73
	s_or_b32 exec_lo, exec_lo, s72
	s_and_saveexec_b32 s72, s16
	s_cbranch_execnz .LBB4_1354
	s_branch .LBB4_1355
.LBB4_1730:                             ;   in Loop: Header=BB4_356 Depth=4
	s_or_saveexec_b32 s72, s72
	v_mov_b32_e32 v14, 0x7f800001
	s_xor_b32 exec_lo, exec_lo, s72
	s_cbranch_execz .LBB4_1369
.LBB4_1731:                             ;   in Loop: Header=BB4_356 Depth=4
	v_cmp_ne_u16_sdwa s73, v15, v2 src0_sel:BYTE_0 src1_sel:DWORD
	v_mov_b32_e32 v14, 0
	s_andn2_b32 s16, s16, exec_lo
	s_and_b32 s73, s73, exec_lo
	s_or_b32 s16, s16, s73
	s_or_b32 exec_lo, exec_lo, s72
	s_and_saveexec_b32 s72, s16
	s_cbranch_execnz .LBB4_1370
	s_branch .LBB4_1371
.LBB4_1732:                             ;   in Loop: Header=BB4_356 Depth=4
	s_or_saveexec_b32 s72, s72
	v_mov_b32_e32 v106, 0x7f800001
	s_xor_b32 exec_lo, exec_lo, s72
	s_cbranch_execz .LBB4_1375
.LBB4_1733:                             ;   in Loop: Header=BB4_356 Depth=4
	v_cmp_ne_u16_sdwa s73, v11, v2 src0_sel:BYTE_0 src1_sel:DWORD
	v_mov_b32_e32 v106, 0
	s_andn2_b32 s16, s16, exec_lo
	s_and_b32 s73, s73, exec_lo
	s_or_b32 s16, s16, s73
	s_or_b32 exec_lo, exec_lo, s72
	s_and_saveexec_b32 s72, s16
	s_cbranch_execnz .LBB4_1376
	s_branch .LBB4_1377
.LBB4_1734:                             ;   in Loop: Header=BB4_356 Depth=4
	s_or_saveexec_b32 s72, s72
	v_mov_b32_e32 v14, 0x7f800001
	s_xor_b32 exec_lo, exec_lo, s72
	s_cbranch_execz .LBB4_1383
.LBB4_1735:                             ;   in Loop: Header=BB4_356 Depth=4
	v_cmp_ne_u16_sdwa s73, v15, v2 src0_sel:BYTE_0 src1_sel:DWORD
	v_mov_b32_e32 v14, 0
	s_andn2_b32 s16, s16, exec_lo
	s_and_b32 s73, s73, exec_lo
	s_or_b32 s16, s16, s73
	s_or_b32 exec_lo, exec_lo, s72
	s_and_saveexec_b32 s72, s16
	s_cbranch_execnz .LBB4_1384
	s_branch .LBB4_1385
.LBB4_1736:                             ;   in Loop: Header=BB4_356 Depth=4
	s_or_saveexec_b32 s72, s72
	v_mov_b32_e32 v106, 0x7f800001
	s_xor_b32 exec_lo, exec_lo, s72
	s_cbranch_execz .LBB4_1389
.LBB4_1737:                             ;   in Loop: Header=BB4_356 Depth=4
	v_cmp_ne_u16_sdwa s73, v11, v2 src0_sel:BYTE_0 src1_sel:DWORD
	v_mov_b32_e32 v106, 0
	s_andn2_b32 s16, s16, exec_lo
	s_and_b32 s73, s73, exec_lo
	s_or_b32 s16, s16, s73
	s_or_b32 exec_lo, exec_lo, s72
	s_and_saveexec_b32 s72, s16
	s_cbranch_execnz .LBB4_1390
	s_branch .LBB4_1391
.LBB4_1738:                             ;   in Loop: Header=BB4_356 Depth=4
	s_or_saveexec_b32 s72, s72
	v_mov_b32_e32 v106, 0x7f800001
	s_xor_b32 exec_lo, exec_lo, s72
	s_cbranch_execz .LBB4_1405
.LBB4_1739:                             ;   in Loop: Header=BB4_356 Depth=4
	v_cmp_ne_u16_sdwa s73, v15, v2 src0_sel:BYTE_1 src1_sel:DWORD
	v_mov_b32_e32 v106, 0
	s_andn2_b32 s16, s16, exec_lo
	s_and_b32 s73, s73, exec_lo
	s_or_b32 s16, s16, s73
	s_or_b32 exec_lo, exec_lo, s72
	s_and_saveexec_b32 s72, s16
	s_cbranch_execnz .LBB4_1406
	s_branch .LBB4_1407
.LBB4_1740:                             ;   in Loop: Header=BB4_356 Depth=4
	s_or_saveexec_b32 s72, s72
	v_mov_b32_e32 v107, 0x7f800001
	s_xor_b32 exec_lo, exec_lo, s72
	s_cbranch_execz .LBB4_1411
.LBB4_1741:                             ;   in Loop: Header=BB4_356 Depth=4
	v_cmp_ne_u16_sdwa s73, v11, v2 src0_sel:BYTE_1 src1_sel:DWORD
	v_mov_b32_e32 v107, 0
	s_andn2_b32 s16, s16, exec_lo
	s_and_b32 s73, s73, exec_lo
	s_or_b32 s16, s16, s73
	s_or_b32 exec_lo, exec_lo, s72
	s_and_saveexec_b32 s72, s16
	s_cbranch_execnz .LBB4_1412
	s_branch .LBB4_1413
.LBB4_1742:                             ;   in Loop: Header=BB4_356 Depth=4
	s_or_saveexec_b32 s72, s72
	v_mov_b32_e32 v106, 0x7f800001
	s_xor_b32 exec_lo, exec_lo, s72
	s_cbranch_execz .LBB4_1419
.LBB4_1743:                             ;   in Loop: Header=BB4_356 Depth=4
	v_cmp_ne_u16_sdwa s73, v15, v2 src0_sel:BYTE_1 src1_sel:DWORD
	v_mov_b32_e32 v106, 0
	s_andn2_b32 s16, s16, exec_lo
	s_and_b32 s73, s73, exec_lo
	s_or_b32 s16, s16, s73
	s_or_b32 exec_lo, exec_lo, s72
	s_and_saveexec_b32 s72, s16
	s_cbranch_execnz .LBB4_1420
	s_branch .LBB4_1421
.LBB4_1744:                             ;   in Loop: Header=BB4_356 Depth=4
	s_or_saveexec_b32 s72, s72
	v_mov_b32_e32 v107, 0x7f800001
	s_xor_b32 exec_lo, exec_lo, s72
	s_cbranch_execz .LBB4_1425
.LBB4_1745:                             ;   in Loop: Header=BB4_356 Depth=4
	v_cmp_ne_u16_sdwa s73, v11, v2 src0_sel:BYTE_1 src1_sel:DWORD
	v_mov_b32_e32 v107, 0
	s_andn2_b32 s16, s16, exec_lo
	s_and_b32 s73, s73, exec_lo
	s_or_b32 s16, s16, s73
	s_or_b32 exec_lo, exec_lo, s72
	s_and_saveexec_b32 s72, s16
	s_cbranch_execnz .LBB4_1426
	s_branch .LBB4_1427
.LBB4_1746:                             ;   in Loop: Header=BB4_356 Depth=4
	s_or_saveexec_b32 s16, s16
	v_mov_b32_e32 v108, 0x7f800001
	s_xor_b32 exec_lo, exec_lo, s16
	s_cbranch_execz .LBB4_1441
.LBB4_1747:                             ;   in Loop: Header=BB4_356 Depth=4
	v_cmp_ne_u16_e32 vcc_lo, 0, v107
	v_mov_b32_e32 v108, 0
	s_andn2_b32 s72, s72, exec_lo
	s_and_b32 s73, vcc_lo, exec_lo
	s_or_b32 s72, s72, s73
	s_or_b32 exec_lo, exec_lo, s16
	s_and_saveexec_b32 s16, s72
	s_cbranch_execnz .LBB4_1442
	s_branch .LBB4_1443
.LBB4_1748:                             ;   in Loop: Header=BB4_356 Depth=4
	s_or_saveexec_b32 s72, s72
	v_mov_b32_e32 v109, 0x7f800001
	s_xor_b32 exec_lo, exec_lo, s72
	s_cbranch_execz .LBB4_1447
.LBB4_1749:                             ;   in Loop: Header=BB4_356 Depth=4
	v_cmp_ne_u16_e32 vcc_lo, 0, v110
	v_mov_b32_e32 v109, 0
	s_andn2_b32 s16, s16, exec_lo
	s_and_b32 s73, vcc_lo, exec_lo
	s_or_b32 s16, s16, s73
	s_or_b32 exec_lo, exec_lo, s72
	s_and_saveexec_b32 s72, s16
	s_cbranch_execnz .LBB4_1448
	s_branch .LBB4_1449
.LBB4_1750:                             ;   in Loop: Header=BB4_356 Depth=4
	s_or_saveexec_b32 s72, s72
	v_mov_b32_e32 v108, 0x7f800001
	s_xor_b32 exec_lo, exec_lo, s72
	s_cbranch_execz .LBB4_1455
.LBB4_1751:                             ;   in Loop: Header=BB4_356 Depth=4
	v_cmp_ne_u16_e32 vcc_lo, 0, v107
	v_mov_b32_e32 v108, 0
	s_andn2_b32 s16, s16, exec_lo
	s_and_b32 s73, vcc_lo, exec_lo
	s_or_b32 s16, s16, s73
	s_or_b32 exec_lo, exec_lo, s72
	s_and_saveexec_b32 s72, s16
	s_cbranch_execnz .LBB4_1456
	s_branch .LBB4_1457
.LBB4_1752:                             ;   in Loop: Header=BB4_356 Depth=4
	s_or_saveexec_b32 s72, s72
	v_mov_b32_e32 v107, 0x7f800001
	s_xor_b32 exec_lo, exec_lo, s72
	s_cbranch_execz .LBB4_1461
.LBB4_1753:                             ;   in Loop: Header=BB4_356 Depth=4
	v_cmp_ne_u16_e32 vcc_lo, 0, v109
	v_mov_b32_e32 v107, 0
	s_andn2_b32 s16, s16, exec_lo
	s_and_b32 s73, vcc_lo, exec_lo
	s_or_b32 s16, s16, s73
	s_or_b32 exec_lo, exec_lo, s72
	s_and_saveexec_b32 s72, s16
	s_cbranch_execnz .LBB4_1462
	s_branch .LBB4_1463
.LBB4_1754:                             ;   in Loop: Header=BB4_356 Depth=4
	s_or_saveexec_b32 s72, s72
	v_mov_b32_e32 v108, 0x7f800001
	s_xor_b32 exec_lo, exec_lo, s72
	s_cbranch_execz .LBB4_1477
.LBB4_1755:                             ;   in Loop: Header=BB4_356 Depth=4
	v_cmp_ne_u16_sdwa s73, v15, v2 src0_sel:BYTE_3 src1_sel:DWORD
	v_mov_b32_e32 v108, 0
	s_andn2_b32 s16, s16, exec_lo
	s_and_b32 s73, s73, exec_lo
	s_or_b32 s16, s16, s73
	s_or_b32 exec_lo, exec_lo, s72
	s_and_saveexec_b32 s72, s16
	s_cbranch_execnz .LBB4_1478
	s_branch .LBB4_1479
.LBB4_1756:                             ;   in Loop: Header=BB4_356 Depth=4
	s_or_saveexec_b32 s72, s72
	v_mov_b32_e32 v109, 0x7f800001
	s_xor_b32 exec_lo, exec_lo, s72
	s_cbranch_execz .LBB4_1483
.LBB4_1757:                             ;   in Loop: Header=BB4_356 Depth=4
	v_cmp_ne_u16_sdwa s73, v11, v2 src0_sel:BYTE_3 src1_sel:DWORD
	v_mov_b32_e32 v109, 0
	s_andn2_b32 s16, s16, exec_lo
	s_and_b32 s73, s73, exec_lo
	s_or_b32 s16, s16, s73
	s_or_b32 exec_lo, exec_lo, s72
	s_and_saveexec_b32 s72, s16
	s_cbranch_execnz .LBB4_1484
	s_branch .LBB4_1485
.LBB4_1758:                             ;   in Loop: Header=BB4_356 Depth=4
	s_or_saveexec_b32 s72, s72
	v_mov_b32_e32 v108, 0x7f800001
	s_xor_b32 exec_lo, exec_lo, s72
	s_cbranch_execz .LBB4_1491
.LBB4_1759:                             ;   in Loop: Header=BB4_356 Depth=4
	v_cmp_ne_u16_sdwa s73, v15, v2 src0_sel:BYTE_3 src1_sel:DWORD
	v_mov_b32_e32 v108, 0
	s_andn2_b32 s16, s16, exec_lo
	s_and_b32 s73, s73, exec_lo
	s_or_b32 s16, s16, s73
	s_or_b32 exec_lo, exec_lo, s72
	s_and_saveexec_b32 s72, s16
	s_cbranch_execnz .LBB4_1492
	s_branch .LBB4_1493
.LBB4_1760:                             ;   in Loop: Header=BB4_356 Depth=4
	s_or_saveexec_b32 s72, s72
	v_mov_b32_e32 v15, 0x7f800001
	s_xor_b32 exec_lo, exec_lo, s72
	s_cbranch_execz .LBB4_1497
.LBB4_1761:                             ;   in Loop: Header=BB4_356 Depth=4
	v_cmp_ne_u16_sdwa s73, v11, v2 src0_sel:BYTE_3 src1_sel:DWORD
	v_mov_b32_e32 v15, 0
	s_andn2_b32 s16, s16, exec_lo
	s_and_b32 s73, s73, exec_lo
	s_or_b32 s16, s16, s73
	s_or_b32 exec_lo, exec_lo, s72
	s_and_saveexec_b32 s72, s16
	s_cbranch_execnz .LBB4_1498
	s_branch .LBB4_1499
.LBB4_1762:                             ;   in Loop: Header=BB4_272 Depth=3
	s_or_b32 exec_lo, exec_lo, s62
.LBB4_1763:                             ;   in Loop: Header=BB4_272 Depth=3
	s_or_b32 exec_lo, exec_lo, s17
	v_lshlrev_b32_e32 v22, 10, v74
	v_mov_b32_e32 v14, 0
	s_mov_b32 s16, 0
	s_mov_b32 s62, exec_lo
                                        ; implicit-def: $vgpr15
                                        ; implicit-def: $vgpr16
	v_cmpx_ne_u32_e64 v3, v22
	s_cbranch_execz .LBB4_2473
; %bb.1764:                             ;   in Loop: Header=BB4_272 Depth=3
	v_lshlrev_b32_e32 v8, 5, v69
	v_sub_nc_u32_e32 v10, v3, v22
	s_mov_b32 s63, exec_lo
	v_sub_nc_u32_e32 v8, v112, v8
	v_ashrrev_i32_e32 v11, 31, v10
	v_ashrrev_i32_e32 v9, 31, v8
	v_lshrrev_b32_e32 v11, 23, v11
	v_lshrrev_b32_e32 v9, 27, v9
	v_add_nc_u32_e32 v11, v10, v11
	v_add_nc_u32_e32 v9, v8, v9
	v_and_b32_e32 v69, 0xfffffe00, v11
	v_ashrrev_i32_e32 v11, 9, v11
	v_and_b32_e32 v12, 0xffffffe0, v9
	v_sub_nc_u32_e32 v84, v10, v69
	v_ashrrev_i32_e32 v9, 5, v9
	v_sub_nc_u32_e32 v23, v8, v12
	v_cmp_lt_i32_e64 s16, 15, v84
	v_lshlrev_b32_e32 v8, 4, v23
	v_add_co_ci_u32_e64 v11, null, 0, v11, s16
	v_lshl_add_u32 v8, v9, 9, v8
	v_sub_nc_u32_e32 v85, v11, v9
	v_sub_nc_u32_e32 v86, v10, v8
	v_cmpx_lt_i32_e32 15, v86
	s_cbranch_execz .LBB4_2472
; %bb.1765:                             ;   in Loop: Header=BB4_272 Depth=3
	s_trap 2
	ds_read_b64 v[9:10], v0
	v_add_nc_u32_e32 v8, v8, v22
	s_bitcmp1_b32 s61, 0
	s_mov_b32 s72, 0
	s_cselect_b32 s73, -1, 0
	v_ashrrev_i32_e32 v11, 31, v8
	v_add_co_u32 v16, vcc_lo, v8, v80
	s_waitcnt vmcnt(0)
	v_add_co_ci_u32_e64 v17, null, v11, v81, vcc_lo
	s_waitcnt lgkmcnt(0)
	v_add_co_u32 v18, vcc_lo, v9, v8
	v_add_co_ci_u32_e64 v19, null, v10, v11, vcc_lo
	v_add_co_u32 v20, vcc_lo, v8, v82
	v_add_co_ci_u32_e64 v21, null, v11, v83, vcc_lo
	s_branch .LBB4_1769
.LBB4_1766:                             ;   in Loop: Header=BB4_1769 Depth=4
	s_or_b32 exec_lo, exec_lo, s17
	v_lshrrev_b32_e32 v10, 20, v10
	v_min_i32_e32 v11, 15, v9
	v_cmp_gt_i32_e32 vcc_lo, 16, v9
	v_and_b32_sdwa v8, v8, v118 dst_sel:DWORD dst_unused:UNUSED_PAD src0_sel:BYTE_3 src1_sel:DWORD
	v_lshlrev_b32_e32 v11, 3, v11
	v_cndmask_b32_e32 v10, 7, v10, vcc_lo
	v_and_b32_e32 v11, 0xf8, v11
	v_and_b32_e32 v15, 7, v10
	v_or_b32_e32 v9, v9, v10
	v_or3_b32 v8, v8, v11, v15
	v_cmp_ne_u32_e32 vcc_lo, 0, v9
	v_lshlrev_b32_e32 v8, 8, v8
	v_cndmask_b32_e32 v9, 0, v8, vcc_lo
.LBB4_1767:                             ;   in Loop: Header=BB4_1769 Depth=4
	s_or_b32 exec_lo, exec_lo, s75
.LBB4_1768:                             ;   in Loop: Header=BB4_1769 Depth=4
	s_or_b32 exec_lo, exec_lo, s74
	v_or_b32_sdwa v8, v13, v76 dst_sel:WORD_1 dst_unused:UNUSED_PAD src0_sel:DWORD src1_sel:DWORD
	v_or_b32_sdwa v10, v12, v97 dst_sel:WORD_1 dst_unused:UNUSED_PAD src0_sel:DWORD src1_sel:DWORD
	;; [unrolled: 1-line block ×4, first 2 shown]
	v_sub_nc_u32_e32 v86, v86, v44
	v_or3_b32 v9, v75, v74, v8
	v_or3_b32 v8, v96, v87, v10
	;; [unrolled: 1-line block ×4, first 2 shown]
	v_add_co_u32 v16, vcc_lo, v16, v44
	v_add_co_ci_u32_e64 v17, null, 0, v17, vcc_lo
	v_add_co_u32 v18, vcc_lo, v18, v44
	global_store_dwordx4 v[20:21], v[8:11], off glc slc
	v_add_co_ci_u32_e64 v19, null, 0, v19, vcc_lo
	v_cmp_gt_i32_e32 vcc_lo, 16, v86
	v_add_co_u32 v20, s17, v20, v44
	v_add_co_ci_u32_e64 v21, null, 0, v21, s17
	v_sub_nc_u32_e32 v85, v85, v103
	s_or_b32 s72, vcc_lo, s72
	s_andn2_b32 exec_lo, exec_lo, s72
	s_cbranch_execz .LBB4_2471
.LBB4_1769:                             ;   Parent Loop BB4_47 Depth=1
                                        ;     Parent Loop BB4_269 Depth=2
                                        ;       Parent Loop BB4_272 Depth=3
                                        ; =>      This Inner Loop Header: Depth=4
	global_load_dwordx4 v[8:11], v[18:19], off slc
	global_load_dwordx4 v[12:15], v[16:17], off slc
	s_mov_b32 s17, -1
	s_waitcnt vmcnt(1)
	v_and_b32_e32 v87, 7, v8
	v_bfe_u32 v74, v8, 3, 4
	v_lshlrev_b32_e32 v75, 24, v8
	s_waitcnt vmcnt(0)
	v_cmp_gt_i16_sdwa s74, v12, v117 src0_sel:BYTE_0 src1_sel:DWORD
	v_ffbh_u32_e32 v96, v87
	v_cmp_eq_u32_e32 vcc_lo, 0, v74
	v_min_u32_e32 v96, 32, v96
	v_subrev_nc_u32_e32 v97, 28, v96
	v_sub_nc_u32_e32 v96, 29, v96
	v_lshlrev_b32_e32 v97, v97, v8
	v_cndmask_b32_e32 v96, v74, v96, vcc_lo
	v_and_b32_e32 v97, 7, v97
	v_lshl_add_u32 v96, v96, 23, 0x3b800000
	v_cndmask_b32_e32 v87, v87, v97, vcc_lo
	v_and_b32_e32 v97, 0x80000000, v75
	s_and_b32 vcc_lo, exec_lo, s73
	v_lshlrev_b32_e32 v87, 20, v87
	v_or3_b32 v87, v97, v96, v87
                                        ; implicit-def: $vgpr96
	s_cbranch_vccz .LBB4_1783
; %bb.1770:                             ;   in Loop: Header=BB4_1769 Depth=4
	s_mov_b32 s17, 0
	s_and_saveexec_b32 s75, s74
	s_xor_b32 s74, exec_lo, s75
	s_cbranch_execz .LBB4_2343
; %bb.1771:                             ;   in Loop: Header=BB4_1769 Depth=4
	v_cmp_eq_u16_sdwa s76, v12, v118 src0_sel:BYTE_0 src1_sel:DWORD
	s_mov_b32 s17, -1
	s_and_saveexec_b32 s75, s76
; %bb.1772:                             ;   in Loop: Header=BB4_1769 Depth=4
	s_xor_b32 s17, exec_lo, -1
; %bb.1773:                             ;   in Loop: Header=BB4_1769 Depth=4
	s_or_b32 exec_lo, exec_lo, s75
	s_and_b32 s17, s17, exec_lo
	s_or_saveexec_b32 s74, s74
	v_mov_b32_e32 v96, 0x7f800001
	s_xor_b32 exec_lo, exec_lo, s74
	s_cbranch_execnz .LBB4_2344
.LBB4_1774:                             ;   in Loop: Header=BB4_1769 Depth=4
	s_or_b32 exec_lo, exec_lo, s74
	s_and_saveexec_b32 s74, s17
	s_cbranch_execz .LBB4_1776
.LBB4_1775:                             ;   in Loop: Header=BB4_1769 Depth=4
	v_and_b32_e32 v96, 7, v12
	v_bfe_u32 v75, v12, 3, 4
	v_lshlrev_b32_e32 v76, 24, v12
	v_ffbh_u32_e32 v97, v96
	v_cmp_eq_u32_e32 vcc_lo, 0, v75
	v_min_u32_e32 v97, 32, v97
	v_subrev_nc_u32_e32 v74, 28, v97
	v_sub_nc_u32_e32 v97, 29, v97
	v_lshlrev_b32_e32 v74, v74, v12
	v_cndmask_b32_e32 v97, v75, v97, vcc_lo
	v_and_b32_e32 v74, 7, v74
	v_lshl_add_u32 v97, v97, 23, 0x3b800000
	v_cndmask_b32_e32 v96, v96, v74, vcc_lo
	v_and_b32_e32 v74, 0x80000000, v76
	v_lshlrev_b32_e32 v96, 20, v96
	v_or3_b32 v96, v74, v97, v96
.LBB4_1776:                             ;   in Loop: Header=BB4_1769 Depth=4
	s_or_b32 exec_lo, exec_lo, s74
	v_cmp_gt_i16_sdwa s74, v8, v117 src0_sel:BYTE_0 src1_sel:DWORD
	s_mov_b32 s17, 0
	s_and_saveexec_b32 s75, s74
	s_xor_b32 s74, exec_lo, s75
	s_cbranch_execz .LBB4_2345
; %bb.1777:                             ;   in Loop: Header=BB4_1769 Depth=4
	v_cmp_eq_u16_sdwa s76, v8, v118 src0_sel:BYTE_0 src1_sel:DWORD
	s_mov_b32 s17, -1
	s_and_saveexec_b32 s75, s76
; %bb.1778:                             ;   in Loop: Header=BB4_1769 Depth=4
	s_xor_b32 s17, exec_lo, -1
; %bb.1779:                             ;   in Loop: Header=BB4_1769 Depth=4
	s_or_b32 exec_lo, exec_lo, s75
	s_and_b32 s17, s17, exec_lo
	s_or_saveexec_b32 s74, s74
	v_mov_b32_e32 v97, 0x7f800001
	s_xor_b32 exec_lo, exec_lo, s74
	s_cbranch_execnz .LBB4_2346
.LBB4_1780:                             ;   in Loop: Header=BB4_1769 Depth=4
	s_or_b32 exec_lo, exec_lo, s74
	s_and_saveexec_b32 s74, s17
.LBB4_1781:                             ;   in Loop: Header=BB4_1769 Depth=4
	v_mov_b32_e32 v97, v87
.LBB4_1782:                             ;   in Loop: Header=BB4_1769 Depth=4
	s_or_b32 exec_lo, exec_lo, s74
	v_max_f32_e32 v97, v97, v97
	v_max_f32_e32 v96, v96, v96
	s_mov_b32 s17, 0
	v_max_f32_e32 v96, v96, v97
.LBB4_1783:                             ;   in Loop: Header=BB4_1769 Depth=4
	s_and_b32 vcc_lo, exec_lo, s17
	s_cbranch_vccz .LBB4_1797
; %bb.1784:                             ;   in Loop: Header=BB4_1769 Depth=4
	v_cmp_gt_i16_sdwa s74, v12, v117 src0_sel:BYTE_0 src1_sel:DWORD
	s_mov_b32 s17, 0
	s_and_saveexec_b32 s75, s74
	s_xor_b32 s74, exec_lo, s75
	s_cbranch_execz .LBB4_2347
; %bb.1785:                             ;   in Loop: Header=BB4_1769 Depth=4
	v_cmp_eq_u16_sdwa s76, v12, v118 src0_sel:BYTE_0 src1_sel:DWORD
	s_mov_b32 s17, -1
	s_and_saveexec_b32 s75, s76
; %bb.1786:                             ;   in Loop: Header=BB4_1769 Depth=4
	s_xor_b32 s17, exec_lo, -1
; %bb.1787:                             ;   in Loop: Header=BB4_1769 Depth=4
	s_or_b32 exec_lo, exec_lo, s75
	s_and_b32 s17, s17, exec_lo
	s_or_saveexec_b32 s74, s74
	v_mov_b32_e32 v96, 0x7f800001
	s_xor_b32 exec_lo, exec_lo, s74
	s_cbranch_execnz .LBB4_2348
.LBB4_1788:                             ;   in Loop: Header=BB4_1769 Depth=4
	s_or_b32 exec_lo, exec_lo, s74
	s_and_saveexec_b32 s74, s17
	s_cbranch_execz .LBB4_1790
.LBB4_1789:                             ;   in Loop: Header=BB4_1769 Depth=4
	v_and_b32_e32 v96, 7, v12
	v_bfe_u32 v75, v12, 3, 4
	v_lshlrev_b32_e32 v76, 24, v12
	v_ffbh_u32_e32 v97, v96
	v_cmp_eq_u32_e32 vcc_lo, 0, v75
	v_min_u32_e32 v97, 32, v97
	v_subrev_nc_u32_e32 v74, 28, v97
	v_sub_nc_u32_e32 v97, 29, v97
	v_lshlrev_b32_e32 v74, v74, v12
	v_cndmask_b32_e32 v97, v75, v97, vcc_lo
	v_and_b32_e32 v74, 7, v74
	v_lshl_add_u32 v97, v97, 23, 0x3b800000
	v_cndmask_b32_e32 v96, v96, v74, vcc_lo
	v_and_b32_e32 v74, 0x80000000, v76
	v_lshlrev_b32_e32 v96, 20, v96
	v_or3_b32 v96, v74, v97, v96
.LBB4_1790:                             ;   in Loop: Header=BB4_1769 Depth=4
	s_or_b32 exec_lo, exec_lo, s74
	v_cmp_gt_i16_sdwa s74, v8, v117 src0_sel:BYTE_0 src1_sel:DWORD
	s_mov_b32 s17, 0
	s_and_saveexec_b32 s75, s74
	s_xor_b32 s74, exec_lo, s75
	s_cbranch_execz .LBB4_2349
; %bb.1791:                             ;   in Loop: Header=BB4_1769 Depth=4
	v_cmp_eq_u16_sdwa s76, v8, v118 src0_sel:BYTE_0 src1_sel:DWORD
	s_mov_b32 s17, -1
	s_and_saveexec_b32 s75, s76
; %bb.1792:                             ;   in Loop: Header=BB4_1769 Depth=4
	s_xor_b32 s17, exec_lo, -1
; %bb.1793:                             ;   in Loop: Header=BB4_1769 Depth=4
	s_or_b32 exec_lo, exec_lo, s75
	s_and_b32 s17, s17, exec_lo
	s_or_saveexec_b32 s74, s74
	v_mov_b32_e32 v97, 0x7f800001
	s_xor_b32 exec_lo, exec_lo, s74
	s_cbranch_execnz .LBB4_2350
.LBB4_1794:                             ;   in Loop: Header=BB4_1769 Depth=4
	s_or_b32 exec_lo, exec_lo, s74
	s_and_saveexec_b32 s74, s17
.LBB4_1795:                             ;   in Loop: Header=BB4_1769 Depth=4
	v_mov_b32_e32 v97, v87
.LBB4_1796:                             ;   in Loop: Header=BB4_1769 Depth=4
	s_or_b32 exec_lo, exec_lo, s74
	v_max_f32_e32 v87, v97, v97
	v_max_f32_e32 v96, v96, v96
	v_min_f32_e32 v96, v96, v87
.LBB4_1797:                             ;   in Loop: Header=BB4_1769 Depth=4
	v_and_b32_e32 v87, 0x7f800000, v96
	v_cmp_ne_u32_e32 vcc_lo, 0x7f800000, v87
	v_mov_b32_e32 v87, 0x80
	s_and_saveexec_b32 s74, vcc_lo
	s_cbranch_execz .LBB4_1805
; %bb.1798:                             ;   in Loop: Header=BB4_1769 Depth=4
	v_mov_b32_e32 v87, 0
	s_mov_b32 s75, exec_lo
	v_cmpx_ne_u32_e32 0, v96
	s_cbranch_execz .LBB4_1804
; %bb.1799:                             ;   in Loop: Header=BB4_1769 Depth=4
	v_bfe_u32 v87, v96, 23, 8
	v_and_b32_e32 v97, 0x7fffff, v96
	v_sub_nc_u32_e32 v74, 0x78, v87
	v_cmp_gt_u32_e32 vcc_lo, 0x79, v87
	v_or_b32_e32 v75, 0x800000, v97
	v_cndmask_b32_e32 v74, 0, v74, vcc_lo
	v_cmp_eq_u32_e32 vcc_lo, 0, v87
	v_add_nc_u32_e32 v87, 0xffffff89, v87
	v_cndmask_b32_e64 v74, v74, 0x77, vcc_lo
	v_cndmask_b32_e32 v97, v75, v97, vcc_lo
	v_cndmask_b32_e64 v87, v87, 0xffffff8a, vcc_lo
	v_lshl_add_u32 v75, 0x100000, v74, -1
	v_lshrrev_b32_e32 v76, v74, v97
	v_lshlrev_b32_e64 v78, v74, 0x80000
	v_add_nc_u32_e32 v74, v74, v87
	v_and_b32_e32 v97, v75, v97
	v_bfe_u32 v77, v76, 20, 1
	v_cmp_eq_u32_e64 s17, v97, v78
	v_add_nc_u32_e32 v75, -1, v77
	v_cndmask_b32_e64 v97, 0, v75, s17
	v_lshrrev_b32_e32 v75, 23, v76
	s_mov_b32 s17, exec_lo
	v_add_nc_u32_e32 v97, v97, v76
	v_xor_b32_e32 v75, 1, v75
	v_and_b32_e32 v87, 0xfffff, v97
	v_add_nc_u32_e32 v97, v87, v76
                                        ; implicit-def: $vgpr87
	v_cmpx_ne_u32_e64 v74, v75
	s_xor_b32 s17, exec_lo, s17
; %bb.1800:                             ;   in Loop: Header=BB4_1769 Depth=4
	v_cmp_lt_u32_e32 vcc_lo, 0xffffff, v97
	v_sub_nc_u32_e32 v87, v74, v75
	v_cndmask_b32_e64 v74, 0, 1, vcc_lo
	v_add_co_ci_u32_e64 v87, null, 0, v87, vcc_lo
	v_lshrrev_b32_e32 v97, v74, v97
; %bb.1801:                             ;   in Loop: Header=BB4_1769 Depth=4
	s_andn2_saveexec_b32 s17, s17
; %bb.1802:                             ;   in Loop: Header=BB4_1769 Depth=4
	v_bfe_u32 v87, v97, 23, 1
; %bb.1803:                             ;   in Loop: Header=BB4_1769 Depth=4
	s_or_b32 exec_lo, exec_lo, s17
	v_lshrrev_b32_e32 v97, 20, v97
	v_min_i32_e32 v74, 15, v87
	v_cmp_gt_i32_e32 vcc_lo, 16, v87
	v_and_b32_sdwa v96, v96, v118 dst_sel:DWORD dst_unused:UNUSED_PAD src0_sel:BYTE_3 src1_sel:DWORD
	v_lshlrev_b32_e32 v74, 3, v74
	v_cndmask_b32_e32 v97, 7, v97, vcc_lo
	v_and_b32_e32 v74, 0xf8, v74
	v_and_b32_e32 v75, 7, v97
	v_or_b32_e32 v87, v87, v97
	v_or3_b32 v96, v74, v96, v75
	v_cmp_ne_u32_e32 vcc_lo, 0, v87
	v_cndmask_b32_e32 v87, 0, v96, vcc_lo
.LBB4_1804:                             ;   in Loop: Header=BB4_1769 Depth=4
	s_or_b32 exec_lo, exec_lo, s75
.LBB4_1805:                             ;   in Loop: Header=BB4_1769 Depth=4
	s_or_b32 exec_lo, exec_lo, s74
	v_and_b32_sdwa v96, v119, v8 dst_sel:DWORD dst_unused:UNUSED_PAD src0_sel:DWORD src1_sel:BYTE_1
	v_cmp_gt_i16_sdwa s74, v12, v117 src0_sel:BYTE_1 src1_sel:DWORD
	s_mov_b32 s17, -1
	v_and_b32_e32 v97, 7, v96
	v_bfe_u32 v76, v96, 3, 4
	v_ffbh_u32_e32 v74, v97
	v_cmp_eq_u32_e32 vcc_lo, 0, v76
	v_min_u32_e32 v74, 32, v74
	v_subrev_nc_u32_e32 v75, 28, v74
	v_sub_nc_u32_e32 v74, 29, v74
	v_lshlrev_b32_e32 v96, v75, v96
	v_lshlrev_b32_sdwa v75, v41, v8 dst_sel:DWORD dst_unused:UNUSED_PAD src0_sel:DWORD src1_sel:BYTE_1
	v_cndmask_b32_e32 v74, v76, v74, vcc_lo
	v_and_b32_e32 v96, 7, v96
	v_lshl_add_u32 v74, v74, 23, 0x3b800000
	v_cndmask_b32_e32 v96, v97, v96, vcc_lo
	v_and_b32_e32 v97, 0x80000000, v75
	s_and_b32 vcc_lo, exec_lo, s73
	v_lshlrev_b32_e32 v96, 20, v96
	v_or3_b32 v96, v97, v74, v96
                                        ; implicit-def: $vgpr97
	s_cbranch_vccz .LBB4_1819
; %bb.1806:                             ;   in Loop: Header=BB4_1769 Depth=4
	s_mov_b32 s17, 0
	s_and_saveexec_b32 s75, s74
	s_xor_b32 s74, exec_lo, s75
	s_cbranch_execz .LBB4_2351
; %bb.1807:                             ;   in Loop: Header=BB4_1769 Depth=4
	v_cmp_eq_u16_sdwa s76, v12, v118 src0_sel:BYTE_1 src1_sel:DWORD
	s_mov_b32 s17, -1
	s_and_saveexec_b32 s75, s76
; %bb.1808:                             ;   in Loop: Header=BB4_1769 Depth=4
	s_xor_b32 s17, exec_lo, -1
; %bb.1809:                             ;   in Loop: Header=BB4_1769 Depth=4
	s_or_b32 exec_lo, exec_lo, s75
	s_and_b32 s17, s17, exec_lo
	s_or_saveexec_b32 s74, s74
	v_mov_b32_e32 v97, 0x7f800001
	s_xor_b32 exec_lo, exec_lo, s74
	s_cbranch_execnz .LBB4_2352
.LBB4_1810:                             ;   in Loop: Header=BB4_1769 Depth=4
	s_or_b32 exec_lo, exec_lo, s74
	s_and_saveexec_b32 s74, s17
	s_cbranch_execz .LBB4_1812
.LBB4_1811:                             ;   in Loop: Header=BB4_1769 Depth=4
	v_and_b32_sdwa v97, v119, v12 dst_sel:DWORD dst_unused:UNUSED_PAD src0_sel:DWORD src1_sel:BYTE_1
	v_and_b32_e32 v74, 7, v97
	v_bfe_u32 v77, v97, 3, 4
	v_ffbh_u32_e32 v75, v74
	v_cmp_eq_u32_e32 vcc_lo, 0, v77
	v_min_u32_e32 v75, 32, v75
	v_subrev_nc_u32_e32 v76, 28, v75
	v_sub_nc_u32_e32 v75, 29, v75
	v_lshlrev_b32_e32 v97, v76, v97
	v_lshlrev_b32_e32 v76, 16, v12
	v_cndmask_b32_e32 v75, v77, v75, vcc_lo
	v_and_b32_e32 v97, 7, v97
	v_lshl_add_u32 v75, v75, 23, 0x3b800000
	v_cndmask_b32_e32 v97, v74, v97, vcc_lo
	v_and_b32_e32 v74, 0x80000000, v76
	v_lshlrev_b32_e32 v97, 20, v97
	v_or3_b32 v97, v74, v75, v97
.LBB4_1812:                             ;   in Loop: Header=BB4_1769 Depth=4
	s_or_b32 exec_lo, exec_lo, s74
	v_cmp_gt_i16_sdwa s74, v8, v117 src0_sel:BYTE_1 src1_sel:DWORD
	s_mov_b32 s17, 0
	s_and_saveexec_b32 s75, s74
	s_xor_b32 s74, exec_lo, s75
	s_cbranch_execz .LBB4_2353
; %bb.1813:                             ;   in Loop: Header=BB4_1769 Depth=4
	v_cmp_eq_u16_sdwa s76, v8, v118 src0_sel:BYTE_1 src1_sel:DWORD
	s_mov_b32 s17, -1
	s_and_saveexec_b32 s75, s76
; %bb.1814:                             ;   in Loop: Header=BB4_1769 Depth=4
	s_xor_b32 s17, exec_lo, -1
; %bb.1815:                             ;   in Loop: Header=BB4_1769 Depth=4
	s_or_b32 exec_lo, exec_lo, s75
	s_and_b32 s17, s17, exec_lo
	s_or_saveexec_b32 s74, s74
	v_mov_b32_e32 v74, 0x7f800001
	s_xor_b32 exec_lo, exec_lo, s74
	s_cbranch_execnz .LBB4_2354
.LBB4_1816:                             ;   in Loop: Header=BB4_1769 Depth=4
	s_or_b32 exec_lo, exec_lo, s74
	s_and_saveexec_b32 s74, s17
.LBB4_1817:                             ;   in Loop: Header=BB4_1769 Depth=4
	v_mov_b32_e32 v74, v96
.LBB4_1818:                             ;   in Loop: Header=BB4_1769 Depth=4
	s_or_b32 exec_lo, exec_lo, s74
	v_max_f32_e32 v74, v74, v74
	v_max_f32_e32 v97, v97, v97
	s_mov_b32 s17, 0
	v_max_f32_e32 v97, v97, v74
.LBB4_1819:                             ;   in Loop: Header=BB4_1769 Depth=4
	s_and_b32 vcc_lo, exec_lo, s17
	s_cbranch_vccz .LBB4_1833
; %bb.1820:                             ;   in Loop: Header=BB4_1769 Depth=4
	v_cmp_gt_i16_sdwa s74, v12, v117 src0_sel:BYTE_1 src1_sel:DWORD
	s_mov_b32 s17, 0
	s_and_saveexec_b32 s75, s74
	s_xor_b32 s74, exec_lo, s75
	s_cbranch_execz .LBB4_2355
; %bb.1821:                             ;   in Loop: Header=BB4_1769 Depth=4
	v_cmp_eq_u16_sdwa s76, v12, v118 src0_sel:BYTE_1 src1_sel:DWORD
	s_mov_b32 s17, -1
	s_and_saveexec_b32 s75, s76
; %bb.1822:                             ;   in Loop: Header=BB4_1769 Depth=4
	s_xor_b32 s17, exec_lo, -1
; %bb.1823:                             ;   in Loop: Header=BB4_1769 Depth=4
	s_or_b32 exec_lo, exec_lo, s75
	s_and_b32 s17, s17, exec_lo
	s_or_saveexec_b32 s74, s74
	v_mov_b32_e32 v97, 0x7f800001
	s_xor_b32 exec_lo, exec_lo, s74
	s_cbranch_execnz .LBB4_2356
.LBB4_1824:                             ;   in Loop: Header=BB4_1769 Depth=4
	s_or_b32 exec_lo, exec_lo, s74
	s_and_saveexec_b32 s74, s17
	s_cbranch_execz .LBB4_1826
.LBB4_1825:                             ;   in Loop: Header=BB4_1769 Depth=4
	v_and_b32_sdwa v97, v119, v12 dst_sel:DWORD dst_unused:UNUSED_PAD src0_sel:DWORD src1_sel:BYTE_1
	v_and_b32_e32 v74, 7, v97
	v_bfe_u32 v77, v97, 3, 4
	v_ffbh_u32_e32 v75, v74
	v_cmp_eq_u32_e32 vcc_lo, 0, v77
	v_min_u32_e32 v75, 32, v75
	v_subrev_nc_u32_e32 v76, 28, v75
	v_sub_nc_u32_e32 v75, 29, v75
	v_lshlrev_b32_e32 v97, v76, v97
	v_lshlrev_b32_e32 v76, 16, v12
	v_cndmask_b32_e32 v75, v77, v75, vcc_lo
	v_and_b32_e32 v97, 7, v97
	v_lshl_add_u32 v75, v75, 23, 0x3b800000
	v_cndmask_b32_e32 v97, v74, v97, vcc_lo
	v_and_b32_e32 v74, 0x80000000, v76
	v_lshlrev_b32_e32 v97, 20, v97
	v_or3_b32 v97, v74, v75, v97
.LBB4_1826:                             ;   in Loop: Header=BB4_1769 Depth=4
	s_or_b32 exec_lo, exec_lo, s74
	v_cmp_gt_i16_sdwa s74, v8, v117 src0_sel:BYTE_1 src1_sel:DWORD
	s_mov_b32 s17, 0
	s_and_saveexec_b32 s75, s74
	s_xor_b32 s74, exec_lo, s75
	s_cbranch_execz .LBB4_2357
; %bb.1827:                             ;   in Loop: Header=BB4_1769 Depth=4
	v_cmp_eq_u16_sdwa s76, v8, v118 src0_sel:BYTE_1 src1_sel:DWORD
	s_mov_b32 s17, -1
	s_and_saveexec_b32 s75, s76
; %bb.1828:                             ;   in Loop: Header=BB4_1769 Depth=4
	s_xor_b32 s17, exec_lo, -1
; %bb.1829:                             ;   in Loop: Header=BB4_1769 Depth=4
	s_or_b32 exec_lo, exec_lo, s75
	s_and_b32 s17, s17, exec_lo
	s_or_saveexec_b32 s74, s74
	v_mov_b32_e32 v74, 0x7f800001
	s_xor_b32 exec_lo, exec_lo, s74
	s_cbranch_execnz .LBB4_2358
.LBB4_1830:                             ;   in Loop: Header=BB4_1769 Depth=4
	s_or_b32 exec_lo, exec_lo, s74
	s_and_saveexec_b32 s74, s17
.LBB4_1831:                             ;   in Loop: Header=BB4_1769 Depth=4
	v_mov_b32_e32 v74, v96
.LBB4_1832:                             ;   in Loop: Header=BB4_1769 Depth=4
	s_or_b32 exec_lo, exec_lo, s74
	v_max_f32_e32 v96, v74, v74
	v_max_f32_e32 v97, v97, v97
	v_min_f32_e32 v97, v97, v96
.LBB4_1833:                             ;   in Loop: Header=BB4_1769 Depth=4
	v_and_b32_e32 v96, 0x7f800000, v97
	v_cmp_ne_u32_e32 vcc_lo, 0x7f800000, v96
	v_mov_b32_e32 v96, 0x8000
	s_and_saveexec_b32 s74, vcc_lo
	s_cbranch_execz .LBB4_1841
; %bb.1834:                             ;   in Loop: Header=BB4_1769 Depth=4
	v_mov_b32_e32 v96, 0
	s_mov_b32 s75, exec_lo
	v_cmpx_ne_u32_e32 0, v97
	s_cbranch_execz .LBB4_1840
; %bb.1835:                             ;   in Loop: Header=BB4_1769 Depth=4
	v_bfe_u32 v96, v97, 23, 8
	v_and_b32_e32 v74, 0x7fffff, v97
	v_sub_nc_u32_e32 v75, 0x78, v96
	v_cmp_gt_u32_e32 vcc_lo, 0x79, v96
	v_or_b32_e32 v76, 0x800000, v74
	v_cndmask_b32_e32 v75, 0, v75, vcc_lo
	v_cmp_eq_u32_e32 vcc_lo, 0, v96
	v_add_nc_u32_e32 v96, 0xffffff89, v96
	v_cndmask_b32_e64 v75, v75, 0x77, vcc_lo
	v_cndmask_b32_e32 v74, v76, v74, vcc_lo
	v_cndmask_b32_e64 v96, v96, 0xffffff8a, vcc_lo
	v_lshl_add_u32 v76, 0x100000, v75, -1
	v_lshrrev_b32_e32 v77, v75, v74
	v_lshlrev_b32_e64 v79, v75, 0x80000
	v_add_nc_u32_e32 v75, v75, v96
	v_and_b32_e32 v74, v76, v74
	v_bfe_u32 v78, v77, 20, 1
	v_cmp_eq_u32_e64 s17, v74, v79
	v_add_nc_u32_e32 v76, -1, v78
	v_cndmask_b32_e64 v74, 0, v76, s17
	v_lshrrev_b32_e32 v76, 23, v77
	s_mov_b32 s17, exec_lo
	v_add_nc_u32_e32 v74, v74, v77
	v_xor_b32_e32 v76, 1, v76
	v_and_b32_e32 v96, 0xfffff, v74
	v_add_nc_u32_e32 v74, v96, v77
                                        ; implicit-def: $vgpr96
	v_cmpx_ne_u32_e64 v75, v76
	s_xor_b32 s17, exec_lo, s17
; %bb.1836:                             ;   in Loop: Header=BB4_1769 Depth=4
	v_cmp_lt_u32_e32 vcc_lo, 0xffffff, v74
	v_sub_nc_u32_e32 v96, v75, v76
	v_cndmask_b32_e64 v75, 0, 1, vcc_lo
	v_add_co_ci_u32_e64 v96, null, 0, v96, vcc_lo
	v_lshrrev_b32_e32 v74, v75, v74
; %bb.1837:                             ;   in Loop: Header=BB4_1769 Depth=4
	s_andn2_saveexec_b32 s17, s17
; %bb.1838:                             ;   in Loop: Header=BB4_1769 Depth=4
	v_bfe_u32 v96, v74, 23, 1
; %bb.1839:                             ;   in Loop: Header=BB4_1769 Depth=4
	s_or_b32 exec_lo, exec_lo, s17
	v_lshrrev_b32_e32 v74, 20, v74
	v_min_i32_e32 v75, 15, v96
	v_cmp_gt_i32_e32 vcc_lo, 16, v96
	v_and_b32_sdwa v97, v97, v118 dst_sel:DWORD dst_unused:UNUSED_PAD src0_sel:BYTE_3 src1_sel:DWORD
	v_lshlrev_b32_e32 v75, 3, v75
	v_cndmask_b32_e32 v74, 7, v74, vcc_lo
	v_and_b32_e32 v75, 0xf8, v75
	v_and_b32_e32 v76, 7, v74
	v_or_b32_e32 v96, v96, v74
	v_or3_b32 v97, v97, v75, v76
	v_cmp_ne_u32_e32 vcc_lo, 0, v96
	v_lshlrev_b32_e32 v97, 8, v97
	v_cndmask_b32_e32 v96, 0, v97, vcc_lo
.LBB4_1840:                             ;   in Loop: Header=BB4_1769 Depth=4
	s_or_b32 exec_lo, exec_lo, s75
.LBB4_1841:                             ;   in Loop: Header=BB4_1769 Depth=4
	s_or_b32 exec_lo, exec_lo, s74
	v_bfe_u32 v97, v8, 16, 3
	v_bfe_u32 v76, v8, 19, 4
	v_lshlrev_b32_e32 v77, 8, v8
	s_mov_b32 s74, -1
	v_ffbh_u32_e32 v74, v97
	v_cmp_eq_u32_e32 vcc_lo, 0, v76
	v_min_u32_e32 v74, 32, v74
	v_subrev_nc_u32_e32 v75, 28, v74
	v_sub_nc_u32_e32 v74, 29, v74
	v_lshlrev_b32_sdwa v75, v75, v8 dst_sel:DWORD dst_unused:UNUSED_PAD src0_sel:DWORD src1_sel:WORD_1
	v_cndmask_b32_e32 v74, v76, v74, vcc_lo
	v_and_b32_e32 v75, 7, v75
	v_lshl_add_u32 v76, v74, 23, 0x3b800000
	v_and_b32_sdwa v74, v12, v40 dst_sel:DWORD dst_unused:UNUSED_PAD src0_sel:WORD_1 src1_sel:DWORD
	v_cndmask_b32_e32 v97, v97, v75, vcc_lo
	v_and_b32_e32 v75, 0x80000000, v77
	v_cmp_lt_i16_e64 s17, 0x7f, v74
	s_and_b32 vcc_lo, exec_lo, s73
	v_lshlrev_b32_e32 v97, 20, v97
	v_or3_b32 v97, v75, v76, v97
                                        ; implicit-def: $vgpr75
	s_cbranch_vccz .LBB4_1855
; %bb.1842:                             ;   in Loop: Header=BB4_1769 Depth=4
	s_mov_b32 s74, 0
	s_and_saveexec_b32 s75, s17
	s_xor_b32 s17, exec_lo, s75
	s_cbranch_execz .LBB4_2359
; %bb.1843:                             ;   in Loop: Header=BB4_1769 Depth=4
	s_mov_b32 s74, -1
	s_mov_b32 s75, exec_lo
	v_cmpx_eq_u16_e32 0x80, v74
; %bb.1844:                             ;   in Loop: Header=BB4_1769 Depth=4
	s_xor_b32 s74, exec_lo, -1
; %bb.1845:                             ;   in Loop: Header=BB4_1769 Depth=4
	s_or_b32 exec_lo, exec_lo, s75
	s_and_b32 s74, s74, exec_lo
	s_or_saveexec_b32 s17, s17
	v_mov_b32_e32 v75, 0x7f800001
	s_xor_b32 exec_lo, exec_lo, s17
	s_cbranch_execnz .LBB4_2360
.LBB4_1846:                             ;   in Loop: Header=BB4_1769 Depth=4
	s_or_b32 exec_lo, exec_lo, s17
	s_and_saveexec_b32 s17, s74
	s_cbranch_execz .LBB4_1848
.LBB4_1847:                             ;   in Loop: Header=BB4_1769 Depth=4
	v_bfe_u32 v75, v12, 16, 3
	v_bfe_u32 v78, v12, 19, 4
	v_lshlrev_b32_sdwa v79, v41, v12 dst_sel:DWORD dst_unused:UNUSED_PAD src0_sel:DWORD src1_sel:WORD_1
	v_ffbh_u32_e32 v76, v75
	v_cmp_eq_u32_e32 vcc_lo, 0, v78
	v_min_u32_e32 v76, 32, v76
	v_subrev_nc_u32_e32 v77, 28, v76
	v_sub_nc_u32_e32 v76, 29, v76
	v_lshlrev_b32_sdwa v77, v77, v12 dst_sel:DWORD dst_unused:UNUSED_PAD src0_sel:DWORD src1_sel:WORD_1
	v_cndmask_b32_e32 v76, v78, v76, vcc_lo
	v_and_b32_e32 v77, 7, v77
	v_lshl_add_u32 v76, v76, 23, 0x3b800000
	v_cndmask_b32_e32 v75, v75, v77, vcc_lo
	v_and_b32_e32 v77, 0x80000000, v79
	v_lshlrev_b32_e32 v75, 20, v75
	v_or3_b32 v75, v77, v76, v75
.LBB4_1848:                             ;   in Loop: Header=BB4_1769 Depth=4
	s_or_b32 exec_lo, exec_lo, s17
	v_and_b32_sdwa v77, v8, v40 dst_sel:DWORD dst_unused:UNUSED_PAD src0_sel:WORD_1 src1_sel:DWORD
	s_mov_b32 s17, 0
	s_mov_b32 s74, exec_lo
	v_cmpx_lt_i16_e32 0x7f, v77
	s_xor_b32 s74, exec_lo, s74
	s_cbranch_execz .LBB4_2361
; %bb.1849:                             ;   in Loop: Header=BB4_1769 Depth=4
	s_mov_b32 s17, -1
	s_mov_b32 s75, exec_lo
	v_cmpx_eq_u16_e32 0x80, v77
; %bb.1850:                             ;   in Loop: Header=BB4_1769 Depth=4
	s_xor_b32 s17, exec_lo, -1
; %bb.1851:                             ;   in Loop: Header=BB4_1769 Depth=4
	s_or_b32 exec_lo, exec_lo, s75
	s_and_b32 s17, s17, exec_lo
                                        ; implicit-def: $vgpr77
	s_or_saveexec_b32 s74, s74
	v_mov_b32_e32 v76, 0x7f800001
	s_xor_b32 exec_lo, exec_lo, s74
	s_cbranch_execnz .LBB4_2362
.LBB4_1852:                             ;   in Loop: Header=BB4_1769 Depth=4
	s_or_b32 exec_lo, exec_lo, s74
	s_and_saveexec_b32 s74, s17
.LBB4_1853:                             ;   in Loop: Header=BB4_1769 Depth=4
	v_mov_b32_e32 v76, v97
.LBB4_1854:                             ;   in Loop: Header=BB4_1769 Depth=4
	s_or_b32 exec_lo, exec_lo, s74
	v_max_f32_e32 v76, v76, v76
	v_max_f32_e32 v75, v75, v75
	s_mov_b32 s74, 0
	v_max_f32_e32 v75, v75, v76
.LBB4_1855:                             ;   in Loop: Header=BB4_1769 Depth=4
	s_and_b32 vcc_lo, exec_lo, s74
	s_cbranch_vccz .LBB4_1869
; %bb.1856:                             ;   in Loop: Header=BB4_1769 Depth=4
	s_mov_b32 s17, 0
	s_mov_b32 s74, exec_lo
	v_cmpx_lt_i16_e32 0x7f, v74
	s_xor_b32 s74, exec_lo, s74
	s_cbranch_execz .LBB4_2363
; %bb.1857:                             ;   in Loop: Header=BB4_1769 Depth=4
	s_mov_b32 s17, -1
	s_mov_b32 s75, exec_lo
	v_cmpx_eq_u16_e32 0x80, v74
; %bb.1858:                             ;   in Loop: Header=BB4_1769 Depth=4
	s_xor_b32 s17, exec_lo, -1
; %bb.1859:                             ;   in Loop: Header=BB4_1769 Depth=4
	s_or_b32 exec_lo, exec_lo, s75
	s_and_b32 s17, s17, exec_lo
                                        ; implicit-def: $vgpr74
	s_or_saveexec_b32 s74, s74
	v_mov_b32_e32 v75, 0x7f800001
	s_xor_b32 exec_lo, exec_lo, s74
	s_cbranch_execnz .LBB4_2364
.LBB4_1860:                             ;   in Loop: Header=BB4_1769 Depth=4
	s_or_b32 exec_lo, exec_lo, s74
	s_and_saveexec_b32 s74, s17
	s_cbranch_execz .LBB4_1862
.LBB4_1861:                             ;   in Loop: Header=BB4_1769 Depth=4
	v_bfe_u32 v74, v12, 16, 3
	v_bfe_u32 v77, v12, 19, 4
	v_lshlrev_b32_sdwa v78, v41, v12 dst_sel:DWORD dst_unused:UNUSED_PAD src0_sel:DWORD src1_sel:WORD_1
	v_ffbh_u32_e32 v75, v74
	v_cmp_eq_u32_e32 vcc_lo, 0, v77
	v_min_u32_e32 v75, 32, v75
	v_subrev_nc_u32_e32 v76, 28, v75
	v_sub_nc_u32_e32 v75, 29, v75
	v_lshlrev_b32_sdwa v76, v76, v12 dst_sel:DWORD dst_unused:UNUSED_PAD src0_sel:DWORD src1_sel:WORD_1
	v_cndmask_b32_e32 v75, v77, v75, vcc_lo
	v_and_b32_e32 v76, 7, v76
	v_lshl_add_u32 v75, v75, 23, 0x3b800000
	v_cndmask_b32_e32 v74, v74, v76, vcc_lo
	v_and_b32_e32 v76, 0x80000000, v78
	v_lshlrev_b32_e32 v74, 20, v74
	v_or3_b32 v75, v76, v75, v74
.LBB4_1862:                             ;   in Loop: Header=BB4_1769 Depth=4
	s_or_b32 exec_lo, exec_lo, s74
	v_and_b32_sdwa v76, v8, v40 dst_sel:DWORD dst_unused:UNUSED_PAD src0_sel:WORD_1 src1_sel:DWORD
	s_mov_b32 s17, 0
	s_mov_b32 s74, exec_lo
	v_cmpx_lt_i16_e32 0x7f, v76
	s_xor_b32 s74, exec_lo, s74
	s_cbranch_execz .LBB4_2365
; %bb.1863:                             ;   in Loop: Header=BB4_1769 Depth=4
	s_mov_b32 s17, -1
	s_mov_b32 s75, exec_lo
	v_cmpx_eq_u16_e32 0x80, v76
; %bb.1864:                             ;   in Loop: Header=BB4_1769 Depth=4
	s_xor_b32 s17, exec_lo, -1
; %bb.1865:                             ;   in Loop: Header=BB4_1769 Depth=4
	s_or_b32 exec_lo, exec_lo, s75
	s_and_b32 s17, s17, exec_lo
                                        ; implicit-def: $vgpr76
	s_or_saveexec_b32 s74, s74
	v_mov_b32_e32 v74, 0x7f800001
	s_xor_b32 exec_lo, exec_lo, s74
	s_cbranch_execnz .LBB4_2366
.LBB4_1866:                             ;   in Loop: Header=BB4_1769 Depth=4
	s_or_b32 exec_lo, exec_lo, s74
	s_and_saveexec_b32 s74, s17
.LBB4_1867:                             ;   in Loop: Header=BB4_1769 Depth=4
	v_mov_b32_e32 v74, v97
.LBB4_1868:                             ;   in Loop: Header=BB4_1769 Depth=4
	s_or_b32 exec_lo, exec_lo, s74
	v_max_f32_e32 v97, v74, v74
	v_max_f32_e32 v74, v75, v75
	v_min_f32_e32 v75, v74, v97
.LBB4_1869:                             ;   in Loop: Header=BB4_1769 Depth=4
	v_and_b32_e32 v97, 0x7f800000, v75
	v_cmp_ne_u32_e32 vcc_lo, 0x7f800000, v97
	v_mov_b32_e32 v97, 0x80
	s_and_saveexec_b32 s74, vcc_lo
	s_cbranch_execz .LBB4_1877
; %bb.1870:                             ;   in Loop: Header=BB4_1769 Depth=4
	v_mov_b32_e32 v97, 0
	s_mov_b32 s75, exec_lo
	v_cmpx_ne_u32_e32 0, v75
	s_cbranch_execz .LBB4_1876
; %bb.1871:                             ;   in Loop: Header=BB4_1769 Depth=4
	v_bfe_u32 v97, v75, 23, 8
	v_and_b32_e32 v74, 0x7fffff, v75
	v_sub_nc_u32_e32 v76, 0x78, v97
	v_cmp_gt_u32_e32 vcc_lo, 0x79, v97
	v_or_b32_e32 v77, 0x800000, v74
	v_cndmask_b32_e32 v76, 0, v76, vcc_lo
	v_cmp_eq_u32_e32 vcc_lo, 0, v97
	v_add_nc_u32_e32 v97, 0xffffff89, v97
	v_cndmask_b32_e64 v76, v76, 0x77, vcc_lo
	v_cndmask_b32_e32 v74, v77, v74, vcc_lo
	v_cndmask_b32_e64 v97, v97, 0xffffff8a, vcc_lo
	v_lshl_add_u32 v77, 0x100000, v76, -1
	v_lshrrev_b32_e32 v78, v76, v74
	v_lshlrev_b32_e64 v88, v76, 0x80000
	v_add_nc_u32_e32 v76, v76, v97
	v_and_b32_e32 v74, v77, v74
	v_bfe_u32 v79, v78, 20, 1
	v_cmp_eq_u32_e64 s17, v74, v88
	v_add_nc_u32_e32 v77, -1, v79
	v_cndmask_b32_e64 v74, 0, v77, s17
	v_lshrrev_b32_e32 v77, 23, v78
	s_mov_b32 s17, exec_lo
	v_add_nc_u32_e32 v74, v74, v78
	v_xor_b32_e32 v77, 1, v77
	v_and_b32_e32 v97, 0xfffff, v74
	v_add_nc_u32_e32 v74, v97, v78
                                        ; implicit-def: $vgpr97
	v_cmpx_ne_u32_e64 v76, v77
	s_xor_b32 s17, exec_lo, s17
; %bb.1872:                             ;   in Loop: Header=BB4_1769 Depth=4
	v_cmp_lt_u32_e32 vcc_lo, 0xffffff, v74
	v_sub_nc_u32_e32 v97, v76, v77
	v_cndmask_b32_e64 v76, 0, 1, vcc_lo
	v_add_co_ci_u32_e64 v97, null, 0, v97, vcc_lo
	v_lshrrev_b32_e32 v74, v76, v74
; %bb.1873:                             ;   in Loop: Header=BB4_1769 Depth=4
	s_andn2_saveexec_b32 s17, s17
; %bb.1874:                             ;   in Loop: Header=BB4_1769 Depth=4
	v_bfe_u32 v97, v74, 23, 1
; %bb.1875:                             ;   in Loop: Header=BB4_1769 Depth=4
	s_or_b32 exec_lo, exec_lo, s17
	v_lshrrev_b32_e32 v74, 20, v74
	v_min_i32_e32 v76, 15, v97
	v_cmp_gt_i32_e32 vcc_lo, 16, v97
	v_and_b32_sdwa v75, v75, v118 dst_sel:DWORD dst_unused:UNUSED_PAD src0_sel:BYTE_3 src1_sel:DWORD
	v_lshlrev_b32_e32 v76, 3, v76
	v_cndmask_b32_e32 v74, 7, v74, vcc_lo
	v_and_b32_e32 v76, 0xf8, v76
	v_and_b32_e32 v77, 7, v74
	v_or_b32_e32 v97, v97, v74
	v_or3_b32 v74, v76, v75, v77
	v_cmp_ne_u32_e32 vcc_lo, 0, v97
	v_cndmask_b32_e32 v97, 0, v74, vcc_lo
.LBB4_1876:                             ;   in Loop: Header=BB4_1769 Depth=4
	s_or_b32 exec_lo, exec_lo, s75
.LBB4_1877:                             ;   in Loop: Header=BB4_1769 Depth=4
	s_or_b32 exec_lo, exec_lo, s74
	v_bfe_u32 v74, v8, 24, 3
	v_bfe_u32 v77, v8, 27, 4
	v_cmp_gt_i16_sdwa s74, v12, v117 src0_sel:BYTE_3 src1_sel:DWORD
	s_mov_b32 s17, -1
	v_ffbh_u32_e32 v75, v74
	v_cmp_eq_u32_e32 vcc_lo, 0, v77
	v_min_u32_e32 v75, 32, v75
	v_subrev_nc_u32_e32 v76, 28, v75
	v_sub_nc_u32_e32 v75, 29, v75
	v_lshlrev_b32_sdwa v76, v76, v8 dst_sel:DWORD dst_unused:UNUSED_PAD src0_sel:DWORD src1_sel:BYTE_3
	v_cndmask_b32_e32 v75, v77, v75, vcc_lo
	v_and_b32_e32 v76, 7, v76
	v_lshl_add_u32 v75, v75, 23, 0x3b800000
	v_cndmask_b32_e32 v74, v74, v76, vcc_lo
	v_and_b32_e32 v76, 0x80000000, v8
	s_and_b32 vcc_lo, exec_lo, s73
	v_lshlrev_b32_e32 v74, 20, v74
	v_or3_b32 v74, v76, v75, v74
                                        ; implicit-def: $vgpr75
	s_cbranch_vccz .LBB4_1891
; %bb.1878:                             ;   in Loop: Header=BB4_1769 Depth=4
	s_mov_b32 s17, 0
	s_and_saveexec_b32 s75, s74
	s_xor_b32 s74, exec_lo, s75
	s_cbranch_execz .LBB4_2367
; %bb.1879:                             ;   in Loop: Header=BB4_1769 Depth=4
	v_cmp_eq_u16_sdwa s76, v12, v118 src0_sel:BYTE_3 src1_sel:DWORD
	s_mov_b32 s17, -1
	s_and_saveexec_b32 s75, s76
; %bb.1880:                             ;   in Loop: Header=BB4_1769 Depth=4
	s_xor_b32 s17, exec_lo, -1
; %bb.1881:                             ;   in Loop: Header=BB4_1769 Depth=4
	s_or_b32 exec_lo, exec_lo, s75
	s_and_b32 s17, s17, exec_lo
	s_or_saveexec_b32 s74, s74
	v_mov_b32_e32 v75, 0x7f800001
	s_xor_b32 exec_lo, exec_lo, s74
	s_cbranch_execnz .LBB4_2368
.LBB4_1882:                             ;   in Loop: Header=BB4_1769 Depth=4
	s_or_b32 exec_lo, exec_lo, s74
	s_and_saveexec_b32 s74, s17
	s_cbranch_execz .LBB4_1884
.LBB4_1883:                             ;   in Loop: Header=BB4_1769 Depth=4
	v_bfe_u32 v75, v12, 24, 3
	v_bfe_u32 v78, v12, 27, 4
	v_ffbh_u32_e32 v76, v75
	v_cmp_eq_u32_e32 vcc_lo, 0, v78
	v_min_u32_e32 v76, 32, v76
	v_subrev_nc_u32_e32 v77, 28, v76
	v_sub_nc_u32_e32 v76, 29, v76
	v_lshlrev_b32_sdwa v77, v77, v12 dst_sel:DWORD dst_unused:UNUSED_PAD src0_sel:DWORD src1_sel:BYTE_3
	v_cndmask_b32_e32 v76, v78, v76, vcc_lo
	v_and_b32_e32 v77, 7, v77
	v_lshl_add_u32 v76, v76, 23, 0x3b800000
	v_cndmask_b32_e32 v75, v75, v77, vcc_lo
	v_and_b32_e32 v77, 0x80000000, v12
	v_lshlrev_b32_e32 v75, 20, v75
	v_or3_b32 v75, v77, v76, v75
.LBB4_1884:                             ;   in Loop: Header=BB4_1769 Depth=4
	s_or_b32 exec_lo, exec_lo, s74
	v_cmp_gt_i16_sdwa s74, v8, v117 src0_sel:BYTE_3 src1_sel:DWORD
	s_mov_b32 s17, 0
	s_and_saveexec_b32 s75, s74
	s_xor_b32 s74, exec_lo, s75
	s_cbranch_execz .LBB4_2369
; %bb.1885:                             ;   in Loop: Header=BB4_1769 Depth=4
	v_cmp_eq_u16_sdwa s76, v8, v118 src0_sel:BYTE_3 src1_sel:DWORD
	s_mov_b32 s17, -1
	s_and_saveexec_b32 s75, s76
; %bb.1886:                             ;   in Loop: Header=BB4_1769 Depth=4
	s_xor_b32 s17, exec_lo, -1
; %bb.1887:                             ;   in Loop: Header=BB4_1769 Depth=4
	s_or_b32 exec_lo, exec_lo, s75
	s_and_b32 s17, s17, exec_lo
	s_or_saveexec_b32 s74, s74
	v_mov_b32_e32 v76, 0x7f800001
	s_xor_b32 exec_lo, exec_lo, s74
	s_cbranch_execnz .LBB4_2370
.LBB4_1888:                             ;   in Loop: Header=BB4_1769 Depth=4
	s_or_b32 exec_lo, exec_lo, s74
	s_and_saveexec_b32 s74, s17
.LBB4_1889:                             ;   in Loop: Header=BB4_1769 Depth=4
	v_mov_b32_e32 v76, v74
.LBB4_1890:                             ;   in Loop: Header=BB4_1769 Depth=4
	s_or_b32 exec_lo, exec_lo, s74
	v_max_f32_e32 v76, v76, v76
	v_max_f32_e32 v75, v75, v75
	s_mov_b32 s17, 0
	v_max_f32_e32 v75, v75, v76
.LBB4_1891:                             ;   in Loop: Header=BB4_1769 Depth=4
	s_and_b32 vcc_lo, exec_lo, s17
	s_cbranch_vccz .LBB4_1905
; %bb.1892:                             ;   in Loop: Header=BB4_1769 Depth=4
	v_cmp_gt_i16_sdwa s74, v12, v117 src0_sel:BYTE_3 src1_sel:DWORD
	s_mov_b32 s17, 0
	s_and_saveexec_b32 s75, s74
	s_xor_b32 s74, exec_lo, s75
	s_cbranch_execz .LBB4_2371
; %bb.1893:                             ;   in Loop: Header=BB4_1769 Depth=4
	v_cmp_eq_u16_sdwa s76, v12, v118 src0_sel:BYTE_3 src1_sel:DWORD
	s_mov_b32 s17, -1
	s_and_saveexec_b32 s75, s76
; %bb.1894:                             ;   in Loop: Header=BB4_1769 Depth=4
	s_xor_b32 s17, exec_lo, -1
; %bb.1895:                             ;   in Loop: Header=BB4_1769 Depth=4
	s_or_b32 exec_lo, exec_lo, s75
	s_and_b32 s17, s17, exec_lo
	s_or_saveexec_b32 s74, s74
	v_mov_b32_e32 v75, 0x7f800001
	s_xor_b32 exec_lo, exec_lo, s74
	s_cbranch_execnz .LBB4_2372
.LBB4_1896:                             ;   in Loop: Header=BB4_1769 Depth=4
	s_or_b32 exec_lo, exec_lo, s74
	s_and_saveexec_b32 s74, s17
	s_cbranch_execz .LBB4_1898
.LBB4_1897:                             ;   in Loop: Header=BB4_1769 Depth=4
	v_bfe_u32 v75, v12, 24, 3
	v_bfe_u32 v78, v12, 27, 4
	v_ffbh_u32_e32 v76, v75
	v_cmp_eq_u32_e32 vcc_lo, 0, v78
	v_min_u32_e32 v76, 32, v76
	v_subrev_nc_u32_e32 v77, 28, v76
	v_sub_nc_u32_e32 v76, 29, v76
	v_lshlrev_b32_sdwa v77, v77, v12 dst_sel:DWORD dst_unused:UNUSED_PAD src0_sel:DWORD src1_sel:BYTE_3
	v_cndmask_b32_e32 v76, v78, v76, vcc_lo
	v_and_b32_e32 v12, 0x80000000, v12
	v_and_b32_e32 v77, 7, v77
	v_lshl_add_u32 v76, v76, 23, 0x3b800000
	v_cndmask_b32_e32 v75, v75, v77, vcc_lo
	v_lshlrev_b32_e32 v75, 20, v75
	v_or3_b32 v75, v12, v76, v75
.LBB4_1898:                             ;   in Loop: Header=BB4_1769 Depth=4
	s_or_b32 exec_lo, exec_lo, s74
	v_cmp_gt_i16_sdwa s74, v8, v117 src0_sel:BYTE_3 src1_sel:DWORD
	s_mov_b32 s17, 0
	s_and_saveexec_b32 s75, s74
	s_xor_b32 s74, exec_lo, s75
	s_cbranch_execz .LBB4_2373
; %bb.1899:                             ;   in Loop: Header=BB4_1769 Depth=4
	v_cmp_eq_u16_sdwa s76, v8, v118 src0_sel:BYTE_3 src1_sel:DWORD
	s_mov_b32 s17, -1
	s_and_saveexec_b32 s75, s76
; %bb.1900:                             ;   in Loop: Header=BB4_1769 Depth=4
	s_xor_b32 s17, exec_lo, -1
; %bb.1901:                             ;   in Loop: Header=BB4_1769 Depth=4
	s_or_b32 exec_lo, exec_lo, s75
	s_and_b32 s17, s17, exec_lo
	s_or_saveexec_b32 s74, s74
	v_mov_b32_e32 v12, 0x7f800001
	s_xor_b32 exec_lo, exec_lo, s74
	s_cbranch_execnz .LBB4_2374
.LBB4_1902:                             ;   in Loop: Header=BB4_1769 Depth=4
	s_or_b32 exec_lo, exec_lo, s74
	s_and_saveexec_b32 s74, s17
.LBB4_1903:                             ;   in Loop: Header=BB4_1769 Depth=4
	v_mov_b32_e32 v12, v74
.LBB4_1904:                             ;   in Loop: Header=BB4_1769 Depth=4
	s_or_b32 exec_lo, exec_lo, s74
	v_max_f32_e32 v8, v12, v12
	v_max_f32_e32 v12, v75, v75
	v_min_f32_e32 v75, v12, v8
.LBB4_1905:                             ;   in Loop: Header=BB4_1769 Depth=4
	v_and_b32_e32 v8, 0x7f800000, v75
	v_mov_b32_e32 v12, 0x8000
	s_mov_b32 s74, exec_lo
	v_cmpx_ne_u32_e32 0x7f800000, v8
	s_cbranch_execz .LBB4_1913
; %bb.1906:                             ;   in Loop: Header=BB4_1769 Depth=4
	v_mov_b32_e32 v12, 0
	s_mov_b32 s75, exec_lo
	v_cmpx_ne_u32_e32 0, v75
	s_cbranch_execz .LBB4_1912
; %bb.1907:                             ;   in Loop: Header=BB4_1769 Depth=4
	v_bfe_u32 v8, v75, 23, 8
	v_and_b32_e32 v12, 0x7fffff, v75
	v_sub_nc_u32_e32 v74, 0x78, v8
	v_cmp_gt_u32_e32 vcc_lo, 0x79, v8
	v_or_b32_e32 v76, 0x800000, v12
	v_cndmask_b32_e32 v74, 0, v74, vcc_lo
	v_cmp_eq_u32_e32 vcc_lo, 0, v8
	v_add_nc_u32_e32 v8, 0xffffff89, v8
	v_cndmask_b32_e64 v74, v74, 0x77, vcc_lo
	v_cndmask_b32_e32 v12, v76, v12, vcc_lo
	v_cndmask_b32_e64 v8, v8, 0xffffff8a, vcc_lo
	v_lshl_add_u32 v76, 0x100000, v74, -1
	v_lshrrev_b32_e32 v77, v74, v12
	v_lshlrev_b32_e64 v79, v74, 0x80000
	v_add_nc_u32_e32 v74, v74, v8
	v_and_b32_e32 v12, v76, v12
	v_bfe_u32 v78, v77, 20, 1
	v_cmp_eq_u32_e64 s17, v12, v79
	v_add_nc_u32_e32 v76, -1, v78
	v_cndmask_b32_e64 v12, 0, v76, s17
	v_lshrrev_b32_e32 v76, 23, v77
	s_mov_b32 s17, exec_lo
	v_add_nc_u32_e32 v12, v12, v77
	v_xor_b32_e32 v76, 1, v76
	v_and_b32_e32 v8, 0xfffff, v12
	v_add_nc_u32_e32 v12, v8, v77
                                        ; implicit-def: $vgpr8
	v_cmpx_ne_u32_e64 v74, v76
	s_xor_b32 s17, exec_lo, s17
; %bb.1908:                             ;   in Loop: Header=BB4_1769 Depth=4
	v_cmp_lt_u32_e32 vcc_lo, 0xffffff, v12
	v_sub_nc_u32_e32 v8, v74, v76
	v_cndmask_b32_e64 v74, 0, 1, vcc_lo
	v_add_co_ci_u32_e64 v8, null, 0, v8, vcc_lo
	v_lshrrev_b32_e32 v12, v74, v12
; %bb.1909:                             ;   in Loop: Header=BB4_1769 Depth=4
	s_andn2_saveexec_b32 s17, s17
; %bb.1910:                             ;   in Loop: Header=BB4_1769 Depth=4
	v_bfe_u32 v8, v12, 23, 1
; %bb.1911:                             ;   in Loop: Header=BB4_1769 Depth=4
	s_or_b32 exec_lo, exec_lo, s17
	v_lshrrev_b32_e32 v12, 20, v12
	v_min_i32_e32 v74, 15, v8
	v_cmp_gt_i32_e32 vcc_lo, 16, v8
	v_and_b32_sdwa v75, v75, v118 dst_sel:DWORD dst_unused:UNUSED_PAD src0_sel:BYTE_3 src1_sel:DWORD
	v_lshlrev_b32_e32 v74, 3, v74
	v_cndmask_b32_e32 v12, 7, v12, vcc_lo
	v_and_b32_e32 v74, 0xf8, v74
	v_and_b32_e32 v76, 7, v12
	v_or_b32_e32 v8, v8, v12
	v_or3_b32 v74, v75, v74, v76
	v_cmp_ne_u32_e32 vcc_lo, 0, v8
	v_lshlrev_b32_e32 v12, 8, v74
	v_cndmask_b32_e32 v12, 0, v12, vcc_lo
.LBB4_1912:                             ;   in Loop: Header=BB4_1769 Depth=4
	s_or_b32 exec_lo, exec_lo, s75
.LBB4_1913:                             ;   in Loop: Header=BB4_1769 Depth=4
	s_or_b32 exec_lo, exec_lo, s74
	v_and_b32_e32 v8, 7, v9
	v_bfe_u32 v76, v9, 3, 4
	v_lshlrev_b32_e32 v77, 24, v9
	v_cmp_gt_i16_sdwa s74, v13, v117 src0_sel:BYTE_0 src1_sel:DWORD
	s_mov_b32 s17, -1
	v_ffbh_u32_e32 v74, v8
	v_cmp_eq_u32_e32 vcc_lo, 0, v76
	v_min_u32_e32 v74, 32, v74
	v_subrev_nc_u32_e32 v75, 28, v74
	v_sub_nc_u32_e32 v74, 29, v74
	v_lshlrev_b32_e32 v75, v75, v9
	v_cndmask_b32_e32 v74, v76, v74, vcc_lo
	v_and_b32_e32 v75, 7, v75
	v_lshl_add_u32 v74, v74, 23, 0x3b800000
	v_cndmask_b32_e32 v8, v8, v75, vcc_lo
	v_and_b32_e32 v75, 0x80000000, v77
	s_and_b32 vcc_lo, exec_lo, s73
	v_lshlrev_b32_e32 v8, 20, v8
	v_or3_b32 v8, v75, v74, v8
                                        ; implicit-def: $vgpr75
	s_cbranch_vccz .LBB4_1927
; %bb.1914:                             ;   in Loop: Header=BB4_1769 Depth=4
	s_mov_b32 s17, 0
	s_and_saveexec_b32 s75, s74
	s_xor_b32 s74, exec_lo, s75
	s_cbranch_execz .LBB4_2375
; %bb.1915:                             ;   in Loop: Header=BB4_1769 Depth=4
	v_cmp_eq_u16_sdwa s76, v13, v118 src0_sel:BYTE_0 src1_sel:DWORD
	s_mov_b32 s17, -1
	s_and_saveexec_b32 s75, s76
; %bb.1916:                             ;   in Loop: Header=BB4_1769 Depth=4
	s_xor_b32 s17, exec_lo, -1
; %bb.1917:                             ;   in Loop: Header=BB4_1769 Depth=4
	s_or_b32 exec_lo, exec_lo, s75
	s_and_b32 s17, s17, exec_lo
	s_or_saveexec_b32 s74, s74
	v_mov_b32_e32 v74, 0x7f800001
	s_xor_b32 exec_lo, exec_lo, s74
	s_cbranch_execnz .LBB4_2376
.LBB4_1918:                             ;   in Loop: Header=BB4_1769 Depth=4
	s_or_b32 exec_lo, exec_lo, s74
	s_and_saveexec_b32 s74, s17
	s_cbranch_execz .LBB4_1920
.LBB4_1919:                             ;   in Loop: Header=BB4_1769 Depth=4
	v_and_b32_e32 v74, 7, v13
	v_bfe_u32 v77, v13, 3, 4
	v_lshlrev_b32_e32 v78, 24, v13
	v_ffbh_u32_e32 v75, v74
	v_cmp_eq_u32_e32 vcc_lo, 0, v77
	v_min_u32_e32 v75, 32, v75
	v_subrev_nc_u32_e32 v76, 28, v75
	v_sub_nc_u32_e32 v75, 29, v75
	v_lshlrev_b32_e32 v76, v76, v13
	v_cndmask_b32_e32 v75, v77, v75, vcc_lo
	v_and_b32_e32 v76, 7, v76
	v_lshl_add_u32 v75, v75, 23, 0x3b800000
	v_cndmask_b32_e32 v74, v74, v76, vcc_lo
	v_and_b32_e32 v76, 0x80000000, v78
	v_lshlrev_b32_e32 v74, 20, v74
	v_or3_b32 v74, v76, v75, v74
.LBB4_1920:                             ;   in Loop: Header=BB4_1769 Depth=4
	s_or_b32 exec_lo, exec_lo, s74
	v_cmp_gt_i16_sdwa s74, v9, v117 src0_sel:BYTE_0 src1_sel:DWORD
	s_mov_b32 s17, 0
	s_and_saveexec_b32 s75, s74
	s_xor_b32 s74, exec_lo, s75
	s_cbranch_execz .LBB4_2377
; %bb.1921:                             ;   in Loop: Header=BB4_1769 Depth=4
	v_cmp_eq_u16_sdwa s76, v9, v118 src0_sel:BYTE_0 src1_sel:DWORD
	s_mov_b32 s17, -1
	s_and_saveexec_b32 s75, s76
; %bb.1922:                             ;   in Loop: Header=BB4_1769 Depth=4
	s_xor_b32 s17, exec_lo, -1
; %bb.1923:                             ;   in Loop: Header=BB4_1769 Depth=4
	s_or_b32 exec_lo, exec_lo, s75
	s_and_b32 s17, s17, exec_lo
	s_or_saveexec_b32 s74, s74
	v_mov_b32_e32 v75, 0x7f800001
	s_xor_b32 exec_lo, exec_lo, s74
	s_cbranch_execnz .LBB4_2378
.LBB4_1924:                             ;   in Loop: Header=BB4_1769 Depth=4
	s_or_b32 exec_lo, exec_lo, s74
	s_and_saveexec_b32 s74, s17
.LBB4_1925:                             ;   in Loop: Header=BB4_1769 Depth=4
	v_mov_b32_e32 v75, v8
.LBB4_1926:                             ;   in Loop: Header=BB4_1769 Depth=4
	s_or_b32 exec_lo, exec_lo, s74
	v_max_f32_e32 v75, v75, v75
	v_max_f32_e32 v74, v74, v74
	s_mov_b32 s17, 0
	v_max_f32_e32 v75, v74, v75
.LBB4_1927:                             ;   in Loop: Header=BB4_1769 Depth=4
	s_and_b32 vcc_lo, exec_lo, s17
	s_cbranch_vccz .LBB4_1941
; %bb.1928:                             ;   in Loop: Header=BB4_1769 Depth=4
	v_cmp_gt_i16_sdwa s74, v13, v117 src0_sel:BYTE_0 src1_sel:DWORD
	s_mov_b32 s17, 0
	s_and_saveexec_b32 s75, s74
	s_xor_b32 s74, exec_lo, s75
	s_cbranch_execz .LBB4_2379
; %bb.1929:                             ;   in Loop: Header=BB4_1769 Depth=4
	v_cmp_eq_u16_sdwa s76, v13, v118 src0_sel:BYTE_0 src1_sel:DWORD
	s_mov_b32 s17, -1
	s_and_saveexec_b32 s75, s76
; %bb.1930:                             ;   in Loop: Header=BB4_1769 Depth=4
	s_xor_b32 s17, exec_lo, -1
; %bb.1931:                             ;   in Loop: Header=BB4_1769 Depth=4
	s_or_b32 exec_lo, exec_lo, s75
	s_and_b32 s17, s17, exec_lo
	s_or_saveexec_b32 s74, s74
	v_mov_b32_e32 v74, 0x7f800001
	s_xor_b32 exec_lo, exec_lo, s74
	s_cbranch_execnz .LBB4_2380
.LBB4_1932:                             ;   in Loop: Header=BB4_1769 Depth=4
	s_or_b32 exec_lo, exec_lo, s74
	s_and_saveexec_b32 s74, s17
	s_cbranch_execz .LBB4_1934
.LBB4_1933:                             ;   in Loop: Header=BB4_1769 Depth=4
	v_and_b32_e32 v74, 7, v13
	v_bfe_u32 v77, v13, 3, 4
	v_lshlrev_b32_e32 v78, 24, v13
	v_ffbh_u32_e32 v75, v74
	v_cmp_eq_u32_e32 vcc_lo, 0, v77
	v_min_u32_e32 v75, 32, v75
	v_subrev_nc_u32_e32 v76, 28, v75
	v_sub_nc_u32_e32 v75, 29, v75
	v_lshlrev_b32_e32 v76, v76, v13
	v_cndmask_b32_e32 v75, v77, v75, vcc_lo
	v_and_b32_e32 v76, 7, v76
	v_lshl_add_u32 v75, v75, 23, 0x3b800000
	v_cndmask_b32_e32 v74, v74, v76, vcc_lo
	v_and_b32_e32 v76, 0x80000000, v78
	v_lshlrev_b32_e32 v74, 20, v74
	v_or3_b32 v74, v76, v75, v74
.LBB4_1934:                             ;   in Loop: Header=BB4_1769 Depth=4
	s_or_b32 exec_lo, exec_lo, s74
	v_cmp_gt_i16_sdwa s74, v9, v117 src0_sel:BYTE_0 src1_sel:DWORD
	s_mov_b32 s17, 0
	s_and_saveexec_b32 s75, s74
	s_xor_b32 s74, exec_lo, s75
	s_cbranch_execz .LBB4_2381
; %bb.1935:                             ;   in Loop: Header=BB4_1769 Depth=4
	v_cmp_eq_u16_sdwa s76, v9, v118 src0_sel:BYTE_0 src1_sel:DWORD
	s_mov_b32 s17, -1
	s_and_saveexec_b32 s75, s76
; %bb.1936:                             ;   in Loop: Header=BB4_1769 Depth=4
	s_xor_b32 s17, exec_lo, -1
; %bb.1937:                             ;   in Loop: Header=BB4_1769 Depth=4
	s_or_b32 exec_lo, exec_lo, s75
	s_and_b32 s17, s17, exec_lo
	s_or_saveexec_b32 s74, s74
	v_mov_b32_e32 v75, 0x7f800001
	s_xor_b32 exec_lo, exec_lo, s74
	s_cbranch_execnz .LBB4_2382
.LBB4_1938:                             ;   in Loop: Header=BB4_1769 Depth=4
	s_or_b32 exec_lo, exec_lo, s74
	s_and_saveexec_b32 s74, s17
.LBB4_1939:                             ;   in Loop: Header=BB4_1769 Depth=4
	v_mov_b32_e32 v75, v8
.LBB4_1940:                             ;   in Loop: Header=BB4_1769 Depth=4
	s_or_b32 exec_lo, exec_lo, s74
	v_max_f32_e32 v8, v75, v75
	v_max_f32_e32 v74, v74, v74
	v_min_f32_e32 v75, v74, v8
.LBB4_1941:                             ;   in Loop: Header=BB4_1769 Depth=4
	v_and_b32_e32 v8, 0x7f800000, v75
	v_mov_b32_e32 v74, 0x80
	s_mov_b32 s74, exec_lo
	v_cmpx_ne_u32_e32 0x7f800000, v8
	s_cbranch_execz .LBB4_1949
; %bb.1942:                             ;   in Loop: Header=BB4_1769 Depth=4
	v_mov_b32_e32 v74, 0
	s_mov_b32 s75, exec_lo
	v_cmpx_ne_u32_e32 0, v75
	s_cbranch_execz .LBB4_1948
; %bb.1943:                             ;   in Loop: Header=BB4_1769 Depth=4
	v_bfe_u32 v8, v75, 23, 8
	v_and_b32_e32 v74, 0x7fffff, v75
	v_sub_nc_u32_e32 v76, 0x78, v8
	v_cmp_gt_u32_e32 vcc_lo, 0x79, v8
	v_or_b32_e32 v77, 0x800000, v74
	v_cndmask_b32_e32 v76, 0, v76, vcc_lo
	v_cmp_eq_u32_e32 vcc_lo, 0, v8
	v_add_nc_u32_e32 v8, 0xffffff89, v8
	v_cndmask_b32_e64 v76, v76, 0x77, vcc_lo
	v_cndmask_b32_e32 v74, v77, v74, vcc_lo
	v_cndmask_b32_e64 v8, v8, 0xffffff8a, vcc_lo
	v_lshl_add_u32 v77, 0x100000, v76, -1
	v_lshrrev_b32_e32 v78, v76, v74
	v_lshlrev_b32_e64 v88, v76, 0x80000
	v_add_nc_u32_e32 v76, v76, v8
	v_and_b32_e32 v74, v77, v74
	v_bfe_u32 v79, v78, 20, 1
	v_cmp_eq_u32_e64 s17, v74, v88
	v_add_nc_u32_e32 v77, -1, v79
	v_cndmask_b32_e64 v74, 0, v77, s17
	v_lshrrev_b32_e32 v77, 23, v78
	s_mov_b32 s17, exec_lo
	v_add_nc_u32_e32 v74, v74, v78
	v_xor_b32_e32 v77, 1, v77
	v_and_b32_e32 v8, 0xfffff, v74
	v_add_nc_u32_e32 v74, v8, v78
                                        ; implicit-def: $vgpr8
	v_cmpx_ne_u32_e64 v76, v77
	s_xor_b32 s17, exec_lo, s17
; %bb.1944:                             ;   in Loop: Header=BB4_1769 Depth=4
	v_cmp_lt_u32_e32 vcc_lo, 0xffffff, v74
	v_sub_nc_u32_e32 v8, v76, v77
	v_cndmask_b32_e64 v76, 0, 1, vcc_lo
	v_add_co_ci_u32_e64 v8, null, 0, v8, vcc_lo
	v_lshrrev_b32_e32 v74, v76, v74
; %bb.1945:                             ;   in Loop: Header=BB4_1769 Depth=4
	s_andn2_saveexec_b32 s17, s17
; %bb.1946:                             ;   in Loop: Header=BB4_1769 Depth=4
	v_bfe_u32 v8, v74, 23, 1
; %bb.1947:                             ;   in Loop: Header=BB4_1769 Depth=4
	s_or_b32 exec_lo, exec_lo, s17
	v_lshrrev_b32_e32 v74, 20, v74
	v_min_i32_e32 v76, 15, v8
	v_cmp_gt_i32_e32 vcc_lo, 16, v8
	v_and_b32_sdwa v75, v75, v118 dst_sel:DWORD dst_unused:UNUSED_PAD src0_sel:BYTE_3 src1_sel:DWORD
	v_lshlrev_b32_e32 v76, 3, v76
	v_cndmask_b32_e32 v74, 7, v74, vcc_lo
	v_and_b32_e32 v76, 0xf8, v76
	v_and_b32_e32 v77, 7, v74
	v_or_b32_e32 v8, v8, v74
	v_or3_b32 v74, v76, v75, v77
	v_cmp_ne_u32_e32 vcc_lo, 0, v8
	v_cndmask_b32_e32 v74, 0, v74, vcc_lo
.LBB4_1948:                             ;   in Loop: Header=BB4_1769 Depth=4
	s_or_b32 exec_lo, exec_lo, s75
.LBB4_1949:                             ;   in Loop: Header=BB4_1769 Depth=4
	s_or_b32 exec_lo, exec_lo, s74
	v_and_b32_sdwa v8, v119, v9 dst_sel:DWORD dst_unused:UNUSED_PAD src0_sel:DWORD src1_sel:BYTE_1
	v_cmp_gt_i16_sdwa s74, v13, v117 src0_sel:BYTE_1 src1_sel:DWORD
	s_mov_b32 s17, -1
	v_and_b32_e32 v75, 7, v8
	v_bfe_u32 v78, v8, 3, 4
	v_ffbh_u32_e32 v76, v75
	v_cmp_eq_u32_e32 vcc_lo, 0, v78
	v_min_u32_e32 v76, 32, v76
	v_subrev_nc_u32_e32 v77, 28, v76
	v_sub_nc_u32_e32 v76, 29, v76
	v_lshlrev_b32_e32 v8, v77, v8
	v_lshlrev_b32_sdwa v77, v41, v9 dst_sel:DWORD dst_unused:UNUSED_PAD src0_sel:DWORD src1_sel:BYTE_1
	v_cndmask_b32_e32 v76, v78, v76, vcc_lo
	v_and_b32_e32 v8, 7, v8
	v_lshl_add_u32 v76, v76, 23, 0x3b800000
	v_cndmask_b32_e32 v8, v75, v8, vcc_lo
	v_and_b32_e32 v75, 0x80000000, v77
	s_and_b32 vcc_lo, exec_lo, s73
	v_lshlrev_b32_e32 v8, 20, v8
	v_or3_b32 v8, v75, v76, v8
                                        ; implicit-def: $vgpr76
	s_cbranch_vccz .LBB4_1963
; %bb.1950:                             ;   in Loop: Header=BB4_1769 Depth=4
	s_mov_b32 s17, 0
	s_and_saveexec_b32 s75, s74
	s_xor_b32 s74, exec_lo, s75
	s_cbranch_execz .LBB4_2383
; %bb.1951:                             ;   in Loop: Header=BB4_1769 Depth=4
	v_cmp_eq_u16_sdwa s76, v13, v118 src0_sel:BYTE_1 src1_sel:DWORD
	s_mov_b32 s17, -1
	s_and_saveexec_b32 s75, s76
; %bb.1952:                             ;   in Loop: Header=BB4_1769 Depth=4
	s_xor_b32 s17, exec_lo, -1
; %bb.1953:                             ;   in Loop: Header=BB4_1769 Depth=4
	s_or_b32 exec_lo, exec_lo, s75
	s_and_b32 s17, s17, exec_lo
	s_or_saveexec_b32 s74, s74
	v_mov_b32_e32 v75, 0x7f800001
	s_xor_b32 exec_lo, exec_lo, s74
	s_cbranch_execnz .LBB4_2384
.LBB4_1954:                             ;   in Loop: Header=BB4_1769 Depth=4
	s_or_b32 exec_lo, exec_lo, s74
	s_and_saveexec_b32 s74, s17
	s_cbranch_execz .LBB4_1956
.LBB4_1955:                             ;   in Loop: Header=BB4_1769 Depth=4
	v_and_b32_sdwa v75, v119, v13 dst_sel:DWORD dst_unused:UNUSED_PAD src0_sel:DWORD src1_sel:BYTE_1
	v_and_b32_e32 v76, 7, v75
	v_bfe_u32 v79, v75, 3, 4
	v_ffbh_u32_e32 v77, v76
	v_cmp_eq_u32_e32 vcc_lo, 0, v79
	v_min_u32_e32 v77, 32, v77
	v_subrev_nc_u32_e32 v78, 28, v77
	v_sub_nc_u32_e32 v77, 29, v77
	v_lshlrev_b32_e32 v75, v78, v75
	v_lshlrev_b32_e32 v78, 16, v13
	v_cndmask_b32_e32 v77, v79, v77, vcc_lo
	v_and_b32_e32 v75, 7, v75
	v_lshl_add_u32 v77, v77, 23, 0x3b800000
	v_cndmask_b32_e32 v75, v76, v75, vcc_lo
	v_and_b32_e32 v76, 0x80000000, v78
	v_lshlrev_b32_e32 v75, 20, v75
	v_or3_b32 v75, v76, v77, v75
.LBB4_1956:                             ;   in Loop: Header=BB4_1769 Depth=4
	s_or_b32 exec_lo, exec_lo, s74
	v_cmp_gt_i16_sdwa s74, v9, v117 src0_sel:BYTE_1 src1_sel:DWORD
	s_mov_b32 s17, 0
	s_and_saveexec_b32 s75, s74
	s_xor_b32 s74, exec_lo, s75
	s_cbranch_execz .LBB4_2385
; %bb.1957:                             ;   in Loop: Header=BB4_1769 Depth=4
	v_cmp_eq_u16_sdwa s76, v9, v118 src0_sel:BYTE_1 src1_sel:DWORD
	s_mov_b32 s17, -1
	s_and_saveexec_b32 s75, s76
; %bb.1958:                             ;   in Loop: Header=BB4_1769 Depth=4
	s_xor_b32 s17, exec_lo, -1
; %bb.1959:                             ;   in Loop: Header=BB4_1769 Depth=4
	s_or_b32 exec_lo, exec_lo, s75
	s_and_b32 s17, s17, exec_lo
	s_or_saveexec_b32 s74, s74
	v_mov_b32_e32 v76, 0x7f800001
	s_xor_b32 exec_lo, exec_lo, s74
	s_cbranch_execnz .LBB4_2386
.LBB4_1960:                             ;   in Loop: Header=BB4_1769 Depth=4
	s_or_b32 exec_lo, exec_lo, s74
	s_and_saveexec_b32 s74, s17
.LBB4_1961:                             ;   in Loop: Header=BB4_1769 Depth=4
	v_mov_b32_e32 v76, v8
.LBB4_1962:                             ;   in Loop: Header=BB4_1769 Depth=4
	s_or_b32 exec_lo, exec_lo, s74
	v_max_f32_e32 v76, v76, v76
	v_max_f32_e32 v75, v75, v75
	s_mov_b32 s17, 0
	v_max_f32_e32 v76, v75, v76
.LBB4_1963:                             ;   in Loop: Header=BB4_1769 Depth=4
	s_and_b32 vcc_lo, exec_lo, s17
	s_cbranch_vccz .LBB4_1977
; %bb.1964:                             ;   in Loop: Header=BB4_1769 Depth=4
	v_cmp_gt_i16_sdwa s74, v13, v117 src0_sel:BYTE_1 src1_sel:DWORD
	s_mov_b32 s17, 0
	s_and_saveexec_b32 s75, s74
	s_xor_b32 s74, exec_lo, s75
	s_cbranch_execz .LBB4_2387
; %bb.1965:                             ;   in Loop: Header=BB4_1769 Depth=4
	v_cmp_eq_u16_sdwa s76, v13, v118 src0_sel:BYTE_1 src1_sel:DWORD
	s_mov_b32 s17, -1
	s_and_saveexec_b32 s75, s76
; %bb.1966:                             ;   in Loop: Header=BB4_1769 Depth=4
	s_xor_b32 s17, exec_lo, -1
; %bb.1967:                             ;   in Loop: Header=BB4_1769 Depth=4
	s_or_b32 exec_lo, exec_lo, s75
	s_and_b32 s17, s17, exec_lo
	s_or_saveexec_b32 s74, s74
	v_mov_b32_e32 v75, 0x7f800001
	s_xor_b32 exec_lo, exec_lo, s74
	s_cbranch_execnz .LBB4_2388
.LBB4_1968:                             ;   in Loop: Header=BB4_1769 Depth=4
	s_or_b32 exec_lo, exec_lo, s74
	s_and_saveexec_b32 s74, s17
	s_cbranch_execz .LBB4_1970
.LBB4_1969:                             ;   in Loop: Header=BB4_1769 Depth=4
	v_and_b32_sdwa v75, v119, v13 dst_sel:DWORD dst_unused:UNUSED_PAD src0_sel:DWORD src1_sel:BYTE_1
	v_and_b32_e32 v76, 7, v75
	v_bfe_u32 v79, v75, 3, 4
	v_ffbh_u32_e32 v77, v76
	v_cmp_eq_u32_e32 vcc_lo, 0, v79
	v_min_u32_e32 v77, 32, v77
	v_subrev_nc_u32_e32 v78, 28, v77
	v_sub_nc_u32_e32 v77, 29, v77
	v_lshlrev_b32_e32 v75, v78, v75
	v_lshlrev_b32_e32 v78, 16, v13
	v_cndmask_b32_e32 v77, v79, v77, vcc_lo
	v_and_b32_e32 v75, 7, v75
	v_lshl_add_u32 v77, v77, 23, 0x3b800000
	v_cndmask_b32_e32 v75, v76, v75, vcc_lo
	v_and_b32_e32 v76, 0x80000000, v78
	v_lshlrev_b32_e32 v75, 20, v75
	v_or3_b32 v75, v76, v77, v75
.LBB4_1970:                             ;   in Loop: Header=BB4_1769 Depth=4
	s_or_b32 exec_lo, exec_lo, s74
	v_cmp_gt_i16_sdwa s74, v9, v117 src0_sel:BYTE_1 src1_sel:DWORD
	s_mov_b32 s17, 0
	s_and_saveexec_b32 s75, s74
	s_xor_b32 s74, exec_lo, s75
	s_cbranch_execz .LBB4_2389
; %bb.1971:                             ;   in Loop: Header=BB4_1769 Depth=4
	v_cmp_eq_u16_sdwa s76, v9, v118 src0_sel:BYTE_1 src1_sel:DWORD
	s_mov_b32 s17, -1
	s_and_saveexec_b32 s75, s76
; %bb.1972:                             ;   in Loop: Header=BB4_1769 Depth=4
	s_xor_b32 s17, exec_lo, -1
; %bb.1973:                             ;   in Loop: Header=BB4_1769 Depth=4
	s_or_b32 exec_lo, exec_lo, s75
	s_and_b32 s17, s17, exec_lo
	s_or_saveexec_b32 s74, s74
	v_mov_b32_e32 v76, 0x7f800001
	s_xor_b32 exec_lo, exec_lo, s74
	s_cbranch_execnz .LBB4_2390
.LBB4_1974:                             ;   in Loop: Header=BB4_1769 Depth=4
	s_or_b32 exec_lo, exec_lo, s74
	s_and_saveexec_b32 s74, s17
.LBB4_1975:                             ;   in Loop: Header=BB4_1769 Depth=4
	v_mov_b32_e32 v76, v8
.LBB4_1976:                             ;   in Loop: Header=BB4_1769 Depth=4
	s_or_b32 exec_lo, exec_lo, s74
	v_max_f32_e32 v8, v76, v76
	v_max_f32_e32 v75, v75, v75
	v_min_f32_e32 v76, v75, v8
.LBB4_1977:                             ;   in Loop: Header=BB4_1769 Depth=4
	v_and_b32_e32 v8, 0x7f800000, v76
	v_mov_b32_e32 v75, 0x8000
	s_mov_b32 s74, exec_lo
	v_cmpx_ne_u32_e32 0x7f800000, v8
	s_cbranch_execz .LBB4_1985
; %bb.1978:                             ;   in Loop: Header=BB4_1769 Depth=4
	v_mov_b32_e32 v75, 0
	s_mov_b32 s75, exec_lo
	v_cmpx_ne_u32_e32 0, v76
	s_cbranch_execz .LBB4_1984
; %bb.1979:                             ;   in Loop: Header=BB4_1769 Depth=4
	v_bfe_u32 v8, v76, 23, 8
	v_and_b32_e32 v75, 0x7fffff, v76
	v_sub_nc_u32_e32 v77, 0x78, v8
	v_cmp_gt_u32_e32 vcc_lo, 0x79, v8
	v_or_b32_e32 v78, 0x800000, v75
	v_cndmask_b32_e32 v77, 0, v77, vcc_lo
	v_cmp_eq_u32_e32 vcc_lo, 0, v8
	v_add_nc_u32_e32 v8, 0xffffff89, v8
	v_cndmask_b32_e64 v77, v77, 0x77, vcc_lo
	v_cndmask_b32_e32 v75, v78, v75, vcc_lo
	v_cndmask_b32_e64 v8, v8, 0xffffff8a, vcc_lo
	v_lshl_add_u32 v78, 0x100000, v77, -1
	v_lshrrev_b32_e32 v79, v77, v75
	v_lshlrev_b32_e64 v89, v77, 0x80000
	v_add_nc_u32_e32 v77, v77, v8
	v_and_b32_e32 v75, v78, v75
	v_bfe_u32 v88, v79, 20, 1
	v_cmp_eq_u32_e64 s17, v75, v89
	v_add_nc_u32_e32 v78, -1, v88
	v_cndmask_b32_e64 v75, 0, v78, s17
	v_lshrrev_b32_e32 v78, 23, v79
	s_mov_b32 s17, exec_lo
	v_add_nc_u32_e32 v75, v75, v79
	v_xor_b32_e32 v78, 1, v78
	v_and_b32_e32 v8, 0xfffff, v75
	v_add_nc_u32_e32 v75, v8, v79
                                        ; implicit-def: $vgpr8
	v_cmpx_ne_u32_e64 v77, v78
	s_xor_b32 s17, exec_lo, s17
; %bb.1980:                             ;   in Loop: Header=BB4_1769 Depth=4
	v_cmp_lt_u32_e32 vcc_lo, 0xffffff, v75
	v_sub_nc_u32_e32 v8, v77, v78
	v_cndmask_b32_e64 v77, 0, 1, vcc_lo
	v_add_co_ci_u32_e64 v8, null, 0, v8, vcc_lo
	v_lshrrev_b32_e32 v75, v77, v75
; %bb.1981:                             ;   in Loop: Header=BB4_1769 Depth=4
	s_andn2_saveexec_b32 s17, s17
; %bb.1982:                             ;   in Loop: Header=BB4_1769 Depth=4
	v_bfe_u32 v8, v75, 23, 1
; %bb.1983:                             ;   in Loop: Header=BB4_1769 Depth=4
	s_or_b32 exec_lo, exec_lo, s17
	v_lshrrev_b32_e32 v75, 20, v75
	v_min_i32_e32 v77, 15, v8
	v_cmp_gt_i32_e32 vcc_lo, 16, v8
	v_and_b32_sdwa v76, v76, v118 dst_sel:DWORD dst_unused:UNUSED_PAD src0_sel:BYTE_3 src1_sel:DWORD
	v_lshlrev_b32_e32 v77, 3, v77
	v_cndmask_b32_e32 v75, 7, v75, vcc_lo
	v_and_b32_e32 v77, 0xf8, v77
	v_and_b32_e32 v78, 7, v75
	v_or_b32_e32 v8, v8, v75
	v_or3_b32 v76, v76, v77, v78
	v_cmp_ne_u32_e32 vcc_lo, 0, v8
	v_lshlrev_b32_e32 v75, 8, v76
	v_cndmask_b32_e32 v75, 0, v75, vcc_lo
.LBB4_1984:                             ;   in Loop: Header=BB4_1769 Depth=4
	s_or_b32 exec_lo, exec_lo, s75
.LBB4_1985:                             ;   in Loop: Header=BB4_1769 Depth=4
	s_or_b32 exec_lo, exec_lo, s74
	v_bfe_u32 v8, v9, 16, 3
	v_bfe_u32 v78, v9, 19, 4
	v_lshlrev_b32_e32 v79, 8, v9
	s_mov_b32 s74, -1
	v_ffbh_u32_e32 v76, v8
	v_cmp_eq_u32_e32 vcc_lo, 0, v78
	v_min_u32_e32 v76, 32, v76
	v_subrev_nc_u32_e32 v77, 28, v76
	v_sub_nc_u32_e32 v76, 29, v76
	v_lshlrev_b32_sdwa v77, v77, v9 dst_sel:DWORD dst_unused:UNUSED_PAD src0_sel:DWORD src1_sel:WORD_1
	v_cndmask_b32_e32 v76, v78, v76, vcc_lo
	v_and_b32_e32 v77, 7, v77
	v_lshl_add_u32 v78, v76, 23, 0x3b800000
	v_and_b32_sdwa v76, v13, v40 dst_sel:DWORD dst_unused:UNUSED_PAD src0_sel:WORD_1 src1_sel:DWORD
	v_cndmask_b32_e32 v8, v8, v77, vcc_lo
	v_and_b32_e32 v77, 0x80000000, v79
	v_cmp_lt_i16_e64 s17, 0x7f, v76
	s_and_b32 vcc_lo, exec_lo, s73
	v_lshlrev_b32_e32 v8, 20, v8
	v_or3_b32 v8, v77, v78, v8
                                        ; implicit-def: $vgpr77
	s_cbranch_vccz .LBB4_1999
; %bb.1986:                             ;   in Loop: Header=BB4_1769 Depth=4
	s_mov_b32 s74, 0
	s_and_saveexec_b32 s75, s17
	s_xor_b32 s17, exec_lo, s75
	s_cbranch_execz .LBB4_2391
; %bb.1987:                             ;   in Loop: Header=BB4_1769 Depth=4
	s_mov_b32 s74, -1
	s_mov_b32 s75, exec_lo
	v_cmpx_eq_u16_e32 0x80, v76
; %bb.1988:                             ;   in Loop: Header=BB4_1769 Depth=4
	s_xor_b32 s74, exec_lo, -1
; %bb.1989:                             ;   in Loop: Header=BB4_1769 Depth=4
	s_or_b32 exec_lo, exec_lo, s75
	s_and_b32 s74, s74, exec_lo
	s_or_saveexec_b32 s17, s17
	v_mov_b32_e32 v77, 0x7f800001
	s_xor_b32 exec_lo, exec_lo, s17
	s_cbranch_execnz .LBB4_2392
.LBB4_1990:                             ;   in Loop: Header=BB4_1769 Depth=4
	s_or_b32 exec_lo, exec_lo, s17
	s_and_saveexec_b32 s17, s74
	s_cbranch_execz .LBB4_1992
.LBB4_1991:                             ;   in Loop: Header=BB4_1769 Depth=4
	v_bfe_u32 v77, v13, 16, 3
	v_bfe_u32 v88, v13, 19, 4
	v_lshlrev_b32_sdwa v89, v41, v13 dst_sel:DWORD dst_unused:UNUSED_PAD src0_sel:DWORD src1_sel:WORD_1
	v_ffbh_u32_e32 v78, v77
	v_cmp_eq_u32_e32 vcc_lo, 0, v88
	v_min_u32_e32 v78, 32, v78
	v_subrev_nc_u32_e32 v79, 28, v78
	v_sub_nc_u32_e32 v78, 29, v78
	v_lshlrev_b32_sdwa v79, v79, v13 dst_sel:DWORD dst_unused:UNUSED_PAD src0_sel:DWORD src1_sel:WORD_1
	v_cndmask_b32_e32 v78, v88, v78, vcc_lo
	v_and_b32_e32 v79, 7, v79
	v_lshl_add_u32 v78, v78, 23, 0x3b800000
	v_cndmask_b32_e32 v77, v77, v79, vcc_lo
	v_and_b32_e32 v79, 0x80000000, v89
	v_lshlrev_b32_e32 v77, 20, v77
	v_or3_b32 v77, v79, v78, v77
.LBB4_1992:                             ;   in Loop: Header=BB4_1769 Depth=4
	s_or_b32 exec_lo, exec_lo, s17
	v_and_b32_sdwa v79, v9, v40 dst_sel:DWORD dst_unused:UNUSED_PAD src0_sel:WORD_1 src1_sel:DWORD
	s_mov_b32 s17, 0
	s_mov_b32 s74, exec_lo
	v_cmpx_lt_i16_e32 0x7f, v79
	s_xor_b32 s74, exec_lo, s74
	s_cbranch_execz .LBB4_2393
; %bb.1993:                             ;   in Loop: Header=BB4_1769 Depth=4
	s_mov_b32 s17, -1
	s_mov_b32 s75, exec_lo
	v_cmpx_eq_u16_e32 0x80, v79
; %bb.1994:                             ;   in Loop: Header=BB4_1769 Depth=4
	s_xor_b32 s17, exec_lo, -1
; %bb.1995:                             ;   in Loop: Header=BB4_1769 Depth=4
	s_or_b32 exec_lo, exec_lo, s75
	s_and_b32 s17, s17, exec_lo
                                        ; implicit-def: $vgpr79
	s_or_saveexec_b32 s74, s74
	v_mov_b32_e32 v78, 0x7f800001
	s_xor_b32 exec_lo, exec_lo, s74
	s_cbranch_execnz .LBB4_2394
.LBB4_1996:                             ;   in Loop: Header=BB4_1769 Depth=4
	s_or_b32 exec_lo, exec_lo, s74
	s_and_saveexec_b32 s74, s17
.LBB4_1997:                             ;   in Loop: Header=BB4_1769 Depth=4
	v_mov_b32_e32 v78, v8
.LBB4_1998:                             ;   in Loop: Header=BB4_1769 Depth=4
	s_or_b32 exec_lo, exec_lo, s74
	v_max_f32_e32 v78, v78, v78
	v_max_f32_e32 v77, v77, v77
	s_mov_b32 s74, 0
	v_max_f32_e32 v77, v77, v78
.LBB4_1999:                             ;   in Loop: Header=BB4_1769 Depth=4
	s_and_b32 vcc_lo, exec_lo, s74
	s_cbranch_vccz .LBB4_2013
; %bb.2000:                             ;   in Loop: Header=BB4_1769 Depth=4
	s_mov_b32 s17, 0
	s_mov_b32 s74, exec_lo
	v_cmpx_lt_i16_e32 0x7f, v76
	s_xor_b32 s74, exec_lo, s74
	s_cbranch_execz .LBB4_2395
; %bb.2001:                             ;   in Loop: Header=BB4_1769 Depth=4
	s_mov_b32 s17, -1
	s_mov_b32 s75, exec_lo
	v_cmpx_eq_u16_e32 0x80, v76
; %bb.2002:                             ;   in Loop: Header=BB4_1769 Depth=4
	s_xor_b32 s17, exec_lo, -1
; %bb.2003:                             ;   in Loop: Header=BB4_1769 Depth=4
	s_or_b32 exec_lo, exec_lo, s75
	s_and_b32 s17, s17, exec_lo
                                        ; implicit-def: $vgpr76
	s_or_saveexec_b32 s74, s74
	v_mov_b32_e32 v77, 0x7f800001
	s_xor_b32 exec_lo, exec_lo, s74
	s_cbranch_execnz .LBB4_2396
.LBB4_2004:                             ;   in Loop: Header=BB4_1769 Depth=4
	s_or_b32 exec_lo, exec_lo, s74
	s_and_saveexec_b32 s74, s17
	s_cbranch_execz .LBB4_2006
.LBB4_2005:                             ;   in Loop: Header=BB4_1769 Depth=4
	v_bfe_u32 v76, v13, 16, 3
	v_bfe_u32 v79, v13, 19, 4
	v_lshlrev_b32_sdwa v88, v41, v13 dst_sel:DWORD dst_unused:UNUSED_PAD src0_sel:DWORD src1_sel:WORD_1
	v_ffbh_u32_e32 v77, v76
	v_cmp_eq_u32_e32 vcc_lo, 0, v79
	v_min_u32_e32 v77, 32, v77
	v_subrev_nc_u32_e32 v78, 28, v77
	v_sub_nc_u32_e32 v77, 29, v77
	v_lshlrev_b32_sdwa v78, v78, v13 dst_sel:DWORD dst_unused:UNUSED_PAD src0_sel:DWORD src1_sel:WORD_1
	v_cndmask_b32_e32 v77, v79, v77, vcc_lo
	v_and_b32_e32 v78, 7, v78
	v_lshl_add_u32 v77, v77, 23, 0x3b800000
	v_cndmask_b32_e32 v76, v76, v78, vcc_lo
	v_and_b32_e32 v78, 0x80000000, v88
	v_lshlrev_b32_e32 v76, 20, v76
	v_or3_b32 v77, v78, v77, v76
.LBB4_2006:                             ;   in Loop: Header=BB4_1769 Depth=4
	s_or_b32 exec_lo, exec_lo, s74
	v_and_b32_sdwa v78, v9, v40 dst_sel:DWORD dst_unused:UNUSED_PAD src0_sel:WORD_1 src1_sel:DWORD
	s_mov_b32 s17, 0
	s_mov_b32 s74, exec_lo
	v_cmpx_lt_i16_e32 0x7f, v78
	s_xor_b32 s74, exec_lo, s74
	s_cbranch_execz .LBB4_2397
; %bb.2007:                             ;   in Loop: Header=BB4_1769 Depth=4
	s_mov_b32 s17, -1
	s_mov_b32 s75, exec_lo
	v_cmpx_eq_u16_e32 0x80, v78
; %bb.2008:                             ;   in Loop: Header=BB4_1769 Depth=4
	s_xor_b32 s17, exec_lo, -1
; %bb.2009:                             ;   in Loop: Header=BB4_1769 Depth=4
	s_or_b32 exec_lo, exec_lo, s75
	s_and_b32 s17, s17, exec_lo
                                        ; implicit-def: $vgpr78
	s_or_saveexec_b32 s74, s74
	v_mov_b32_e32 v76, 0x7f800001
	s_xor_b32 exec_lo, exec_lo, s74
	s_cbranch_execnz .LBB4_2398
.LBB4_2010:                             ;   in Loop: Header=BB4_1769 Depth=4
	s_or_b32 exec_lo, exec_lo, s74
	s_and_saveexec_b32 s74, s17
.LBB4_2011:                             ;   in Loop: Header=BB4_1769 Depth=4
	v_mov_b32_e32 v76, v8
.LBB4_2012:                             ;   in Loop: Header=BB4_1769 Depth=4
	s_or_b32 exec_lo, exec_lo, s74
	v_max_f32_e32 v8, v76, v76
	v_max_f32_e32 v76, v77, v77
	v_min_f32_e32 v77, v76, v8
.LBB4_2013:                             ;   in Loop: Header=BB4_1769 Depth=4
	v_and_b32_e32 v8, 0x7f800000, v77
	v_mov_b32_e32 v76, 0x80
	s_mov_b32 s74, exec_lo
	v_cmpx_ne_u32_e32 0x7f800000, v8
	s_cbranch_execz .LBB4_2021
; %bb.2014:                             ;   in Loop: Header=BB4_1769 Depth=4
	v_mov_b32_e32 v76, 0
	s_mov_b32 s75, exec_lo
	v_cmpx_ne_u32_e32 0, v77
	s_cbranch_execz .LBB4_2020
; %bb.2015:                             ;   in Loop: Header=BB4_1769 Depth=4
	v_bfe_u32 v8, v77, 23, 8
	v_and_b32_e32 v76, 0x7fffff, v77
	v_sub_nc_u32_e32 v78, 0x78, v8
	v_cmp_gt_u32_e32 vcc_lo, 0x79, v8
	v_or_b32_e32 v79, 0x800000, v76
	v_cndmask_b32_e32 v78, 0, v78, vcc_lo
	v_cmp_eq_u32_e32 vcc_lo, 0, v8
	v_add_nc_u32_e32 v8, 0xffffff89, v8
	v_cndmask_b32_e64 v78, v78, 0x77, vcc_lo
	v_cndmask_b32_e32 v76, v79, v76, vcc_lo
	v_cndmask_b32_e64 v8, v8, 0xffffff8a, vcc_lo
	v_lshl_add_u32 v79, 0x100000, v78, -1
	v_lshrrev_b32_e32 v88, v78, v76
	v_lshlrev_b32_e64 v90, v78, 0x80000
	v_add_nc_u32_e32 v78, v78, v8
	v_and_b32_e32 v76, v79, v76
	v_bfe_u32 v89, v88, 20, 1
	v_cmp_eq_u32_e64 s17, v76, v90
	v_add_nc_u32_e32 v79, -1, v89
	v_cndmask_b32_e64 v76, 0, v79, s17
	v_lshrrev_b32_e32 v79, 23, v88
	s_mov_b32 s17, exec_lo
	v_add_nc_u32_e32 v76, v76, v88
	v_xor_b32_e32 v79, 1, v79
	v_and_b32_e32 v8, 0xfffff, v76
	v_add_nc_u32_e32 v76, v8, v88
                                        ; implicit-def: $vgpr8
	v_cmpx_ne_u32_e64 v78, v79
	s_xor_b32 s17, exec_lo, s17
; %bb.2016:                             ;   in Loop: Header=BB4_1769 Depth=4
	v_cmp_lt_u32_e32 vcc_lo, 0xffffff, v76
	v_sub_nc_u32_e32 v8, v78, v79
	v_cndmask_b32_e64 v78, 0, 1, vcc_lo
	v_add_co_ci_u32_e64 v8, null, 0, v8, vcc_lo
	v_lshrrev_b32_e32 v76, v78, v76
; %bb.2017:                             ;   in Loop: Header=BB4_1769 Depth=4
	s_andn2_saveexec_b32 s17, s17
; %bb.2018:                             ;   in Loop: Header=BB4_1769 Depth=4
	v_bfe_u32 v8, v76, 23, 1
; %bb.2019:                             ;   in Loop: Header=BB4_1769 Depth=4
	s_or_b32 exec_lo, exec_lo, s17
	v_lshrrev_b32_e32 v76, 20, v76
	v_min_i32_e32 v78, 15, v8
	v_cmp_gt_i32_e32 vcc_lo, 16, v8
	v_and_b32_sdwa v77, v77, v118 dst_sel:DWORD dst_unused:UNUSED_PAD src0_sel:BYTE_3 src1_sel:DWORD
	v_lshlrev_b32_e32 v78, 3, v78
	v_cndmask_b32_e32 v76, 7, v76, vcc_lo
	v_and_b32_e32 v78, 0xf8, v78
	v_and_b32_e32 v79, 7, v76
	v_or_b32_e32 v8, v8, v76
	v_or3_b32 v76, v78, v77, v79
	v_cmp_ne_u32_e32 vcc_lo, 0, v8
	v_cndmask_b32_e32 v76, 0, v76, vcc_lo
.LBB4_2020:                             ;   in Loop: Header=BB4_1769 Depth=4
	s_or_b32 exec_lo, exec_lo, s75
.LBB4_2021:                             ;   in Loop: Header=BB4_1769 Depth=4
	s_or_b32 exec_lo, exec_lo, s74
	v_bfe_u32 v8, v9, 24, 3
	v_bfe_u32 v79, v9, 27, 4
	v_cmp_gt_i16_sdwa s74, v13, v117 src0_sel:BYTE_3 src1_sel:DWORD
	s_mov_b32 s17, -1
	v_ffbh_u32_e32 v77, v8
	v_cmp_eq_u32_e32 vcc_lo, 0, v79
	v_min_u32_e32 v77, 32, v77
	v_subrev_nc_u32_e32 v78, 28, v77
	v_sub_nc_u32_e32 v77, 29, v77
	v_lshlrev_b32_sdwa v78, v78, v9 dst_sel:DWORD dst_unused:UNUSED_PAD src0_sel:DWORD src1_sel:BYTE_3
	v_cndmask_b32_e32 v77, v79, v77, vcc_lo
	v_and_b32_e32 v78, 7, v78
	v_lshl_add_u32 v77, v77, 23, 0x3b800000
	v_cndmask_b32_e32 v8, v8, v78, vcc_lo
	v_and_b32_e32 v78, 0x80000000, v9
	s_and_b32 vcc_lo, exec_lo, s73
	v_lshlrev_b32_e32 v8, 20, v8
	v_or3_b32 v8, v78, v77, v8
                                        ; implicit-def: $vgpr77
	s_cbranch_vccz .LBB4_2035
; %bb.2022:                             ;   in Loop: Header=BB4_1769 Depth=4
	s_mov_b32 s17, 0
	s_and_saveexec_b32 s75, s74
	s_xor_b32 s74, exec_lo, s75
	s_cbranch_execz .LBB4_2399
; %bb.2023:                             ;   in Loop: Header=BB4_1769 Depth=4
	v_cmp_eq_u16_sdwa s76, v13, v118 src0_sel:BYTE_3 src1_sel:DWORD
	s_mov_b32 s17, -1
	s_and_saveexec_b32 s75, s76
; %bb.2024:                             ;   in Loop: Header=BB4_1769 Depth=4
	s_xor_b32 s17, exec_lo, -1
; %bb.2025:                             ;   in Loop: Header=BB4_1769 Depth=4
	s_or_b32 exec_lo, exec_lo, s75
	s_and_b32 s17, s17, exec_lo
	s_or_saveexec_b32 s74, s74
	v_mov_b32_e32 v77, 0x7f800001
	s_xor_b32 exec_lo, exec_lo, s74
	s_cbranch_execnz .LBB4_2400
.LBB4_2026:                             ;   in Loop: Header=BB4_1769 Depth=4
	s_or_b32 exec_lo, exec_lo, s74
	s_and_saveexec_b32 s74, s17
	s_cbranch_execz .LBB4_2028
.LBB4_2027:                             ;   in Loop: Header=BB4_1769 Depth=4
	v_bfe_u32 v77, v13, 24, 3
	v_bfe_u32 v88, v13, 27, 4
	v_ffbh_u32_e32 v78, v77
	v_cmp_eq_u32_e32 vcc_lo, 0, v88
	v_min_u32_e32 v78, 32, v78
	v_subrev_nc_u32_e32 v79, 28, v78
	v_sub_nc_u32_e32 v78, 29, v78
	v_lshlrev_b32_sdwa v79, v79, v13 dst_sel:DWORD dst_unused:UNUSED_PAD src0_sel:DWORD src1_sel:BYTE_3
	v_cndmask_b32_e32 v78, v88, v78, vcc_lo
	v_and_b32_e32 v79, 7, v79
	v_lshl_add_u32 v78, v78, 23, 0x3b800000
	v_cndmask_b32_e32 v77, v77, v79, vcc_lo
	v_and_b32_e32 v79, 0x80000000, v13
	v_lshlrev_b32_e32 v77, 20, v77
	v_or3_b32 v77, v79, v78, v77
.LBB4_2028:                             ;   in Loop: Header=BB4_1769 Depth=4
	s_or_b32 exec_lo, exec_lo, s74
	v_cmp_gt_i16_sdwa s74, v9, v117 src0_sel:BYTE_3 src1_sel:DWORD
	s_mov_b32 s17, 0
	s_and_saveexec_b32 s75, s74
	s_xor_b32 s74, exec_lo, s75
	s_cbranch_execz .LBB4_2401
; %bb.2029:                             ;   in Loop: Header=BB4_1769 Depth=4
	v_cmp_eq_u16_sdwa s76, v9, v118 src0_sel:BYTE_3 src1_sel:DWORD
	s_mov_b32 s17, -1
	s_and_saveexec_b32 s75, s76
; %bb.2030:                             ;   in Loop: Header=BB4_1769 Depth=4
	s_xor_b32 s17, exec_lo, -1
; %bb.2031:                             ;   in Loop: Header=BB4_1769 Depth=4
	s_or_b32 exec_lo, exec_lo, s75
	s_and_b32 s17, s17, exec_lo
	s_or_saveexec_b32 s74, s74
	v_mov_b32_e32 v78, 0x7f800001
	s_xor_b32 exec_lo, exec_lo, s74
	s_cbranch_execnz .LBB4_2402
.LBB4_2032:                             ;   in Loop: Header=BB4_1769 Depth=4
	s_or_b32 exec_lo, exec_lo, s74
	s_and_saveexec_b32 s74, s17
.LBB4_2033:                             ;   in Loop: Header=BB4_1769 Depth=4
	v_mov_b32_e32 v78, v8
.LBB4_2034:                             ;   in Loop: Header=BB4_1769 Depth=4
	s_or_b32 exec_lo, exec_lo, s74
	v_max_f32_e32 v78, v78, v78
	v_max_f32_e32 v77, v77, v77
	s_mov_b32 s17, 0
	v_max_f32_e32 v77, v77, v78
.LBB4_2035:                             ;   in Loop: Header=BB4_1769 Depth=4
	s_and_b32 vcc_lo, exec_lo, s17
	s_cbranch_vccz .LBB4_2049
; %bb.2036:                             ;   in Loop: Header=BB4_1769 Depth=4
	v_cmp_gt_i16_sdwa s74, v13, v117 src0_sel:BYTE_3 src1_sel:DWORD
	s_mov_b32 s17, 0
	s_and_saveexec_b32 s75, s74
	s_xor_b32 s74, exec_lo, s75
	s_cbranch_execz .LBB4_2403
; %bb.2037:                             ;   in Loop: Header=BB4_1769 Depth=4
	v_cmp_eq_u16_sdwa s76, v13, v118 src0_sel:BYTE_3 src1_sel:DWORD
	s_mov_b32 s17, -1
	s_and_saveexec_b32 s75, s76
; %bb.2038:                             ;   in Loop: Header=BB4_1769 Depth=4
	s_xor_b32 s17, exec_lo, -1
; %bb.2039:                             ;   in Loop: Header=BB4_1769 Depth=4
	s_or_b32 exec_lo, exec_lo, s75
	s_and_b32 s17, s17, exec_lo
	s_or_saveexec_b32 s74, s74
	v_mov_b32_e32 v77, 0x7f800001
	s_xor_b32 exec_lo, exec_lo, s74
	s_cbranch_execnz .LBB4_2404
.LBB4_2040:                             ;   in Loop: Header=BB4_1769 Depth=4
	s_or_b32 exec_lo, exec_lo, s74
	s_and_saveexec_b32 s74, s17
	s_cbranch_execz .LBB4_2042
.LBB4_2041:                             ;   in Loop: Header=BB4_1769 Depth=4
	v_bfe_u32 v77, v13, 24, 3
	v_bfe_u32 v88, v13, 27, 4
	v_ffbh_u32_e32 v78, v77
	v_cmp_eq_u32_e32 vcc_lo, 0, v88
	v_min_u32_e32 v78, 32, v78
	v_subrev_nc_u32_e32 v79, 28, v78
	v_sub_nc_u32_e32 v78, 29, v78
	v_lshlrev_b32_sdwa v79, v79, v13 dst_sel:DWORD dst_unused:UNUSED_PAD src0_sel:DWORD src1_sel:BYTE_3
	v_cndmask_b32_e32 v78, v88, v78, vcc_lo
	v_and_b32_e32 v13, 0x80000000, v13
	v_and_b32_e32 v79, 7, v79
	v_lshl_add_u32 v78, v78, 23, 0x3b800000
	v_cndmask_b32_e32 v77, v77, v79, vcc_lo
	v_lshlrev_b32_e32 v77, 20, v77
	v_or3_b32 v77, v13, v78, v77
.LBB4_2042:                             ;   in Loop: Header=BB4_1769 Depth=4
	s_or_b32 exec_lo, exec_lo, s74
	v_cmp_gt_i16_sdwa s74, v9, v117 src0_sel:BYTE_3 src1_sel:DWORD
	s_mov_b32 s17, 0
	s_and_saveexec_b32 s75, s74
	s_xor_b32 s74, exec_lo, s75
	s_cbranch_execz .LBB4_2405
; %bb.2043:                             ;   in Loop: Header=BB4_1769 Depth=4
	v_cmp_eq_u16_sdwa s76, v9, v118 src0_sel:BYTE_3 src1_sel:DWORD
	s_mov_b32 s17, -1
	s_and_saveexec_b32 s75, s76
; %bb.2044:                             ;   in Loop: Header=BB4_1769 Depth=4
	s_xor_b32 s17, exec_lo, -1
; %bb.2045:                             ;   in Loop: Header=BB4_1769 Depth=4
	s_or_b32 exec_lo, exec_lo, s75
	s_and_b32 s17, s17, exec_lo
	s_or_saveexec_b32 s74, s74
	v_mov_b32_e32 v13, 0x7f800001
	s_xor_b32 exec_lo, exec_lo, s74
	s_cbranch_execnz .LBB4_2406
.LBB4_2046:                             ;   in Loop: Header=BB4_1769 Depth=4
	s_or_b32 exec_lo, exec_lo, s74
	s_and_saveexec_b32 s74, s17
.LBB4_2047:                             ;   in Loop: Header=BB4_1769 Depth=4
	v_mov_b32_e32 v13, v8
.LBB4_2048:                             ;   in Loop: Header=BB4_1769 Depth=4
	s_or_b32 exec_lo, exec_lo, s74
	v_max_f32_e32 v8, v13, v13
	v_max_f32_e32 v9, v77, v77
	v_min_f32_e32 v77, v9, v8
.LBB4_2049:                             ;   in Loop: Header=BB4_1769 Depth=4
	v_and_b32_e32 v8, 0x7f800000, v77
	v_mov_b32_e32 v13, 0x8000
	s_mov_b32 s74, exec_lo
	v_cmpx_ne_u32_e32 0x7f800000, v8
	s_cbranch_execz .LBB4_2057
; %bb.2050:                             ;   in Loop: Header=BB4_1769 Depth=4
	v_mov_b32_e32 v13, 0
	s_mov_b32 s75, exec_lo
	v_cmpx_ne_u32_e32 0, v77
	s_cbranch_execz .LBB4_2056
; %bb.2051:                             ;   in Loop: Header=BB4_1769 Depth=4
	v_bfe_u32 v8, v77, 23, 8
	v_and_b32_e32 v9, 0x7fffff, v77
	v_sub_nc_u32_e32 v13, 0x78, v8
	v_cmp_gt_u32_e32 vcc_lo, 0x79, v8
	v_or_b32_e32 v78, 0x800000, v9
	v_cndmask_b32_e32 v13, 0, v13, vcc_lo
	v_cmp_eq_u32_e32 vcc_lo, 0, v8
	v_add_nc_u32_e32 v8, 0xffffff89, v8
	v_cndmask_b32_e64 v13, v13, 0x77, vcc_lo
	v_cndmask_b32_e32 v9, v78, v9, vcc_lo
	v_cndmask_b32_e64 v8, v8, 0xffffff8a, vcc_lo
	v_lshl_add_u32 v78, 0x100000, v13, -1
	v_lshrrev_b32_e32 v79, v13, v9
	v_lshlrev_b32_e64 v89, v13, 0x80000
	v_add_nc_u32_e32 v13, v13, v8
	v_and_b32_e32 v9, v78, v9
	v_bfe_u32 v88, v79, 20, 1
	v_cmp_eq_u32_e64 s17, v9, v89
	v_add_nc_u32_e32 v78, -1, v88
	v_cndmask_b32_e64 v9, 0, v78, s17
	v_lshrrev_b32_e32 v78, 23, v79
	s_mov_b32 s17, exec_lo
	v_add_nc_u32_e32 v9, v9, v79
	v_xor_b32_e32 v78, 1, v78
	v_and_b32_e32 v8, 0xfffff, v9
	v_add_nc_u32_e32 v9, v8, v79
                                        ; implicit-def: $vgpr8
	v_cmpx_ne_u32_e64 v13, v78
	s_xor_b32 s17, exec_lo, s17
; %bb.2052:                             ;   in Loop: Header=BB4_1769 Depth=4
	v_cmp_lt_u32_e32 vcc_lo, 0xffffff, v9
	v_sub_nc_u32_e32 v8, v13, v78
	v_cndmask_b32_e64 v13, 0, 1, vcc_lo
	v_add_co_ci_u32_e64 v8, null, 0, v8, vcc_lo
	v_lshrrev_b32_e32 v9, v13, v9
; %bb.2053:                             ;   in Loop: Header=BB4_1769 Depth=4
	s_andn2_saveexec_b32 s17, s17
; %bb.2054:                             ;   in Loop: Header=BB4_1769 Depth=4
	v_bfe_u32 v8, v9, 23, 1
; %bb.2055:                             ;   in Loop: Header=BB4_1769 Depth=4
	s_or_b32 exec_lo, exec_lo, s17
	v_lshrrev_b32_e32 v9, 20, v9
	v_min_i32_e32 v13, 15, v8
	v_cmp_gt_i32_e32 vcc_lo, 16, v8
	v_and_b32_sdwa v77, v77, v118 dst_sel:DWORD dst_unused:UNUSED_PAD src0_sel:BYTE_3 src1_sel:DWORD
	v_lshlrev_b32_e32 v13, 3, v13
	v_cndmask_b32_e32 v9, 7, v9, vcc_lo
	v_and_b32_e32 v13, 0xf8, v13
	v_and_b32_e32 v78, 7, v9
	v_or_b32_e32 v8, v8, v9
	v_or3_b32 v13, v77, v13, v78
	v_cmp_ne_u32_e32 vcc_lo, 0, v8
	v_lshlrev_b32_e32 v9, 8, v13
	v_cndmask_b32_e32 v13, 0, v9, vcc_lo
.LBB4_2056:                             ;   in Loop: Header=BB4_1769 Depth=4
	s_or_b32 exec_lo, exec_lo, s75
.LBB4_2057:                             ;   in Loop: Header=BB4_1769 Depth=4
	s_or_b32 exec_lo, exec_lo, s74
	v_and_b32_e32 v8, 7, v10
	v_bfe_u32 v78, v10, 3, 4
	v_lshlrev_b32_e32 v79, 24, v10
	v_cmp_gt_i16_sdwa s74, v14, v117 src0_sel:BYTE_0 src1_sel:DWORD
	s_mov_b32 s17, -1
	v_ffbh_u32_e32 v9, v8
	v_cmp_eq_u32_e32 vcc_lo, 0, v78
	v_min_u32_e32 v9, 32, v9
	v_subrev_nc_u32_e32 v77, 28, v9
	v_sub_nc_u32_e32 v9, 29, v9
	v_lshlrev_b32_e32 v77, v77, v10
	v_cndmask_b32_e32 v9, v78, v9, vcc_lo
	v_and_b32_e32 v77, 7, v77
	v_lshl_add_u32 v9, v9, 23, 0x3b800000
	v_cndmask_b32_e32 v8, v8, v77, vcc_lo
	v_and_b32_e32 v77, 0x80000000, v79
	s_and_b32 vcc_lo, exec_lo, s73
	v_lshlrev_b32_e32 v8, 20, v8
	v_or3_b32 v8, v77, v9, v8
                                        ; implicit-def: $vgpr9
	s_cbranch_vccz .LBB4_2071
; %bb.2058:                             ;   in Loop: Header=BB4_1769 Depth=4
	s_mov_b32 s17, 0
	s_and_saveexec_b32 s75, s74
	s_xor_b32 s74, exec_lo, s75
	s_cbranch_execz .LBB4_2407
; %bb.2059:                             ;   in Loop: Header=BB4_1769 Depth=4
	v_cmp_eq_u16_sdwa s76, v14, v118 src0_sel:BYTE_0 src1_sel:DWORD
	s_mov_b32 s17, -1
	s_and_saveexec_b32 s75, s76
; %bb.2060:                             ;   in Loop: Header=BB4_1769 Depth=4
	s_xor_b32 s17, exec_lo, -1
; %bb.2061:                             ;   in Loop: Header=BB4_1769 Depth=4
	s_or_b32 exec_lo, exec_lo, s75
	s_and_b32 s17, s17, exec_lo
	s_or_saveexec_b32 s74, s74
	v_mov_b32_e32 v9, 0x7f800001
	s_xor_b32 exec_lo, exec_lo, s74
	s_cbranch_execnz .LBB4_2408
.LBB4_2062:                             ;   in Loop: Header=BB4_1769 Depth=4
	s_or_b32 exec_lo, exec_lo, s74
	s_and_saveexec_b32 s74, s17
	s_cbranch_execz .LBB4_2064
.LBB4_2063:                             ;   in Loop: Header=BB4_1769 Depth=4
	v_and_b32_e32 v9, 7, v14
	v_bfe_u32 v79, v14, 3, 4
	v_lshlrev_b32_e32 v88, 24, v14
	v_ffbh_u32_e32 v77, v9
	v_cmp_eq_u32_e32 vcc_lo, 0, v79
	v_min_u32_e32 v77, 32, v77
	v_subrev_nc_u32_e32 v78, 28, v77
	v_sub_nc_u32_e32 v77, 29, v77
	v_lshlrev_b32_e32 v78, v78, v14
	v_cndmask_b32_e32 v77, v79, v77, vcc_lo
	v_and_b32_e32 v78, 7, v78
	v_lshl_add_u32 v77, v77, 23, 0x3b800000
	v_cndmask_b32_e32 v9, v9, v78, vcc_lo
	v_and_b32_e32 v78, 0x80000000, v88
	v_lshlrev_b32_e32 v9, 20, v9
	v_or3_b32 v9, v78, v77, v9
.LBB4_2064:                             ;   in Loop: Header=BB4_1769 Depth=4
	s_or_b32 exec_lo, exec_lo, s74
	v_cmp_gt_i16_sdwa s74, v10, v117 src0_sel:BYTE_0 src1_sel:DWORD
	s_mov_b32 s17, 0
	s_and_saveexec_b32 s75, s74
	s_xor_b32 s74, exec_lo, s75
	s_cbranch_execz .LBB4_2409
; %bb.2065:                             ;   in Loop: Header=BB4_1769 Depth=4
	v_cmp_eq_u16_sdwa s76, v10, v118 src0_sel:BYTE_0 src1_sel:DWORD
	s_mov_b32 s17, -1
	s_and_saveexec_b32 s75, s76
; %bb.2066:                             ;   in Loop: Header=BB4_1769 Depth=4
	s_xor_b32 s17, exec_lo, -1
; %bb.2067:                             ;   in Loop: Header=BB4_1769 Depth=4
	s_or_b32 exec_lo, exec_lo, s75
	s_and_b32 s17, s17, exec_lo
	s_or_saveexec_b32 s74, s74
	v_mov_b32_e32 v77, 0x7f800001
	s_xor_b32 exec_lo, exec_lo, s74
	s_cbranch_execnz .LBB4_2410
.LBB4_2068:                             ;   in Loop: Header=BB4_1769 Depth=4
	s_or_b32 exec_lo, exec_lo, s74
	s_and_saveexec_b32 s74, s17
.LBB4_2069:                             ;   in Loop: Header=BB4_1769 Depth=4
	v_mov_b32_e32 v77, v8
.LBB4_2070:                             ;   in Loop: Header=BB4_1769 Depth=4
	s_or_b32 exec_lo, exec_lo, s74
	v_max_f32_e32 v77, v77, v77
	v_max_f32_e32 v9, v9, v9
	s_mov_b32 s17, 0
	v_max_f32_e32 v9, v9, v77
.LBB4_2071:                             ;   in Loop: Header=BB4_1769 Depth=4
	s_and_b32 vcc_lo, exec_lo, s17
	s_cbranch_vccz .LBB4_2085
; %bb.2072:                             ;   in Loop: Header=BB4_1769 Depth=4
	v_cmp_gt_i16_sdwa s74, v14, v117 src0_sel:BYTE_0 src1_sel:DWORD
	s_mov_b32 s17, 0
	s_and_saveexec_b32 s75, s74
	s_xor_b32 s74, exec_lo, s75
	s_cbranch_execz .LBB4_2411
; %bb.2073:                             ;   in Loop: Header=BB4_1769 Depth=4
	v_cmp_eq_u16_sdwa s76, v14, v118 src0_sel:BYTE_0 src1_sel:DWORD
	s_mov_b32 s17, -1
	s_and_saveexec_b32 s75, s76
; %bb.2074:                             ;   in Loop: Header=BB4_1769 Depth=4
	s_xor_b32 s17, exec_lo, -1
; %bb.2075:                             ;   in Loop: Header=BB4_1769 Depth=4
	s_or_b32 exec_lo, exec_lo, s75
	s_and_b32 s17, s17, exec_lo
	s_or_saveexec_b32 s74, s74
	v_mov_b32_e32 v9, 0x7f800001
	s_xor_b32 exec_lo, exec_lo, s74
	s_cbranch_execnz .LBB4_2412
.LBB4_2076:                             ;   in Loop: Header=BB4_1769 Depth=4
	s_or_b32 exec_lo, exec_lo, s74
	s_and_saveexec_b32 s74, s17
	s_cbranch_execz .LBB4_2078
.LBB4_2077:                             ;   in Loop: Header=BB4_1769 Depth=4
	v_and_b32_e32 v9, 7, v14
	v_bfe_u32 v79, v14, 3, 4
	v_lshlrev_b32_e32 v88, 24, v14
	v_ffbh_u32_e32 v77, v9
	v_cmp_eq_u32_e32 vcc_lo, 0, v79
	v_min_u32_e32 v77, 32, v77
	v_subrev_nc_u32_e32 v78, 28, v77
	v_sub_nc_u32_e32 v77, 29, v77
	v_lshlrev_b32_e32 v78, v78, v14
	v_cndmask_b32_e32 v77, v79, v77, vcc_lo
	v_and_b32_e32 v78, 7, v78
	v_lshl_add_u32 v77, v77, 23, 0x3b800000
	v_cndmask_b32_e32 v9, v9, v78, vcc_lo
	v_and_b32_e32 v78, 0x80000000, v88
	v_lshlrev_b32_e32 v9, 20, v9
	v_or3_b32 v9, v78, v77, v9
.LBB4_2078:                             ;   in Loop: Header=BB4_1769 Depth=4
	s_or_b32 exec_lo, exec_lo, s74
	v_cmp_gt_i16_sdwa s74, v10, v117 src0_sel:BYTE_0 src1_sel:DWORD
	s_mov_b32 s17, 0
	s_and_saveexec_b32 s75, s74
	s_xor_b32 s74, exec_lo, s75
	s_cbranch_execz .LBB4_2413
; %bb.2079:                             ;   in Loop: Header=BB4_1769 Depth=4
	v_cmp_eq_u16_sdwa s76, v10, v118 src0_sel:BYTE_0 src1_sel:DWORD
	s_mov_b32 s17, -1
	s_and_saveexec_b32 s75, s76
; %bb.2080:                             ;   in Loop: Header=BB4_1769 Depth=4
	s_xor_b32 s17, exec_lo, -1
; %bb.2081:                             ;   in Loop: Header=BB4_1769 Depth=4
	s_or_b32 exec_lo, exec_lo, s75
	s_and_b32 s17, s17, exec_lo
	s_or_saveexec_b32 s74, s74
	v_mov_b32_e32 v77, 0x7f800001
	s_xor_b32 exec_lo, exec_lo, s74
	s_cbranch_execnz .LBB4_2414
.LBB4_2082:                             ;   in Loop: Header=BB4_1769 Depth=4
	s_or_b32 exec_lo, exec_lo, s74
	s_and_saveexec_b32 s74, s17
.LBB4_2083:                             ;   in Loop: Header=BB4_1769 Depth=4
	v_mov_b32_e32 v77, v8
.LBB4_2084:                             ;   in Loop: Header=BB4_1769 Depth=4
	s_or_b32 exec_lo, exec_lo, s74
	v_max_f32_e32 v8, v77, v77
	v_max_f32_e32 v9, v9, v9
	v_min_f32_e32 v9, v9, v8
.LBB4_2085:                             ;   in Loop: Header=BB4_1769 Depth=4
	v_and_b32_e32 v8, 0x7f800000, v9
	v_mov_b32_e32 v77, 0x80
	s_mov_b32 s74, exec_lo
	v_cmpx_ne_u32_e32 0x7f800000, v8
	s_cbranch_execz .LBB4_2093
; %bb.2086:                             ;   in Loop: Header=BB4_1769 Depth=4
	v_mov_b32_e32 v77, 0
	s_mov_b32 s75, exec_lo
	v_cmpx_ne_u32_e32 0, v9
	s_cbranch_execz .LBB4_2092
; %bb.2087:                             ;   in Loop: Header=BB4_1769 Depth=4
	v_bfe_u32 v8, v9, 23, 8
	v_and_b32_e32 v77, 0x7fffff, v9
	v_sub_nc_u32_e32 v78, 0x78, v8
	v_cmp_gt_u32_e32 vcc_lo, 0x79, v8
	v_or_b32_e32 v79, 0x800000, v77
	v_cndmask_b32_e32 v78, 0, v78, vcc_lo
	v_cmp_eq_u32_e32 vcc_lo, 0, v8
	v_add_nc_u32_e32 v8, 0xffffff89, v8
	v_cndmask_b32_e64 v78, v78, 0x77, vcc_lo
	v_cndmask_b32_e32 v77, v79, v77, vcc_lo
	v_cndmask_b32_e64 v8, v8, 0xffffff8a, vcc_lo
	v_lshl_add_u32 v79, 0x100000, v78, -1
	v_lshrrev_b32_e32 v88, v78, v77
	v_lshlrev_b32_e64 v90, v78, 0x80000
	v_add_nc_u32_e32 v78, v78, v8
	v_and_b32_e32 v77, v79, v77
	v_bfe_u32 v89, v88, 20, 1
	v_cmp_eq_u32_e64 s17, v77, v90
	v_add_nc_u32_e32 v79, -1, v89
	v_cndmask_b32_e64 v77, 0, v79, s17
	v_lshrrev_b32_e32 v79, 23, v88
	s_mov_b32 s17, exec_lo
	v_add_nc_u32_e32 v77, v77, v88
	v_xor_b32_e32 v79, 1, v79
	v_and_b32_e32 v8, 0xfffff, v77
	v_add_nc_u32_e32 v77, v8, v88
                                        ; implicit-def: $vgpr8
	v_cmpx_ne_u32_e64 v78, v79
	s_xor_b32 s17, exec_lo, s17
; %bb.2088:                             ;   in Loop: Header=BB4_1769 Depth=4
	v_cmp_lt_u32_e32 vcc_lo, 0xffffff, v77
	v_sub_nc_u32_e32 v8, v78, v79
	v_cndmask_b32_e64 v78, 0, 1, vcc_lo
	v_add_co_ci_u32_e64 v8, null, 0, v8, vcc_lo
	v_lshrrev_b32_e32 v77, v78, v77
; %bb.2089:                             ;   in Loop: Header=BB4_1769 Depth=4
	s_andn2_saveexec_b32 s17, s17
; %bb.2090:                             ;   in Loop: Header=BB4_1769 Depth=4
	v_bfe_u32 v8, v77, 23, 1
; %bb.2091:                             ;   in Loop: Header=BB4_1769 Depth=4
	s_or_b32 exec_lo, exec_lo, s17
	v_lshrrev_b32_e32 v77, 20, v77
	v_min_i32_e32 v78, 15, v8
	v_cmp_gt_i32_e32 vcc_lo, 16, v8
	v_and_b32_sdwa v9, v9, v118 dst_sel:DWORD dst_unused:UNUSED_PAD src0_sel:BYTE_3 src1_sel:DWORD
	v_lshlrev_b32_e32 v78, 3, v78
	v_cndmask_b32_e32 v77, 7, v77, vcc_lo
	v_and_b32_e32 v78, 0xf8, v78
	v_and_b32_e32 v79, 7, v77
	v_or_b32_e32 v8, v8, v77
	v_or3_b32 v9, v78, v9, v79
	v_cmp_ne_u32_e32 vcc_lo, 0, v8
	v_cndmask_b32_e32 v77, 0, v9, vcc_lo
.LBB4_2092:                             ;   in Loop: Header=BB4_1769 Depth=4
	s_or_b32 exec_lo, exec_lo, s75
.LBB4_2093:                             ;   in Loop: Header=BB4_1769 Depth=4
	s_or_b32 exec_lo, exec_lo, s74
	v_and_b32_sdwa v8, v119, v10 dst_sel:DWORD dst_unused:UNUSED_PAD src0_sel:DWORD src1_sel:BYTE_1
	v_cmp_gt_i16_sdwa s74, v14, v117 src0_sel:BYTE_1 src1_sel:DWORD
	s_mov_b32 s17, -1
	v_and_b32_e32 v9, 7, v8
	v_bfe_u32 v88, v8, 3, 4
	v_ffbh_u32_e32 v78, v9
	v_cmp_eq_u32_e32 vcc_lo, 0, v88
	v_min_u32_e32 v78, 32, v78
	v_subrev_nc_u32_e32 v79, 28, v78
	v_sub_nc_u32_e32 v78, 29, v78
	v_lshlrev_b32_e32 v8, v79, v8
	v_lshlrev_b32_sdwa v79, v41, v10 dst_sel:DWORD dst_unused:UNUSED_PAD src0_sel:DWORD src1_sel:BYTE_1
	v_cndmask_b32_e32 v78, v88, v78, vcc_lo
	v_and_b32_e32 v8, 7, v8
	v_lshl_add_u32 v78, v78, 23, 0x3b800000
	v_cndmask_b32_e32 v8, v9, v8, vcc_lo
	v_and_b32_e32 v9, 0x80000000, v79
	s_and_b32 vcc_lo, exec_lo, s73
	v_lshlrev_b32_e32 v8, 20, v8
	v_or3_b32 v8, v9, v78, v8
                                        ; implicit-def: $vgpr9
	s_cbranch_vccz .LBB4_2107
; %bb.2094:                             ;   in Loop: Header=BB4_1769 Depth=4
	s_mov_b32 s17, 0
	s_and_saveexec_b32 s75, s74
	s_xor_b32 s74, exec_lo, s75
	s_cbranch_execz .LBB4_2415
; %bb.2095:                             ;   in Loop: Header=BB4_1769 Depth=4
	v_cmp_eq_u16_sdwa s76, v14, v118 src0_sel:BYTE_1 src1_sel:DWORD
	s_mov_b32 s17, -1
	s_and_saveexec_b32 s75, s76
; %bb.2096:                             ;   in Loop: Header=BB4_1769 Depth=4
	s_xor_b32 s17, exec_lo, -1
; %bb.2097:                             ;   in Loop: Header=BB4_1769 Depth=4
	s_or_b32 exec_lo, exec_lo, s75
	s_and_b32 s17, s17, exec_lo
	s_or_saveexec_b32 s74, s74
	v_mov_b32_e32 v9, 0x7f800001
	s_xor_b32 exec_lo, exec_lo, s74
	s_cbranch_execnz .LBB4_2416
.LBB4_2098:                             ;   in Loop: Header=BB4_1769 Depth=4
	s_or_b32 exec_lo, exec_lo, s74
	s_and_saveexec_b32 s74, s17
	s_cbranch_execz .LBB4_2100
.LBB4_2099:                             ;   in Loop: Header=BB4_1769 Depth=4
	v_and_b32_sdwa v9, v119, v14 dst_sel:DWORD dst_unused:UNUSED_PAD src0_sel:DWORD src1_sel:BYTE_1
	v_and_b32_e32 v78, 7, v9
	v_bfe_u32 v89, v9, 3, 4
	v_ffbh_u32_e32 v79, v78
	v_cmp_eq_u32_e32 vcc_lo, 0, v89
	v_min_u32_e32 v79, 32, v79
	v_subrev_nc_u32_e32 v88, 28, v79
	v_sub_nc_u32_e32 v79, 29, v79
	v_lshlrev_b32_e32 v9, v88, v9
	v_lshlrev_b32_e32 v88, 16, v14
	v_cndmask_b32_e32 v79, v89, v79, vcc_lo
	v_and_b32_e32 v9, 7, v9
	v_lshl_add_u32 v79, v79, 23, 0x3b800000
	v_cndmask_b32_e32 v9, v78, v9, vcc_lo
	v_and_b32_e32 v78, 0x80000000, v88
	v_lshlrev_b32_e32 v9, 20, v9
	v_or3_b32 v9, v78, v79, v9
.LBB4_2100:                             ;   in Loop: Header=BB4_1769 Depth=4
	s_or_b32 exec_lo, exec_lo, s74
	v_cmp_gt_i16_sdwa s74, v10, v117 src0_sel:BYTE_1 src1_sel:DWORD
	s_mov_b32 s17, 0
	s_and_saveexec_b32 s75, s74
	s_xor_b32 s74, exec_lo, s75
	s_cbranch_execz .LBB4_2417
; %bb.2101:                             ;   in Loop: Header=BB4_1769 Depth=4
	v_cmp_eq_u16_sdwa s76, v10, v118 src0_sel:BYTE_1 src1_sel:DWORD
	s_mov_b32 s17, -1
	s_and_saveexec_b32 s75, s76
; %bb.2102:                             ;   in Loop: Header=BB4_1769 Depth=4
	s_xor_b32 s17, exec_lo, -1
; %bb.2103:                             ;   in Loop: Header=BB4_1769 Depth=4
	s_or_b32 exec_lo, exec_lo, s75
	s_and_b32 s17, s17, exec_lo
	s_or_saveexec_b32 s74, s74
	v_mov_b32_e32 v78, 0x7f800001
	s_xor_b32 exec_lo, exec_lo, s74
	s_cbranch_execnz .LBB4_2418
.LBB4_2104:                             ;   in Loop: Header=BB4_1769 Depth=4
	s_or_b32 exec_lo, exec_lo, s74
	s_and_saveexec_b32 s74, s17
.LBB4_2105:                             ;   in Loop: Header=BB4_1769 Depth=4
	v_mov_b32_e32 v78, v8
.LBB4_2106:                             ;   in Loop: Header=BB4_1769 Depth=4
	s_or_b32 exec_lo, exec_lo, s74
	v_max_f32_e32 v78, v78, v78
	v_max_f32_e32 v9, v9, v9
	s_mov_b32 s17, 0
	v_max_f32_e32 v9, v9, v78
.LBB4_2107:                             ;   in Loop: Header=BB4_1769 Depth=4
	s_and_b32 vcc_lo, exec_lo, s17
	s_cbranch_vccz .LBB4_2121
; %bb.2108:                             ;   in Loop: Header=BB4_1769 Depth=4
	v_cmp_gt_i16_sdwa s74, v14, v117 src0_sel:BYTE_1 src1_sel:DWORD
	s_mov_b32 s17, 0
	s_and_saveexec_b32 s75, s74
	s_xor_b32 s74, exec_lo, s75
	s_cbranch_execz .LBB4_2419
; %bb.2109:                             ;   in Loop: Header=BB4_1769 Depth=4
	v_cmp_eq_u16_sdwa s76, v14, v118 src0_sel:BYTE_1 src1_sel:DWORD
	s_mov_b32 s17, -1
	s_and_saveexec_b32 s75, s76
; %bb.2110:                             ;   in Loop: Header=BB4_1769 Depth=4
	s_xor_b32 s17, exec_lo, -1
; %bb.2111:                             ;   in Loop: Header=BB4_1769 Depth=4
	s_or_b32 exec_lo, exec_lo, s75
	s_and_b32 s17, s17, exec_lo
	s_or_saveexec_b32 s74, s74
	v_mov_b32_e32 v9, 0x7f800001
	s_xor_b32 exec_lo, exec_lo, s74
	s_cbranch_execnz .LBB4_2420
.LBB4_2112:                             ;   in Loop: Header=BB4_1769 Depth=4
	s_or_b32 exec_lo, exec_lo, s74
	s_and_saveexec_b32 s74, s17
	s_cbranch_execz .LBB4_2114
.LBB4_2113:                             ;   in Loop: Header=BB4_1769 Depth=4
	v_and_b32_sdwa v9, v119, v14 dst_sel:DWORD dst_unused:UNUSED_PAD src0_sel:DWORD src1_sel:BYTE_1
	v_and_b32_e32 v78, 7, v9
	v_bfe_u32 v89, v9, 3, 4
	v_ffbh_u32_e32 v79, v78
	v_cmp_eq_u32_e32 vcc_lo, 0, v89
	v_min_u32_e32 v79, 32, v79
	v_subrev_nc_u32_e32 v88, 28, v79
	v_sub_nc_u32_e32 v79, 29, v79
	v_lshlrev_b32_e32 v9, v88, v9
	v_lshlrev_b32_e32 v88, 16, v14
	v_cndmask_b32_e32 v79, v89, v79, vcc_lo
	v_and_b32_e32 v9, 7, v9
	v_lshl_add_u32 v79, v79, 23, 0x3b800000
	v_cndmask_b32_e32 v9, v78, v9, vcc_lo
	v_and_b32_e32 v78, 0x80000000, v88
	v_lshlrev_b32_e32 v9, 20, v9
	v_or3_b32 v9, v78, v79, v9
.LBB4_2114:                             ;   in Loop: Header=BB4_1769 Depth=4
	s_or_b32 exec_lo, exec_lo, s74
	v_cmp_gt_i16_sdwa s74, v10, v117 src0_sel:BYTE_1 src1_sel:DWORD
	s_mov_b32 s17, 0
	s_and_saveexec_b32 s75, s74
	s_xor_b32 s74, exec_lo, s75
	s_cbranch_execz .LBB4_2421
; %bb.2115:                             ;   in Loop: Header=BB4_1769 Depth=4
	v_cmp_eq_u16_sdwa s76, v10, v118 src0_sel:BYTE_1 src1_sel:DWORD
	s_mov_b32 s17, -1
	s_and_saveexec_b32 s75, s76
; %bb.2116:                             ;   in Loop: Header=BB4_1769 Depth=4
	s_xor_b32 s17, exec_lo, -1
; %bb.2117:                             ;   in Loop: Header=BB4_1769 Depth=4
	s_or_b32 exec_lo, exec_lo, s75
	s_and_b32 s17, s17, exec_lo
	s_or_saveexec_b32 s74, s74
	v_mov_b32_e32 v78, 0x7f800001
	s_xor_b32 exec_lo, exec_lo, s74
	s_cbranch_execnz .LBB4_2422
.LBB4_2118:                             ;   in Loop: Header=BB4_1769 Depth=4
	s_or_b32 exec_lo, exec_lo, s74
	s_and_saveexec_b32 s74, s17
.LBB4_2119:                             ;   in Loop: Header=BB4_1769 Depth=4
	v_mov_b32_e32 v78, v8
.LBB4_2120:                             ;   in Loop: Header=BB4_1769 Depth=4
	s_or_b32 exec_lo, exec_lo, s74
	v_max_f32_e32 v8, v78, v78
	v_max_f32_e32 v9, v9, v9
	v_min_f32_e32 v9, v9, v8
.LBB4_2121:                             ;   in Loop: Header=BB4_1769 Depth=4
	v_and_b32_e32 v8, 0x7f800000, v9
	v_mov_b32_e32 v78, 0x8000
	s_mov_b32 s74, exec_lo
	v_cmpx_ne_u32_e32 0x7f800000, v8
	s_cbranch_execz .LBB4_2129
; %bb.2122:                             ;   in Loop: Header=BB4_1769 Depth=4
	v_mov_b32_e32 v78, 0
	s_mov_b32 s75, exec_lo
	v_cmpx_ne_u32_e32 0, v9
	s_cbranch_execz .LBB4_2128
; %bb.2123:                             ;   in Loop: Header=BB4_1769 Depth=4
	v_bfe_u32 v8, v9, 23, 8
	v_and_b32_e32 v78, 0x7fffff, v9
	v_sub_nc_u32_e32 v79, 0x78, v8
	v_cmp_gt_u32_e32 vcc_lo, 0x79, v8
	v_or_b32_e32 v88, 0x800000, v78
	v_cndmask_b32_e32 v79, 0, v79, vcc_lo
	v_cmp_eq_u32_e32 vcc_lo, 0, v8
	v_add_nc_u32_e32 v8, 0xffffff89, v8
	v_cndmask_b32_e64 v79, v79, 0x77, vcc_lo
	v_cndmask_b32_e32 v78, v88, v78, vcc_lo
	v_cndmask_b32_e64 v8, v8, 0xffffff8a, vcc_lo
	v_lshl_add_u32 v88, 0x100000, v79, -1
	v_lshrrev_b32_e32 v89, v79, v78
	v_lshlrev_b32_e64 v91, v79, 0x80000
	v_add_nc_u32_e32 v79, v79, v8
	v_and_b32_e32 v78, v88, v78
	v_bfe_u32 v90, v89, 20, 1
	v_cmp_eq_u32_e64 s17, v78, v91
	v_add_nc_u32_e32 v88, -1, v90
	v_cndmask_b32_e64 v78, 0, v88, s17
	v_lshrrev_b32_e32 v88, 23, v89
	s_mov_b32 s17, exec_lo
	v_add_nc_u32_e32 v78, v78, v89
	v_xor_b32_e32 v88, 1, v88
	v_and_b32_e32 v8, 0xfffff, v78
	v_add_nc_u32_e32 v78, v8, v89
                                        ; implicit-def: $vgpr8
	v_cmpx_ne_u32_e64 v79, v88
	s_xor_b32 s17, exec_lo, s17
; %bb.2124:                             ;   in Loop: Header=BB4_1769 Depth=4
	v_cmp_lt_u32_e32 vcc_lo, 0xffffff, v78
	v_sub_nc_u32_e32 v8, v79, v88
	v_cndmask_b32_e64 v79, 0, 1, vcc_lo
	v_add_co_ci_u32_e64 v8, null, 0, v8, vcc_lo
	v_lshrrev_b32_e32 v78, v79, v78
; %bb.2125:                             ;   in Loop: Header=BB4_1769 Depth=4
	s_andn2_saveexec_b32 s17, s17
; %bb.2126:                             ;   in Loop: Header=BB4_1769 Depth=4
	v_bfe_u32 v8, v78, 23, 1
; %bb.2127:                             ;   in Loop: Header=BB4_1769 Depth=4
	s_or_b32 exec_lo, exec_lo, s17
	v_lshrrev_b32_e32 v78, 20, v78
	v_min_i32_e32 v79, 15, v8
	v_cmp_gt_i32_e32 vcc_lo, 16, v8
	v_and_b32_sdwa v9, v9, v118 dst_sel:DWORD dst_unused:UNUSED_PAD src0_sel:BYTE_3 src1_sel:DWORD
	v_lshlrev_b32_e32 v79, 3, v79
	v_cndmask_b32_e32 v78, 7, v78, vcc_lo
	v_and_b32_e32 v79, 0xf8, v79
	v_and_b32_e32 v88, 7, v78
	v_or_b32_e32 v8, v8, v78
	v_or3_b32 v9, v9, v79, v88
	v_cmp_ne_u32_e32 vcc_lo, 0, v8
	v_lshlrev_b32_e32 v9, 8, v9
	v_cndmask_b32_e32 v78, 0, v9, vcc_lo
.LBB4_2128:                             ;   in Loop: Header=BB4_1769 Depth=4
	s_or_b32 exec_lo, exec_lo, s75
.LBB4_2129:                             ;   in Loop: Header=BB4_1769 Depth=4
	s_or_b32 exec_lo, exec_lo, s74
	v_bfe_u32 v8, v10, 16, 3
	v_bfe_u32 v88, v10, 19, 4
	v_lshlrev_b32_e32 v89, 8, v10
	s_mov_b32 s74, -1
	v_ffbh_u32_e32 v9, v8
	v_cmp_eq_u32_e32 vcc_lo, 0, v88
	v_min_u32_e32 v9, 32, v9
	v_subrev_nc_u32_e32 v79, 28, v9
	v_sub_nc_u32_e32 v9, 29, v9
	v_lshlrev_b32_sdwa v79, v79, v10 dst_sel:DWORD dst_unused:UNUSED_PAD src0_sel:DWORD src1_sel:WORD_1
	v_cndmask_b32_e32 v9, v88, v9, vcc_lo
	v_and_b32_e32 v79, 7, v79
	v_lshl_add_u32 v88, v9, 23, 0x3b800000
	v_and_b32_sdwa v9, v14, v40 dst_sel:DWORD dst_unused:UNUSED_PAD src0_sel:WORD_1 src1_sel:DWORD
	v_cndmask_b32_e32 v8, v8, v79, vcc_lo
	v_and_b32_e32 v79, 0x80000000, v89
	v_cmp_lt_i16_e64 s17, 0x7f, v9
	s_and_b32 vcc_lo, exec_lo, s73
	v_lshlrev_b32_e32 v8, 20, v8
	v_or3_b32 v8, v79, v88, v8
                                        ; implicit-def: $vgpr88
	s_cbranch_vccz .LBB4_2143
; %bb.2130:                             ;   in Loop: Header=BB4_1769 Depth=4
	s_mov_b32 s74, 0
	s_and_saveexec_b32 s75, s17
	s_xor_b32 s17, exec_lo, s75
	s_cbranch_execz .LBB4_2423
; %bb.2131:                             ;   in Loop: Header=BB4_1769 Depth=4
	s_mov_b32 s74, -1
	s_mov_b32 s75, exec_lo
	v_cmpx_eq_u16_e32 0x80, v9
; %bb.2132:                             ;   in Loop: Header=BB4_1769 Depth=4
	s_xor_b32 s74, exec_lo, -1
; %bb.2133:                             ;   in Loop: Header=BB4_1769 Depth=4
	s_or_b32 exec_lo, exec_lo, s75
	s_and_b32 s74, s74, exec_lo
	s_or_saveexec_b32 s17, s17
	v_mov_b32_e32 v79, 0x7f800001
	s_xor_b32 exec_lo, exec_lo, s17
	s_cbranch_execnz .LBB4_2424
.LBB4_2134:                             ;   in Loop: Header=BB4_1769 Depth=4
	s_or_b32 exec_lo, exec_lo, s17
	s_and_saveexec_b32 s17, s74
	s_cbranch_execz .LBB4_2136
.LBB4_2135:                             ;   in Loop: Header=BB4_1769 Depth=4
	v_bfe_u32 v79, v14, 16, 3
	v_bfe_u32 v90, v14, 19, 4
	v_lshlrev_b32_sdwa v91, v41, v14 dst_sel:DWORD dst_unused:UNUSED_PAD src0_sel:DWORD src1_sel:WORD_1
	v_ffbh_u32_e32 v88, v79
	v_cmp_eq_u32_e32 vcc_lo, 0, v90
	v_min_u32_e32 v88, 32, v88
	v_subrev_nc_u32_e32 v89, 28, v88
	v_sub_nc_u32_e32 v88, 29, v88
	v_lshlrev_b32_sdwa v89, v89, v14 dst_sel:DWORD dst_unused:UNUSED_PAD src0_sel:DWORD src1_sel:WORD_1
	v_cndmask_b32_e32 v88, v90, v88, vcc_lo
	v_and_b32_e32 v89, 7, v89
	v_lshl_add_u32 v88, v88, 23, 0x3b800000
	v_cndmask_b32_e32 v79, v79, v89, vcc_lo
	v_and_b32_e32 v89, 0x80000000, v91
	v_lshlrev_b32_e32 v79, 20, v79
	v_or3_b32 v79, v89, v88, v79
.LBB4_2136:                             ;   in Loop: Header=BB4_1769 Depth=4
	s_or_b32 exec_lo, exec_lo, s17
	v_and_b32_sdwa v89, v10, v40 dst_sel:DWORD dst_unused:UNUSED_PAD src0_sel:WORD_1 src1_sel:DWORD
	s_mov_b32 s17, 0
	s_mov_b32 s74, exec_lo
	v_cmpx_lt_i16_e32 0x7f, v89
	s_xor_b32 s74, exec_lo, s74
	s_cbranch_execz .LBB4_2425
; %bb.2137:                             ;   in Loop: Header=BB4_1769 Depth=4
	s_mov_b32 s17, -1
	s_mov_b32 s75, exec_lo
	v_cmpx_eq_u16_e32 0x80, v89
; %bb.2138:                             ;   in Loop: Header=BB4_1769 Depth=4
	s_xor_b32 s17, exec_lo, -1
; %bb.2139:                             ;   in Loop: Header=BB4_1769 Depth=4
	s_or_b32 exec_lo, exec_lo, s75
	s_and_b32 s17, s17, exec_lo
                                        ; implicit-def: $vgpr89
	s_or_saveexec_b32 s74, s74
	v_mov_b32_e32 v88, 0x7f800001
	s_xor_b32 exec_lo, exec_lo, s74
	s_cbranch_execnz .LBB4_2426
.LBB4_2140:                             ;   in Loop: Header=BB4_1769 Depth=4
	s_or_b32 exec_lo, exec_lo, s74
	s_and_saveexec_b32 s74, s17
.LBB4_2141:                             ;   in Loop: Header=BB4_1769 Depth=4
	v_mov_b32_e32 v88, v8
.LBB4_2142:                             ;   in Loop: Header=BB4_1769 Depth=4
	s_or_b32 exec_lo, exec_lo, s74
	v_max_f32_e32 v88, v88, v88
	v_max_f32_e32 v79, v79, v79
	s_mov_b32 s74, 0
	v_max_f32_e32 v88, v79, v88
.LBB4_2143:                             ;   in Loop: Header=BB4_1769 Depth=4
	s_and_b32 vcc_lo, exec_lo, s74
	s_cbranch_vccz .LBB4_2157
; %bb.2144:                             ;   in Loop: Header=BB4_1769 Depth=4
	s_mov_b32 s17, 0
	s_mov_b32 s74, exec_lo
	v_cmpx_lt_i16_e32 0x7f, v9
	s_xor_b32 s74, exec_lo, s74
	s_cbranch_execz .LBB4_2427
; %bb.2145:                             ;   in Loop: Header=BB4_1769 Depth=4
	s_mov_b32 s17, -1
	s_mov_b32 s75, exec_lo
	v_cmpx_eq_u16_e32 0x80, v9
; %bb.2146:                             ;   in Loop: Header=BB4_1769 Depth=4
	s_xor_b32 s17, exec_lo, -1
; %bb.2147:                             ;   in Loop: Header=BB4_1769 Depth=4
	s_or_b32 exec_lo, exec_lo, s75
	s_and_b32 s17, s17, exec_lo
                                        ; implicit-def: $vgpr9
	s_or_saveexec_b32 s74, s74
	v_mov_b32_e32 v79, 0x7f800001
	s_xor_b32 exec_lo, exec_lo, s74
	s_cbranch_execnz .LBB4_2428
.LBB4_2148:                             ;   in Loop: Header=BB4_1769 Depth=4
	s_or_b32 exec_lo, exec_lo, s74
	s_and_saveexec_b32 s74, s17
	s_cbranch_execz .LBB4_2150
.LBB4_2149:                             ;   in Loop: Header=BB4_1769 Depth=4
	v_bfe_u32 v9, v14, 16, 3
	v_bfe_u32 v89, v14, 19, 4
	v_lshlrev_b32_sdwa v90, v41, v14 dst_sel:DWORD dst_unused:UNUSED_PAD src0_sel:DWORD src1_sel:WORD_1
	v_ffbh_u32_e32 v79, v9
	v_cmp_eq_u32_e32 vcc_lo, 0, v89
	v_min_u32_e32 v79, 32, v79
	v_subrev_nc_u32_e32 v88, 28, v79
	v_sub_nc_u32_e32 v79, 29, v79
	v_lshlrev_b32_sdwa v88, v88, v14 dst_sel:DWORD dst_unused:UNUSED_PAD src0_sel:DWORD src1_sel:WORD_1
	v_cndmask_b32_e32 v79, v89, v79, vcc_lo
	v_and_b32_e32 v88, 7, v88
	v_lshl_add_u32 v79, v79, 23, 0x3b800000
	v_cndmask_b32_e32 v9, v9, v88, vcc_lo
	v_and_b32_e32 v88, 0x80000000, v90
	v_lshlrev_b32_e32 v9, 20, v9
	v_or3_b32 v79, v88, v79, v9
.LBB4_2150:                             ;   in Loop: Header=BB4_1769 Depth=4
	s_or_b32 exec_lo, exec_lo, s74
	v_and_b32_sdwa v88, v10, v40 dst_sel:DWORD dst_unused:UNUSED_PAD src0_sel:WORD_1 src1_sel:DWORD
	s_mov_b32 s17, 0
	s_mov_b32 s74, exec_lo
	v_cmpx_lt_i16_e32 0x7f, v88
	s_xor_b32 s74, exec_lo, s74
	s_cbranch_execz .LBB4_2429
; %bb.2151:                             ;   in Loop: Header=BB4_1769 Depth=4
	s_mov_b32 s17, -1
	s_mov_b32 s75, exec_lo
	v_cmpx_eq_u16_e32 0x80, v88
; %bb.2152:                             ;   in Loop: Header=BB4_1769 Depth=4
	s_xor_b32 s17, exec_lo, -1
; %bb.2153:                             ;   in Loop: Header=BB4_1769 Depth=4
	s_or_b32 exec_lo, exec_lo, s75
	s_and_b32 s17, s17, exec_lo
                                        ; implicit-def: $vgpr88
	s_or_saveexec_b32 s74, s74
	v_mov_b32_e32 v9, 0x7f800001
	s_xor_b32 exec_lo, exec_lo, s74
	s_cbranch_execnz .LBB4_2430
.LBB4_2154:                             ;   in Loop: Header=BB4_1769 Depth=4
	s_or_b32 exec_lo, exec_lo, s74
	s_and_saveexec_b32 s74, s17
.LBB4_2155:                             ;   in Loop: Header=BB4_1769 Depth=4
	v_mov_b32_e32 v9, v8
.LBB4_2156:                             ;   in Loop: Header=BB4_1769 Depth=4
	s_or_b32 exec_lo, exec_lo, s74
	v_max_f32_e32 v8, v9, v9
	v_max_f32_e32 v9, v79, v79
	v_min_f32_e32 v88, v9, v8
.LBB4_2157:                             ;   in Loop: Header=BB4_1769 Depth=4
	v_and_b32_e32 v8, 0x7f800000, v88
	v_mov_b32_e32 v79, 0x80
	s_mov_b32 s74, exec_lo
	v_cmpx_ne_u32_e32 0x7f800000, v8
	s_cbranch_execz .LBB4_2165
; %bb.2158:                             ;   in Loop: Header=BB4_1769 Depth=4
	v_mov_b32_e32 v79, 0
	s_mov_b32 s75, exec_lo
	v_cmpx_ne_u32_e32 0, v88
	s_cbranch_execz .LBB4_2164
; %bb.2159:                             ;   in Loop: Header=BB4_1769 Depth=4
	v_bfe_u32 v8, v88, 23, 8
	v_and_b32_e32 v9, 0x7fffff, v88
	v_sub_nc_u32_e32 v79, 0x78, v8
	v_cmp_gt_u32_e32 vcc_lo, 0x79, v8
	v_or_b32_e32 v89, 0x800000, v9
	v_cndmask_b32_e32 v79, 0, v79, vcc_lo
	v_cmp_eq_u32_e32 vcc_lo, 0, v8
	v_add_nc_u32_e32 v8, 0xffffff89, v8
	v_cndmask_b32_e64 v79, v79, 0x77, vcc_lo
	v_cndmask_b32_e32 v9, v89, v9, vcc_lo
	v_cndmask_b32_e64 v8, v8, 0xffffff8a, vcc_lo
	v_lshl_add_u32 v89, 0x100000, v79, -1
	v_lshrrev_b32_e32 v90, v79, v9
	v_lshlrev_b32_e64 v92, v79, 0x80000
	v_add_nc_u32_e32 v79, v79, v8
	v_and_b32_e32 v9, v89, v9
	v_bfe_u32 v91, v90, 20, 1
	v_cmp_eq_u32_e64 s17, v9, v92
	v_add_nc_u32_e32 v89, -1, v91
	v_cndmask_b32_e64 v9, 0, v89, s17
	v_lshrrev_b32_e32 v89, 23, v90
	s_mov_b32 s17, exec_lo
	v_add_nc_u32_e32 v9, v9, v90
	v_xor_b32_e32 v89, 1, v89
	v_and_b32_e32 v8, 0xfffff, v9
	v_add_nc_u32_e32 v9, v8, v90
                                        ; implicit-def: $vgpr8
	v_cmpx_ne_u32_e64 v79, v89
	s_xor_b32 s17, exec_lo, s17
; %bb.2160:                             ;   in Loop: Header=BB4_1769 Depth=4
	v_cmp_lt_u32_e32 vcc_lo, 0xffffff, v9
	v_sub_nc_u32_e32 v8, v79, v89
	v_cndmask_b32_e64 v79, 0, 1, vcc_lo
	v_add_co_ci_u32_e64 v8, null, 0, v8, vcc_lo
	v_lshrrev_b32_e32 v9, v79, v9
; %bb.2161:                             ;   in Loop: Header=BB4_1769 Depth=4
	s_andn2_saveexec_b32 s17, s17
; %bb.2162:                             ;   in Loop: Header=BB4_1769 Depth=4
	v_bfe_u32 v8, v9, 23, 1
; %bb.2163:                             ;   in Loop: Header=BB4_1769 Depth=4
	s_or_b32 exec_lo, exec_lo, s17
	v_lshrrev_b32_e32 v9, 20, v9
	v_min_i32_e32 v79, 15, v8
	v_cmp_gt_i32_e32 vcc_lo, 16, v8
	v_and_b32_sdwa v88, v88, v118 dst_sel:DWORD dst_unused:UNUSED_PAD src0_sel:BYTE_3 src1_sel:DWORD
	v_lshlrev_b32_e32 v79, 3, v79
	v_cndmask_b32_e32 v9, 7, v9, vcc_lo
	v_and_b32_e32 v79, 0xf8, v79
	v_and_b32_e32 v89, 7, v9
	v_or_b32_e32 v8, v8, v9
	v_or3_b32 v9, v79, v88, v89
	v_cmp_ne_u32_e32 vcc_lo, 0, v8
	v_cndmask_b32_e32 v79, 0, v9, vcc_lo
.LBB4_2164:                             ;   in Loop: Header=BB4_1769 Depth=4
	s_or_b32 exec_lo, exec_lo, s75
.LBB4_2165:                             ;   in Loop: Header=BB4_1769 Depth=4
	s_or_b32 exec_lo, exec_lo, s74
	v_bfe_u32 v8, v10, 24, 3
	v_bfe_u32 v89, v10, 27, 4
	v_cmp_gt_i16_sdwa s74, v14, v117 src0_sel:BYTE_3 src1_sel:DWORD
	s_mov_b32 s17, -1
	v_ffbh_u32_e32 v9, v8
	v_cmp_eq_u32_e32 vcc_lo, 0, v89
	v_min_u32_e32 v9, 32, v9
	v_subrev_nc_u32_e32 v88, 28, v9
	v_sub_nc_u32_e32 v9, 29, v9
	v_lshlrev_b32_sdwa v88, v88, v10 dst_sel:DWORD dst_unused:UNUSED_PAD src0_sel:DWORD src1_sel:BYTE_3
	v_cndmask_b32_e32 v9, v89, v9, vcc_lo
	v_and_b32_e32 v88, 7, v88
	v_lshl_add_u32 v9, v9, 23, 0x3b800000
	v_cndmask_b32_e32 v8, v8, v88, vcc_lo
	v_and_b32_e32 v88, 0x80000000, v10
	s_and_b32 vcc_lo, exec_lo, s73
	v_lshlrev_b32_e32 v8, 20, v8
	v_or3_b32 v8, v88, v9, v8
                                        ; implicit-def: $vgpr9
	s_cbranch_vccz .LBB4_2179
; %bb.2166:                             ;   in Loop: Header=BB4_1769 Depth=4
	s_mov_b32 s17, 0
	s_and_saveexec_b32 s75, s74
	s_xor_b32 s74, exec_lo, s75
	s_cbranch_execz .LBB4_2431
; %bb.2167:                             ;   in Loop: Header=BB4_1769 Depth=4
	v_cmp_eq_u16_sdwa s76, v14, v118 src0_sel:BYTE_3 src1_sel:DWORD
	s_mov_b32 s17, -1
	s_and_saveexec_b32 s75, s76
; %bb.2168:                             ;   in Loop: Header=BB4_1769 Depth=4
	s_xor_b32 s17, exec_lo, -1
; %bb.2169:                             ;   in Loop: Header=BB4_1769 Depth=4
	s_or_b32 exec_lo, exec_lo, s75
	s_and_b32 s17, s17, exec_lo
	s_or_saveexec_b32 s74, s74
	v_mov_b32_e32 v9, 0x7f800001
	s_xor_b32 exec_lo, exec_lo, s74
	s_cbranch_execnz .LBB4_2432
.LBB4_2170:                             ;   in Loop: Header=BB4_1769 Depth=4
	s_or_b32 exec_lo, exec_lo, s74
	s_and_saveexec_b32 s74, s17
	s_cbranch_execz .LBB4_2172
.LBB4_2171:                             ;   in Loop: Header=BB4_1769 Depth=4
	v_bfe_u32 v9, v14, 24, 3
	v_bfe_u32 v90, v14, 27, 4
	v_ffbh_u32_e32 v88, v9
	v_cmp_eq_u32_e32 vcc_lo, 0, v90
	v_min_u32_e32 v88, 32, v88
	v_subrev_nc_u32_e32 v89, 28, v88
	v_sub_nc_u32_e32 v88, 29, v88
	v_lshlrev_b32_sdwa v89, v89, v14 dst_sel:DWORD dst_unused:UNUSED_PAD src0_sel:DWORD src1_sel:BYTE_3
	v_cndmask_b32_e32 v88, v90, v88, vcc_lo
	v_and_b32_e32 v89, 7, v89
	v_lshl_add_u32 v88, v88, 23, 0x3b800000
	v_cndmask_b32_e32 v9, v9, v89, vcc_lo
	v_and_b32_e32 v89, 0x80000000, v14
	v_lshlrev_b32_e32 v9, 20, v9
	v_or3_b32 v9, v89, v88, v9
.LBB4_2172:                             ;   in Loop: Header=BB4_1769 Depth=4
	s_or_b32 exec_lo, exec_lo, s74
	v_cmp_gt_i16_sdwa s74, v10, v117 src0_sel:BYTE_3 src1_sel:DWORD
	s_mov_b32 s17, 0
	s_and_saveexec_b32 s75, s74
	s_xor_b32 s74, exec_lo, s75
	s_cbranch_execz .LBB4_2433
; %bb.2173:                             ;   in Loop: Header=BB4_1769 Depth=4
	v_cmp_eq_u16_sdwa s76, v10, v118 src0_sel:BYTE_3 src1_sel:DWORD
	s_mov_b32 s17, -1
	s_and_saveexec_b32 s75, s76
; %bb.2174:                             ;   in Loop: Header=BB4_1769 Depth=4
	s_xor_b32 s17, exec_lo, -1
; %bb.2175:                             ;   in Loop: Header=BB4_1769 Depth=4
	s_or_b32 exec_lo, exec_lo, s75
	s_and_b32 s17, s17, exec_lo
	s_or_saveexec_b32 s74, s74
	v_mov_b32_e32 v88, 0x7f800001
	s_xor_b32 exec_lo, exec_lo, s74
	s_cbranch_execnz .LBB4_2434
.LBB4_2176:                             ;   in Loop: Header=BB4_1769 Depth=4
	s_or_b32 exec_lo, exec_lo, s74
	s_and_saveexec_b32 s74, s17
.LBB4_2177:                             ;   in Loop: Header=BB4_1769 Depth=4
	v_mov_b32_e32 v88, v8
.LBB4_2178:                             ;   in Loop: Header=BB4_1769 Depth=4
	s_or_b32 exec_lo, exec_lo, s74
	v_max_f32_e32 v88, v88, v88
	v_max_f32_e32 v9, v9, v9
	s_mov_b32 s17, 0
	v_max_f32_e32 v9, v9, v88
.LBB4_2179:                             ;   in Loop: Header=BB4_1769 Depth=4
	s_and_b32 vcc_lo, exec_lo, s17
	s_cbranch_vccz .LBB4_2193
; %bb.2180:                             ;   in Loop: Header=BB4_1769 Depth=4
	v_cmp_gt_i16_sdwa s74, v14, v117 src0_sel:BYTE_3 src1_sel:DWORD
	s_mov_b32 s17, 0
	s_and_saveexec_b32 s75, s74
	s_xor_b32 s74, exec_lo, s75
	s_cbranch_execz .LBB4_2435
; %bb.2181:                             ;   in Loop: Header=BB4_1769 Depth=4
	v_cmp_eq_u16_sdwa s76, v14, v118 src0_sel:BYTE_3 src1_sel:DWORD
	s_mov_b32 s17, -1
	s_and_saveexec_b32 s75, s76
; %bb.2182:                             ;   in Loop: Header=BB4_1769 Depth=4
	s_xor_b32 s17, exec_lo, -1
; %bb.2183:                             ;   in Loop: Header=BB4_1769 Depth=4
	s_or_b32 exec_lo, exec_lo, s75
	s_and_b32 s17, s17, exec_lo
	s_or_saveexec_b32 s74, s74
	v_mov_b32_e32 v9, 0x7f800001
	s_xor_b32 exec_lo, exec_lo, s74
	s_cbranch_execnz .LBB4_2436
.LBB4_2184:                             ;   in Loop: Header=BB4_1769 Depth=4
	s_or_b32 exec_lo, exec_lo, s74
	s_and_saveexec_b32 s74, s17
	s_cbranch_execz .LBB4_2186
.LBB4_2185:                             ;   in Loop: Header=BB4_1769 Depth=4
	v_bfe_u32 v9, v14, 24, 3
	v_bfe_u32 v90, v14, 27, 4
	v_ffbh_u32_e32 v88, v9
	v_cmp_eq_u32_e32 vcc_lo, 0, v90
	v_min_u32_e32 v88, 32, v88
	v_subrev_nc_u32_e32 v89, 28, v88
	v_sub_nc_u32_e32 v88, 29, v88
	v_lshlrev_b32_sdwa v89, v89, v14 dst_sel:DWORD dst_unused:UNUSED_PAD src0_sel:DWORD src1_sel:BYTE_3
	v_cndmask_b32_e32 v88, v90, v88, vcc_lo
	v_and_b32_e32 v14, 0x80000000, v14
	v_and_b32_e32 v89, 7, v89
	v_lshl_add_u32 v88, v88, 23, 0x3b800000
	v_cndmask_b32_e32 v9, v9, v89, vcc_lo
	v_lshlrev_b32_e32 v9, 20, v9
	v_or3_b32 v9, v14, v88, v9
.LBB4_2186:                             ;   in Loop: Header=BB4_1769 Depth=4
	s_or_b32 exec_lo, exec_lo, s74
	v_cmp_gt_i16_sdwa s74, v10, v117 src0_sel:BYTE_3 src1_sel:DWORD
	s_mov_b32 s17, 0
	s_and_saveexec_b32 s75, s74
	s_xor_b32 s74, exec_lo, s75
	s_cbranch_execz .LBB4_2437
; %bb.2187:                             ;   in Loop: Header=BB4_1769 Depth=4
	v_cmp_eq_u16_sdwa s76, v10, v118 src0_sel:BYTE_3 src1_sel:DWORD
	s_mov_b32 s17, -1
	s_and_saveexec_b32 s75, s76
; %bb.2188:                             ;   in Loop: Header=BB4_1769 Depth=4
	s_xor_b32 s17, exec_lo, -1
; %bb.2189:                             ;   in Loop: Header=BB4_1769 Depth=4
	s_or_b32 exec_lo, exec_lo, s75
	s_and_b32 s17, s17, exec_lo
	s_or_saveexec_b32 s74, s74
	v_mov_b32_e32 v14, 0x7f800001
	s_xor_b32 exec_lo, exec_lo, s74
	s_cbranch_execnz .LBB4_2438
.LBB4_2190:                             ;   in Loop: Header=BB4_1769 Depth=4
	s_or_b32 exec_lo, exec_lo, s74
	s_and_saveexec_b32 s74, s17
.LBB4_2191:                             ;   in Loop: Header=BB4_1769 Depth=4
	v_mov_b32_e32 v14, v8
.LBB4_2192:                             ;   in Loop: Header=BB4_1769 Depth=4
	s_or_b32 exec_lo, exec_lo, s74
	v_max_f32_e32 v8, v14, v14
	v_max_f32_e32 v9, v9, v9
	v_min_f32_e32 v9, v9, v8
.LBB4_2193:                             ;   in Loop: Header=BB4_1769 Depth=4
	v_and_b32_e32 v8, 0x7f800000, v9
	v_mov_b32_e32 v14, 0x8000
	s_mov_b32 s74, exec_lo
	v_cmpx_ne_u32_e32 0x7f800000, v8
	s_cbranch_execz .LBB4_2201
; %bb.2194:                             ;   in Loop: Header=BB4_1769 Depth=4
	v_mov_b32_e32 v14, 0
	s_mov_b32 s75, exec_lo
	v_cmpx_ne_u32_e32 0, v9
	s_cbranch_execz .LBB4_2200
; %bb.2195:                             ;   in Loop: Header=BB4_1769 Depth=4
	v_bfe_u32 v8, v9, 23, 8
	v_and_b32_e32 v10, 0x7fffff, v9
	v_sub_nc_u32_e32 v14, 0x78, v8
	v_cmp_gt_u32_e32 vcc_lo, 0x79, v8
	v_or_b32_e32 v88, 0x800000, v10
	v_cndmask_b32_e32 v14, 0, v14, vcc_lo
	v_cmp_eq_u32_e32 vcc_lo, 0, v8
	v_add_nc_u32_e32 v8, 0xffffff89, v8
	v_cndmask_b32_e64 v14, v14, 0x77, vcc_lo
	v_cndmask_b32_e32 v10, v88, v10, vcc_lo
	v_cndmask_b32_e64 v8, v8, 0xffffff8a, vcc_lo
	v_lshl_add_u32 v88, 0x100000, v14, -1
	v_lshrrev_b32_e32 v89, v14, v10
	v_lshlrev_b32_e64 v91, v14, 0x80000
	v_add_nc_u32_e32 v14, v14, v8
	v_and_b32_e32 v10, v88, v10
	v_bfe_u32 v90, v89, 20, 1
	v_cmp_eq_u32_e64 s17, v10, v91
	v_add_nc_u32_e32 v88, -1, v90
	v_cndmask_b32_e64 v10, 0, v88, s17
	v_lshrrev_b32_e32 v88, 23, v89
	s_mov_b32 s17, exec_lo
	v_add_nc_u32_e32 v10, v10, v89
	v_xor_b32_e32 v88, 1, v88
	v_and_b32_e32 v8, 0xfffff, v10
	v_add_nc_u32_e32 v10, v8, v89
                                        ; implicit-def: $vgpr8
	v_cmpx_ne_u32_e64 v14, v88
	s_xor_b32 s17, exec_lo, s17
; %bb.2196:                             ;   in Loop: Header=BB4_1769 Depth=4
	v_cmp_lt_u32_e32 vcc_lo, 0xffffff, v10
	v_sub_nc_u32_e32 v8, v14, v88
	v_cndmask_b32_e64 v14, 0, 1, vcc_lo
	v_add_co_ci_u32_e64 v8, null, 0, v8, vcc_lo
	v_lshrrev_b32_e32 v10, v14, v10
; %bb.2197:                             ;   in Loop: Header=BB4_1769 Depth=4
	s_andn2_saveexec_b32 s17, s17
; %bb.2198:                             ;   in Loop: Header=BB4_1769 Depth=4
	v_bfe_u32 v8, v10, 23, 1
; %bb.2199:                             ;   in Loop: Header=BB4_1769 Depth=4
	s_or_b32 exec_lo, exec_lo, s17
	v_lshrrev_b32_e32 v10, 20, v10
	v_min_i32_e32 v14, 15, v8
	v_cmp_gt_i32_e32 vcc_lo, 16, v8
	v_and_b32_sdwa v9, v9, v118 dst_sel:DWORD dst_unused:UNUSED_PAD src0_sel:BYTE_3 src1_sel:DWORD
	v_lshlrev_b32_e32 v14, 3, v14
	v_cndmask_b32_e32 v10, 7, v10, vcc_lo
	v_and_b32_e32 v14, 0xf8, v14
	v_and_b32_e32 v88, 7, v10
	v_or_b32_e32 v8, v8, v10
	v_or3_b32 v9, v9, v14, v88
	v_cmp_ne_u32_e32 vcc_lo, 0, v8
	v_lshlrev_b32_e32 v9, 8, v9
	v_cndmask_b32_e32 v14, 0, v9, vcc_lo
.LBB4_2200:                             ;   in Loop: Header=BB4_1769 Depth=4
	s_or_b32 exec_lo, exec_lo, s75
.LBB4_2201:                             ;   in Loop: Header=BB4_1769 Depth=4
	s_or_b32 exec_lo, exec_lo, s74
	v_and_b32_e32 v8, 7, v11
	v_bfe_u32 v88, v11, 3, 4
	v_lshlrev_b32_e32 v89, 24, v11
	v_cmp_gt_i16_sdwa s74, v15, v117 src0_sel:BYTE_0 src1_sel:DWORD
	s_mov_b32 s17, -1
	v_ffbh_u32_e32 v9, v8
	v_cmp_eq_u32_e32 vcc_lo, 0, v88
	v_min_u32_e32 v9, 32, v9
	v_subrev_nc_u32_e32 v10, 28, v9
	v_sub_nc_u32_e32 v9, 29, v9
	v_lshlrev_b32_e32 v10, v10, v11
	v_cndmask_b32_e32 v9, v88, v9, vcc_lo
	v_and_b32_e32 v10, 7, v10
	v_lshl_add_u32 v9, v9, 23, 0x3b800000
	v_cndmask_b32_e32 v8, v8, v10, vcc_lo
	v_and_b32_e32 v10, 0x80000000, v89
	s_and_b32 vcc_lo, exec_lo, s73
	v_lshlrev_b32_e32 v8, 20, v8
	v_or3_b32 v8, v10, v9, v8
                                        ; implicit-def: $vgpr9
	s_cbranch_vccz .LBB4_2215
; %bb.2202:                             ;   in Loop: Header=BB4_1769 Depth=4
	s_mov_b32 s17, 0
	s_and_saveexec_b32 s75, s74
	s_xor_b32 s74, exec_lo, s75
	s_cbranch_execz .LBB4_2439
; %bb.2203:                             ;   in Loop: Header=BB4_1769 Depth=4
	v_cmp_eq_u16_sdwa s76, v15, v118 src0_sel:BYTE_0 src1_sel:DWORD
	s_mov_b32 s17, -1
	s_and_saveexec_b32 s75, s76
; %bb.2204:                             ;   in Loop: Header=BB4_1769 Depth=4
	s_xor_b32 s17, exec_lo, -1
; %bb.2205:                             ;   in Loop: Header=BB4_1769 Depth=4
	s_or_b32 exec_lo, exec_lo, s75
	s_and_b32 s17, s17, exec_lo
	s_or_saveexec_b32 s74, s74
	v_mov_b32_e32 v9, 0x7f800001
	s_xor_b32 exec_lo, exec_lo, s74
	s_cbranch_execnz .LBB4_2440
.LBB4_2206:                             ;   in Loop: Header=BB4_1769 Depth=4
	s_or_b32 exec_lo, exec_lo, s74
	s_and_saveexec_b32 s74, s17
	s_cbranch_execz .LBB4_2208
.LBB4_2207:                             ;   in Loop: Header=BB4_1769 Depth=4
	v_and_b32_e32 v9, 7, v15
	v_bfe_u32 v89, v15, 3, 4
	v_lshlrev_b32_e32 v90, 24, v15
	v_ffbh_u32_e32 v10, v9
	v_cmp_eq_u32_e32 vcc_lo, 0, v89
	v_min_u32_e32 v10, 32, v10
	v_subrev_nc_u32_e32 v88, 28, v10
	v_sub_nc_u32_e32 v10, 29, v10
	v_lshlrev_b32_e32 v88, v88, v15
	v_cndmask_b32_e32 v10, v89, v10, vcc_lo
	v_and_b32_e32 v88, 7, v88
	v_lshl_add_u32 v10, v10, 23, 0x3b800000
	v_cndmask_b32_e32 v9, v9, v88, vcc_lo
	v_and_b32_e32 v88, 0x80000000, v90
	v_lshlrev_b32_e32 v9, 20, v9
	v_or3_b32 v9, v88, v10, v9
.LBB4_2208:                             ;   in Loop: Header=BB4_1769 Depth=4
	s_or_b32 exec_lo, exec_lo, s74
	v_cmp_gt_i16_sdwa s74, v11, v117 src0_sel:BYTE_0 src1_sel:DWORD
	s_mov_b32 s17, 0
	s_and_saveexec_b32 s75, s74
	s_xor_b32 s74, exec_lo, s75
	s_cbranch_execz .LBB4_2441
; %bb.2209:                             ;   in Loop: Header=BB4_1769 Depth=4
	v_cmp_eq_u16_sdwa s76, v11, v118 src0_sel:BYTE_0 src1_sel:DWORD
	s_mov_b32 s17, -1
	s_and_saveexec_b32 s75, s76
; %bb.2210:                             ;   in Loop: Header=BB4_1769 Depth=4
	s_xor_b32 s17, exec_lo, -1
; %bb.2211:                             ;   in Loop: Header=BB4_1769 Depth=4
	s_or_b32 exec_lo, exec_lo, s75
	s_and_b32 s17, s17, exec_lo
	s_or_saveexec_b32 s74, s74
	v_mov_b32_e32 v10, 0x7f800001
	s_xor_b32 exec_lo, exec_lo, s74
	s_cbranch_execnz .LBB4_2442
.LBB4_2212:                             ;   in Loop: Header=BB4_1769 Depth=4
	s_or_b32 exec_lo, exec_lo, s74
	s_and_saveexec_b32 s74, s17
.LBB4_2213:                             ;   in Loop: Header=BB4_1769 Depth=4
	v_mov_b32_e32 v10, v8
.LBB4_2214:                             ;   in Loop: Header=BB4_1769 Depth=4
	s_or_b32 exec_lo, exec_lo, s74
	v_max_f32_e32 v10, v10, v10
	v_max_f32_e32 v9, v9, v9
	s_mov_b32 s17, 0
	v_max_f32_e32 v9, v9, v10
.LBB4_2215:                             ;   in Loop: Header=BB4_1769 Depth=4
	s_and_b32 vcc_lo, exec_lo, s17
	s_cbranch_vccz .LBB4_2229
; %bb.2216:                             ;   in Loop: Header=BB4_1769 Depth=4
	v_cmp_gt_i16_sdwa s74, v15, v117 src0_sel:BYTE_0 src1_sel:DWORD
	s_mov_b32 s17, 0
	s_and_saveexec_b32 s75, s74
	s_xor_b32 s74, exec_lo, s75
	s_cbranch_execz .LBB4_2443
; %bb.2217:                             ;   in Loop: Header=BB4_1769 Depth=4
	v_cmp_eq_u16_sdwa s76, v15, v118 src0_sel:BYTE_0 src1_sel:DWORD
	s_mov_b32 s17, -1
	s_and_saveexec_b32 s75, s76
; %bb.2218:                             ;   in Loop: Header=BB4_1769 Depth=4
	s_xor_b32 s17, exec_lo, -1
; %bb.2219:                             ;   in Loop: Header=BB4_1769 Depth=4
	s_or_b32 exec_lo, exec_lo, s75
	s_and_b32 s17, s17, exec_lo
	s_or_saveexec_b32 s74, s74
	v_mov_b32_e32 v9, 0x7f800001
	s_xor_b32 exec_lo, exec_lo, s74
	s_cbranch_execnz .LBB4_2444
.LBB4_2220:                             ;   in Loop: Header=BB4_1769 Depth=4
	s_or_b32 exec_lo, exec_lo, s74
	s_and_saveexec_b32 s74, s17
	s_cbranch_execz .LBB4_2222
.LBB4_2221:                             ;   in Loop: Header=BB4_1769 Depth=4
	v_and_b32_e32 v9, 7, v15
	v_bfe_u32 v89, v15, 3, 4
	v_lshlrev_b32_e32 v90, 24, v15
	v_ffbh_u32_e32 v10, v9
	v_cmp_eq_u32_e32 vcc_lo, 0, v89
	v_min_u32_e32 v10, 32, v10
	v_subrev_nc_u32_e32 v88, 28, v10
	v_sub_nc_u32_e32 v10, 29, v10
	v_lshlrev_b32_e32 v88, v88, v15
	v_cndmask_b32_e32 v10, v89, v10, vcc_lo
	v_and_b32_e32 v88, 7, v88
	v_lshl_add_u32 v10, v10, 23, 0x3b800000
	v_cndmask_b32_e32 v9, v9, v88, vcc_lo
	v_and_b32_e32 v88, 0x80000000, v90
	v_lshlrev_b32_e32 v9, 20, v9
	v_or3_b32 v9, v88, v10, v9
.LBB4_2222:                             ;   in Loop: Header=BB4_1769 Depth=4
	s_or_b32 exec_lo, exec_lo, s74
	v_cmp_gt_i16_sdwa s74, v11, v117 src0_sel:BYTE_0 src1_sel:DWORD
	s_mov_b32 s17, 0
	s_and_saveexec_b32 s75, s74
	s_xor_b32 s74, exec_lo, s75
	s_cbranch_execz .LBB4_2445
; %bb.2223:                             ;   in Loop: Header=BB4_1769 Depth=4
	v_cmp_eq_u16_sdwa s76, v11, v118 src0_sel:BYTE_0 src1_sel:DWORD
	s_mov_b32 s17, -1
	s_and_saveexec_b32 s75, s76
; %bb.2224:                             ;   in Loop: Header=BB4_1769 Depth=4
	s_xor_b32 s17, exec_lo, -1
; %bb.2225:                             ;   in Loop: Header=BB4_1769 Depth=4
	s_or_b32 exec_lo, exec_lo, s75
	s_and_b32 s17, s17, exec_lo
	s_or_saveexec_b32 s74, s74
	v_mov_b32_e32 v10, 0x7f800001
	s_xor_b32 exec_lo, exec_lo, s74
	s_cbranch_execnz .LBB4_2446
.LBB4_2226:                             ;   in Loop: Header=BB4_1769 Depth=4
	s_or_b32 exec_lo, exec_lo, s74
	s_and_saveexec_b32 s74, s17
.LBB4_2227:                             ;   in Loop: Header=BB4_1769 Depth=4
	v_mov_b32_e32 v10, v8
.LBB4_2228:                             ;   in Loop: Header=BB4_1769 Depth=4
	s_or_b32 exec_lo, exec_lo, s74
	v_max_f32_e32 v8, v10, v10
	v_max_f32_e32 v9, v9, v9
	v_min_f32_e32 v9, v9, v8
.LBB4_2229:                             ;   in Loop: Header=BB4_1769 Depth=4
	v_and_b32_e32 v8, 0x7f800000, v9
	v_mov_b32_e32 v88, 0x80
	s_mov_b32 s74, exec_lo
	v_cmpx_ne_u32_e32 0x7f800000, v8
	s_cbranch_execz .LBB4_2237
; %bb.2230:                             ;   in Loop: Header=BB4_1769 Depth=4
	v_mov_b32_e32 v88, 0
	s_mov_b32 s75, exec_lo
	v_cmpx_ne_u32_e32 0, v9
	s_cbranch_execz .LBB4_2236
; %bb.2231:                             ;   in Loop: Header=BB4_1769 Depth=4
	v_bfe_u32 v8, v9, 23, 8
	v_and_b32_e32 v10, 0x7fffff, v9
	v_sub_nc_u32_e32 v88, 0x78, v8
	v_cmp_gt_u32_e32 vcc_lo, 0x79, v8
	v_or_b32_e32 v89, 0x800000, v10
	v_cndmask_b32_e32 v88, 0, v88, vcc_lo
	v_cmp_eq_u32_e32 vcc_lo, 0, v8
	v_add_nc_u32_e32 v8, 0xffffff89, v8
	v_cndmask_b32_e64 v88, v88, 0x77, vcc_lo
	v_cndmask_b32_e32 v10, v89, v10, vcc_lo
	v_cndmask_b32_e64 v8, v8, 0xffffff8a, vcc_lo
	v_lshl_add_u32 v89, 0x100000, v88, -1
	v_lshrrev_b32_e32 v90, v88, v10
	v_lshlrev_b32_e64 v92, v88, 0x80000
	v_add_nc_u32_e32 v88, v88, v8
	v_and_b32_e32 v10, v89, v10
	v_bfe_u32 v91, v90, 20, 1
	v_cmp_eq_u32_e64 s17, v10, v92
	v_add_nc_u32_e32 v89, -1, v91
	v_cndmask_b32_e64 v10, 0, v89, s17
	v_lshrrev_b32_e32 v89, 23, v90
	s_mov_b32 s17, exec_lo
	v_add_nc_u32_e32 v10, v10, v90
	v_xor_b32_e32 v89, 1, v89
	v_and_b32_e32 v8, 0xfffff, v10
	v_add_nc_u32_e32 v10, v8, v90
                                        ; implicit-def: $vgpr8
	v_cmpx_ne_u32_e64 v88, v89
	s_xor_b32 s17, exec_lo, s17
; %bb.2232:                             ;   in Loop: Header=BB4_1769 Depth=4
	v_cmp_lt_u32_e32 vcc_lo, 0xffffff, v10
	v_sub_nc_u32_e32 v8, v88, v89
	v_cndmask_b32_e64 v88, 0, 1, vcc_lo
	v_add_co_ci_u32_e64 v8, null, 0, v8, vcc_lo
	v_lshrrev_b32_e32 v10, v88, v10
; %bb.2233:                             ;   in Loop: Header=BB4_1769 Depth=4
	s_andn2_saveexec_b32 s17, s17
; %bb.2234:                             ;   in Loop: Header=BB4_1769 Depth=4
	v_bfe_u32 v8, v10, 23, 1
; %bb.2235:                             ;   in Loop: Header=BB4_1769 Depth=4
	s_or_b32 exec_lo, exec_lo, s17
	v_lshrrev_b32_e32 v10, 20, v10
	v_min_i32_e32 v88, 15, v8
	v_cmp_gt_i32_e32 vcc_lo, 16, v8
	v_and_b32_sdwa v9, v9, v118 dst_sel:DWORD dst_unused:UNUSED_PAD src0_sel:BYTE_3 src1_sel:DWORD
	v_lshlrev_b32_e32 v88, 3, v88
	v_cndmask_b32_e32 v10, 7, v10, vcc_lo
	v_and_b32_e32 v88, 0xf8, v88
	v_and_b32_e32 v89, 7, v10
	v_or_b32_e32 v8, v8, v10
	v_or3_b32 v9, v88, v9, v89
	v_cmp_ne_u32_e32 vcc_lo, 0, v8
	v_cndmask_b32_e32 v88, 0, v9, vcc_lo
.LBB4_2236:                             ;   in Loop: Header=BB4_1769 Depth=4
	s_or_b32 exec_lo, exec_lo, s75
.LBB4_2237:                             ;   in Loop: Header=BB4_1769 Depth=4
	s_or_b32 exec_lo, exec_lo, s74
	v_and_b32_sdwa v8, v119, v11 dst_sel:DWORD dst_unused:UNUSED_PAD src0_sel:DWORD src1_sel:BYTE_1
	v_cmp_gt_i16_sdwa s74, v15, v117 src0_sel:BYTE_1 src1_sel:DWORD
	s_mov_b32 s17, -1
	v_and_b32_e32 v9, 7, v8
	v_bfe_u32 v90, v8, 3, 4
	v_ffbh_u32_e32 v10, v9
	v_cmp_eq_u32_e32 vcc_lo, 0, v90
	v_min_u32_e32 v10, 32, v10
	v_subrev_nc_u32_e32 v89, 28, v10
	v_sub_nc_u32_e32 v10, 29, v10
	v_lshlrev_b32_e32 v8, v89, v8
	v_lshlrev_b32_sdwa v89, v41, v11 dst_sel:DWORD dst_unused:UNUSED_PAD src0_sel:DWORD src1_sel:BYTE_1
	v_cndmask_b32_e32 v10, v90, v10, vcc_lo
	v_and_b32_e32 v8, 7, v8
	v_lshl_add_u32 v10, v10, 23, 0x3b800000
	v_cndmask_b32_e32 v8, v9, v8, vcc_lo
	v_and_b32_e32 v9, 0x80000000, v89
	s_and_b32 vcc_lo, exec_lo, s73
	v_lshlrev_b32_e32 v8, 20, v8
	v_or3_b32 v8, v9, v10, v8
                                        ; implicit-def: $vgpr9
	s_cbranch_vccz .LBB4_2251
; %bb.2238:                             ;   in Loop: Header=BB4_1769 Depth=4
	s_mov_b32 s17, 0
	s_and_saveexec_b32 s75, s74
	s_xor_b32 s74, exec_lo, s75
	s_cbranch_execz .LBB4_2447
; %bb.2239:                             ;   in Loop: Header=BB4_1769 Depth=4
	v_cmp_eq_u16_sdwa s76, v15, v118 src0_sel:BYTE_1 src1_sel:DWORD
	s_mov_b32 s17, -1
	s_and_saveexec_b32 s75, s76
; %bb.2240:                             ;   in Loop: Header=BB4_1769 Depth=4
	s_xor_b32 s17, exec_lo, -1
; %bb.2241:                             ;   in Loop: Header=BB4_1769 Depth=4
	s_or_b32 exec_lo, exec_lo, s75
	s_and_b32 s17, s17, exec_lo
	s_or_saveexec_b32 s74, s74
	v_mov_b32_e32 v9, 0x7f800001
	s_xor_b32 exec_lo, exec_lo, s74
	s_cbranch_execnz .LBB4_2448
.LBB4_2242:                             ;   in Loop: Header=BB4_1769 Depth=4
	s_or_b32 exec_lo, exec_lo, s74
	s_and_saveexec_b32 s74, s17
	s_cbranch_execz .LBB4_2244
.LBB4_2243:                             ;   in Loop: Header=BB4_1769 Depth=4
	v_and_b32_sdwa v9, v119, v15 dst_sel:DWORD dst_unused:UNUSED_PAD src0_sel:DWORD src1_sel:BYTE_1
	v_and_b32_e32 v10, 7, v9
	v_bfe_u32 v91, v9, 3, 4
	v_ffbh_u32_e32 v89, v10
	v_cmp_eq_u32_e32 vcc_lo, 0, v91
	v_min_u32_e32 v89, 32, v89
	v_subrev_nc_u32_e32 v90, 28, v89
	v_sub_nc_u32_e32 v89, 29, v89
	v_lshlrev_b32_e32 v9, v90, v9
	v_lshlrev_b32_e32 v90, 16, v15
	v_cndmask_b32_e32 v89, v91, v89, vcc_lo
	v_and_b32_e32 v9, 7, v9
	v_lshl_add_u32 v89, v89, 23, 0x3b800000
	v_cndmask_b32_e32 v9, v10, v9, vcc_lo
	v_and_b32_e32 v10, 0x80000000, v90
	v_lshlrev_b32_e32 v9, 20, v9
	v_or3_b32 v9, v10, v89, v9
.LBB4_2244:                             ;   in Loop: Header=BB4_1769 Depth=4
	s_or_b32 exec_lo, exec_lo, s74
	v_cmp_gt_i16_sdwa s74, v11, v117 src0_sel:BYTE_1 src1_sel:DWORD
	s_mov_b32 s17, 0
	s_and_saveexec_b32 s75, s74
	s_xor_b32 s74, exec_lo, s75
	s_cbranch_execz .LBB4_2449
; %bb.2245:                             ;   in Loop: Header=BB4_1769 Depth=4
	v_cmp_eq_u16_sdwa s76, v11, v118 src0_sel:BYTE_1 src1_sel:DWORD
	s_mov_b32 s17, -1
	s_and_saveexec_b32 s75, s76
; %bb.2246:                             ;   in Loop: Header=BB4_1769 Depth=4
	s_xor_b32 s17, exec_lo, -1
; %bb.2247:                             ;   in Loop: Header=BB4_1769 Depth=4
	s_or_b32 exec_lo, exec_lo, s75
	s_and_b32 s17, s17, exec_lo
	s_or_saveexec_b32 s74, s74
	v_mov_b32_e32 v10, 0x7f800001
	s_xor_b32 exec_lo, exec_lo, s74
	s_cbranch_execnz .LBB4_2450
.LBB4_2248:                             ;   in Loop: Header=BB4_1769 Depth=4
	s_or_b32 exec_lo, exec_lo, s74
	s_and_saveexec_b32 s74, s17
.LBB4_2249:                             ;   in Loop: Header=BB4_1769 Depth=4
	v_mov_b32_e32 v10, v8
.LBB4_2250:                             ;   in Loop: Header=BB4_1769 Depth=4
	s_or_b32 exec_lo, exec_lo, s74
	v_max_f32_e32 v10, v10, v10
	v_max_f32_e32 v9, v9, v9
	s_mov_b32 s17, 0
	v_max_f32_e32 v9, v9, v10
.LBB4_2251:                             ;   in Loop: Header=BB4_1769 Depth=4
	s_and_b32 vcc_lo, exec_lo, s17
	s_cbranch_vccz .LBB4_2265
; %bb.2252:                             ;   in Loop: Header=BB4_1769 Depth=4
	v_cmp_gt_i16_sdwa s74, v15, v117 src0_sel:BYTE_1 src1_sel:DWORD
	s_mov_b32 s17, 0
	s_and_saveexec_b32 s75, s74
	s_xor_b32 s74, exec_lo, s75
	s_cbranch_execz .LBB4_2451
; %bb.2253:                             ;   in Loop: Header=BB4_1769 Depth=4
	v_cmp_eq_u16_sdwa s76, v15, v118 src0_sel:BYTE_1 src1_sel:DWORD
	s_mov_b32 s17, -1
	s_and_saveexec_b32 s75, s76
; %bb.2254:                             ;   in Loop: Header=BB4_1769 Depth=4
	s_xor_b32 s17, exec_lo, -1
; %bb.2255:                             ;   in Loop: Header=BB4_1769 Depth=4
	s_or_b32 exec_lo, exec_lo, s75
	s_and_b32 s17, s17, exec_lo
	s_or_saveexec_b32 s74, s74
	v_mov_b32_e32 v9, 0x7f800001
	s_xor_b32 exec_lo, exec_lo, s74
	s_cbranch_execnz .LBB4_2452
.LBB4_2256:                             ;   in Loop: Header=BB4_1769 Depth=4
	s_or_b32 exec_lo, exec_lo, s74
	s_and_saveexec_b32 s74, s17
	s_cbranch_execz .LBB4_2258
.LBB4_2257:                             ;   in Loop: Header=BB4_1769 Depth=4
	v_and_b32_sdwa v9, v119, v15 dst_sel:DWORD dst_unused:UNUSED_PAD src0_sel:DWORD src1_sel:BYTE_1
	v_and_b32_e32 v10, 7, v9
	v_bfe_u32 v91, v9, 3, 4
	v_ffbh_u32_e32 v89, v10
	v_cmp_eq_u32_e32 vcc_lo, 0, v91
	v_min_u32_e32 v89, 32, v89
	v_subrev_nc_u32_e32 v90, 28, v89
	v_sub_nc_u32_e32 v89, 29, v89
	v_lshlrev_b32_e32 v9, v90, v9
	v_lshlrev_b32_e32 v90, 16, v15
	v_cndmask_b32_e32 v89, v91, v89, vcc_lo
	v_and_b32_e32 v9, 7, v9
	v_lshl_add_u32 v89, v89, 23, 0x3b800000
	v_cndmask_b32_e32 v9, v10, v9, vcc_lo
	v_and_b32_e32 v10, 0x80000000, v90
	v_lshlrev_b32_e32 v9, 20, v9
	v_or3_b32 v9, v10, v89, v9
.LBB4_2258:                             ;   in Loop: Header=BB4_1769 Depth=4
	s_or_b32 exec_lo, exec_lo, s74
	v_cmp_gt_i16_sdwa s74, v11, v117 src0_sel:BYTE_1 src1_sel:DWORD
	s_mov_b32 s17, 0
	s_and_saveexec_b32 s75, s74
	s_xor_b32 s74, exec_lo, s75
	s_cbranch_execz .LBB4_2453
; %bb.2259:                             ;   in Loop: Header=BB4_1769 Depth=4
	v_cmp_eq_u16_sdwa s76, v11, v118 src0_sel:BYTE_1 src1_sel:DWORD
	s_mov_b32 s17, -1
	s_and_saveexec_b32 s75, s76
; %bb.2260:                             ;   in Loop: Header=BB4_1769 Depth=4
	s_xor_b32 s17, exec_lo, -1
; %bb.2261:                             ;   in Loop: Header=BB4_1769 Depth=4
	s_or_b32 exec_lo, exec_lo, s75
	s_and_b32 s17, s17, exec_lo
	s_or_saveexec_b32 s74, s74
	v_mov_b32_e32 v10, 0x7f800001
	s_xor_b32 exec_lo, exec_lo, s74
	s_cbranch_execnz .LBB4_2454
.LBB4_2262:                             ;   in Loop: Header=BB4_1769 Depth=4
	s_or_b32 exec_lo, exec_lo, s74
	s_and_saveexec_b32 s74, s17
.LBB4_2263:                             ;   in Loop: Header=BB4_1769 Depth=4
	v_mov_b32_e32 v10, v8
.LBB4_2264:                             ;   in Loop: Header=BB4_1769 Depth=4
	s_or_b32 exec_lo, exec_lo, s74
	v_max_f32_e32 v8, v10, v10
	v_max_f32_e32 v9, v9, v9
	v_min_f32_e32 v9, v9, v8
.LBB4_2265:                             ;   in Loop: Header=BB4_1769 Depth=4
	v_and_b32_e32 v8, 0x7f800000, v9
	v_mov_b32_e32 v89, 0x8000
	s_mov_b32 s74, exec_lo
	v_cmpx_ne_u32_e32 0x7f800000, v8
	s_cbranch_execz .LBB4_2273
; %bb.2266:                             ;   in Loop: Header=BB4_1769 Depth=4
	v_mov_b32_e32 v89, 0
	s_mov_b32 s75, exec_lo
	v_cmpx_ne_u32_e32 0, v9
	s_cbranch_execz .LBB4_2272
; %bb.2267:                             ;   in Loop: Header=BB4_1769 Depth=4
	v_bfe_u32 v8, v9, 23, 8
	v_and_b32_e32 v10, 0x7fffff, v9
	v_sub_nc_u32_e32 v89, 0x78, v8
	v_cmp_gt_u32_e32 vcc_lo, 0x79, v8
	v_or_b32_e32 v90, 0x800000, v10
	v_cndmask_b32_e32 v89, 0, v89, vcc_lo
	v_cmp_eq_u32_e32 vcc_lo, 0, v8
	v_add_nc_u32_e32 v8, 0xffffff89, v8
	v_cndmask_b32_e64 v89, v89, 0x77, vcc_lo
	v_cndmask_b32_e32 v10, v90, v10, vcc_lo
	v_cndmask_b32_e64 v8, v8, 0xffffff8a, vcc_lo
	v_lshl_add_u32 v90, 0x100000, v89, -1
	v_lshrrev_b32_e32 v91, v89, v10
	v_lshlrev_b32_e64 v93, v89, 0x80000
	v_add_nc_u32_e32 v89, v89, v8
	v_and_b32_e32 v10, v90, v10
	v_bfe_u32 v92, v91, 20, 1
	v_cmp_eq_u32_e64 s17, v10, v93
	v_add_nc_u32_e32 v90, -1, v92
	v_cndmask_b32_e64 v10, 0, v90, s17
	v_lshrrev_b32_e32 v90, 23, v91
	s_mov_b32 s17, exec_lo
	v_add_nc_u32_e32 v10, v10, v91
	v_xor_b32_e32 v90, 1, v90
	v_and_b32_e32 v8, 0xfffff, v10
	v_add_nc_u32_e32 v10, v8, v91
                                        ; implicit-def: $vgpr8
	v_cmpx_ne_u32_e64 v89, v90
	s_xor_b32 s17, exec_lo, s17
; %bb.2268:                             ;   in Loop: Header=BB4_1769 Depth=4
	v_cmp_lt_u32_e32 vcc_lo, 0xffffff, v10
	v_sub_nc_u32_e32 v8, v89, v90
	v_cndmask_b32_e64 v89, 0, 1, vcc_lo
	v_add_co_ci_u32_e64 v8, null, 0, v8, vcc_lo
	v_lshrrev_b32_e32 v10, v89, v10
; %bb.2269:                             ;   in Loop: Header=BB4_1769 Depth=4
	s_andn2_saveexec_b32 s17, s17
; %bb.2270:                             ;   in Loop: Header=BB4_1769 Depth=4
	v_bfe_u32 v8, v10, 23, 1
; %bb.2271:                             ;   in Loop: Header=BB4_1769 Depth=4
	s_or_b32 exec_lo, exec_lo, s17
	v_lshrrev_b32_e32 v10, 20, v10
	v_min_i32_e32 v89, 15, v8
	v_cmp_gt_i32_e32 vcc_lo, 16, v8
	v_and_b32_sdwa v9, v9, v118 dst_sel:DWORD dst_unused:UNUSED_PAD src0_sel:BYTE_3 src1_sel:DWORD
	v_lshlrev_b32_e32 v89, 3, v89
	v_cndmask_b32_e32 v10, 7, v10, vcc_lo
	v_and_b32_e32 v89, 0xf8, v89
	v_and_b32_e32 v90, 7, v10
	v_or_b32_e32 v8, v8, v10
	v_or3_b32 v9, v9, v89, v90
	v_cmp_ne_u32_e32 vcc_lo, 0, v8
	v_lshlrev_b32_e32 v9, 8, v9
	v_cndmask_b32_e32 v89, 0, v9, vcc_lo
.LBB4_2272:                             ;   in Loop: Header=BB4_1769 Depth=4
	s_or_b32 exec_lo, exec_lo, s75
.LBB4_2273:                             ;   in Loop: Header=BB4_1769 Depth=4
	s_or_b32 exec_lo, exec_lo, s74
	v_bfe_u32 v8, v11, 16, 3
	v_bfe_u32 v90, v11, 19, 4
	v_lshlrev_b32_e32 v91, 8, v11
	s_mov_b32 s74, -1
	v_ffbh_u32_e32 v9, v8
	v_cmp_eq_u32_e32 vcc_lo, 0, v90
	v_min_u32_e32 v9, 32, v9
	v_subrev_nc_u32_e32 v10, 28, v9
	v_sub_nc_u32_e32 v9, 29, v9
	v_lshlrev_b32_sdwa v10, v10, v11 dst_sel:DWORD dst_unused:UNUSED_PAD src0_sel:DWORD src1_sel:WORD_1
	v_cndmask_b32_e32 v9, v90, v9, vcc_lo
	v_and_b32_e32 v10, 7, v10
	v_lshl_add_u32 v90, v9, 23, 0x3b800000
	v_and_b32_sdwa v9, v15, v40 dst_sel:DWORD dst_unused:UNUSED_PAD src0_sel:WORD_1 src1_sel:DWORD
	v_cndmask_b32_e32 v8, v8, v10, vcc_lo
	v_and_b32_e32 v10, 0x80000000, v91
	v_cmp_lt_i16_e64 s17, 0x7f, v9
	s_and_b32 vcc_lo, exec_lo, s73
	v_lshlrev_b32_e32 v8, 20, v8
	v_or3_b32 v8, v10, v90, v8
                                        ; implicit-def: $vgpr10
	s_cbranch_vccz .LBB4_2287
; %bb.2274:                             ;   in Loop: Header=BB4_1769 Depth=4
	s_mov_b32 s74, 0
	s_and_saveexec_b32 s75, s17
	s_xor_b32 s17, exec_lo, s75
	s_cbranch_execz .LBB4_2455
; %bb.2275:                             ;   in Loop: Header=BB4_1769 Depth=4
	s_mov_b32 s74, -1
	s_mov_b32 s75, exec_lo
	v_cmpx_eq_u16_e32 0x80, v9
; %bb.2276:                             ;   in Loop: Header=BB4_1769 Depth=4
	s_xor_b32 s74, exec_lo, -1
; %bb.2277:                             ;   in Loop: Header=BB4_1769 Depth=4
	s_or_b32 exec_lo, exec_lo, s75
	s_and_b32 s74, s74, exec_lo
	s_or_saveexec_b32 s17, s17
	v_mov_b32_e32 v10, 0x7f800001
	s_xor_b32 exec_lo, exec_lo, s17
	s_cbranch_execnz .LBB4_2456
.LBB4_2278:                             ;   in Loop: Header=BB4_1769 Depth=4
	s_or_b32 exec_lo, exec_lo, s17
	s_and_saveexec_b32 s17, s74
	s_cbranch_execz .LBB4_2280
.LBB4_2279:                             ;   in Loop: Header=BB4_1769 Depth=4
	v_bfe_u32 v10, v15, 16, 3
	v_bfe_u32 v92, v15, 19, 4
	v_lshlrev_b32_sdwa v93, v41, v15 dst_sel:DWORD dst_unused:UNUSED_PAD src0_sel:DWORD src1_sel:WORD_1
	v_ffbh_u32_e32 v90, v10
	v_cmp_eq_u32_e32 vcc_lo, 0, v92
	v_min_u32_e32 v90, 32, v90
	v_subrev_nc_u32_e32 v91, 28, v90
	v_sub_nc_u32_e32 v90, 29, v90
	v_lshlrev_b32_sdwa v91, v91, v15 dst_sel:DWORD dst_unused:UNUSED_PAD src0_sel:DWORD src1_sel:WORD_1
	v_cndmask_b32_e32 v90, v92, v90, vcc_lo
	v_and_b32_e32 v91, 7, v91
	v_lshl_add_u32 v90, v90, 23, 0x3b800000
	v_cndmask_b32_e32 v10, v10, v91, vcc_lo
	v_and_b32_e32 v91, 0x80000000, v93
	v_lshlrev_b32_e32 v10, 20, v10
	v_or3_b32 v10, v91, v90, v10
.LBB4_2280:                             ;   in Loop: Header=BB4_1769 Depth=4
	s_or_b32 exec_lo, exec_lo, s17
	v_and_b32_sdwa v91, v11, v40 dst_sel:DWORD dst_unused:UNUSED_PAD src0_sel:WORD_1 src1_sel:DWORD
	s_mov_b32 s17, 0
	s_mov_b32 s74, exec_lo
	v_cmpx_lt_i16_e32 0x7f, v91
	s_xor_b32 s74, exec_lo, s74
	s_cbranch_execz .LBB4_2457
; %bb.2281:                             ;   in Loop: Header=BB4_1769 Depth=4
	s_mov_b32 s17, -1
	s_mov_b32 s75, exec_lo
	v_cmpx_eq_u16_e32 0x80, v91
; %bb.2282:                             ;   in Loop: Header=BB4_1769 Depth=4
	s_xor_b32 s17, exec_lo, -1
; %bb.2283:                             ;   in Loop: Header=BB4_1769 Depth=4
	s_or_b32 exec_lo, exec_lo, s75
	s_and_b32 s17, s17, exec_lo
                                        ; implicit-def: $vgpr91
	s_or_saveexec_b32 s74, s74
	v_mov_b32_e32 v90, 0x7f800001
	s_xor_b32 exec_lo, exec_lo, s74
	s_cbranch_execnz .LBB4_2458
.LBB4_2284:                             ;   in Loop: Header=BB4_1769 Depth=4
	s_or_b32 exec_lo, exec_lo, s74
	s_and_saveexec_b32 s74, s17
.LBB4_2285:                             ;   in Loop: Header=BB4_1769 Depth=4
	v_mov_b32_e32 v90, v8
.LBB4_2286:                             ;   in Loop: Header=BB4_1769 Depth=4
	s_or_b32 exec_lo, exec_lo, s74
	v_max_f32_e32 v90, v90, v90
	v_max_f32_e32 v10, v10, v10
	s_mov_b32 s74, 0
	v_max_f32_e32 v10, v10, v90
.LBB4_2287:                             ;   in Loop: Header=BB4_1769 Depth=4
	s_and_b32 vcc_lo, exec_lo, s74
	s_cbranch_vccz .LBB4_2301
; %bb.2288:                             ;   in Loop: Header=BB4_1769 Depth=4
	s_mov_b32 s17, 0
	s_mov_b32 s74, exec_lo
	v_cmpx_lt_i16_e32 0x7f, v9
	s_xor_b32 s74, exec_lo, s74
	s_cbranch_execz .LBB4_2459
; %bb.2289:                             ;   in Loop: Header=BB4_1769 Depth=4
	s_mov_b32 s17, -1
	s_mov_b32 s75, exec_lo
	v_cmpx_eq_u16_e32 0x80, v9
; %bb.2290:                             ;   in Loop: Header=BB4_1769 Depth=4
	s_xor_b32 s17, exec_lo, -1
; %bb.2291:                             ;   in Loop: Header=BB4_1769 Depth=4
	s_or_b32 exec_lo, exec_lo, s75
	s_and_b32 s17, s17, exec_lo
                                        ; implicit-def: $vgpr9
	s_or_saveexec_b32 s74, s74
	v_mov_b32_e32 v10, 0x7f800001
	s_xor_b32 exec_lo, exec_lo, s74
	s_cbranch_execnz .LBB4_2460
.LBB4_2292:                             ;   in Loop: Header=BB4_1769 Depth=4
	s_or_b32 exec_lo, exec_lo, s74
	s_and_saveexec_b32 s74, s17
	s_cbranch_execz .LBB4_2294
.LBB4_2293:                             ;   in Loop: Header=BB4_1769 Depth=4
	v_bfe_u32 v9, v15, 16, 3
	v_bfe_u32 v91, v15, 19, 4
	v_lshlrev_b32_sdwa v92, v41, v15 dst_sel:DWORD dst_unused:UNUSED_PAD src0_sel:DWORD src1_sel:WORD_1
	v_ffbh_u32_e32 v10, v9
	v_cmp_eq_u32_e32 vcc_lo, 0, v91
	v_min_u32_e32 v10, 32, v10
	v_subrev_nc_u32_e32 v90, 28, v10
	v_sub_nc_u32_e32 v10, 29, v10
	v_lshlrev_b32_sdwa v90, v90, v15 dst_sel:DWORD dst_unused:UNUSED_PAD src0_sel:DWORD src1_sel:WORD_1
	v_cndmask_b32_e32 v10, v91, v10, vcc_lo
	v_and_b32_e32 v90, 7, v90
	v_lshl_add_u32 v10, v10, 23, 0x3b800000
	v_cndmask_b32_e32 v9, v9, v90, vcc_lo
	v_and_b32_e32 v90, 0x80000000, v92
	v_lshlrev_b32_e32 v9, 20, v9
	v_or3_b32 v10, v90, v10, v9
.LBB4_2294:                             ;   in Loop: Header=BB4_1769 Depth=4
	s_or_b32 exec_lo, exec_lo, s74
	v_and_b32_sdwa v90, v11, v40 dst_sel:DWORD dst_unused:UNUSED_PAD src0_sel:WORD_1 src1_sel:DWORD
	s_mov_b32 s17, 0
	s_mov_b32 s74, exec_lo
	v_cmpx_lt_i16_e32 0x7f, v90
	s_xor_b32 s74, exec_lo, s74
	s_cbranch_execz .LBB4_2461
; %bb.2295:                             ;   in Loop: Header=BB4_1769 Depth=4
	s_mov_b32 s17, -1
	s_mov_b32 s75, exec_lo
	v_cmpx_eq_u16_e32 0x80, v90
; %bb.2296:                             ;   in Loop: Header=BB4_1769 Depth=4
	s_xor_b32 s17, exec_lo, -1
; %bb.2297:                             ;   in Loop: Header=BB4_1769 Depth=4
	s_or_b32 exec_lo, exec_lo, s75
	s_and_b32 s17, s17, exec_lo
                                        ; implicit-def: $vgpr90
	s_or_saveexec_b32 s74, s74
	v_mov_b32_e32 v9, 0x7f800001
	s_xor_b32 exec_lo, exec_lo, s74
	s_cbranch_execnz .LBB4_2462
.LBB4_2298:                             ;   in Loop: Header=BB4_1769 Depth=4
	s_or_b32 exec_lo, exec_lo, s74
	s_and_saveexec_b32 s74, s17
.LBB4_2299:                             ;   in Loop: Header=BB4_1769 Depth=4
	v_mov_b32_e32 v9, v8
.LBB4_2300:                             ;   in Loop: Header=BB4_1769 Depth=4
	s_or_b32 exec_lo, exec_lo, s74
	v_max_f32_e32 v8, v9, v9
	v_max_f32_e32 v9, v10, v10
	v_min_f32_e32 v10, v9, v8
.LBB4_2301:                             ;   in Loop: Header=BB4_1769 Depth=4
	v_and_b32_e32 v8, 0x7f800000, v10
	v_mov_b32_e32 v90, 0x80
	s_mov_b32 s74, exec_lo
	v_cmpx_ne_u32_e32 0x7f800000, v8
	s_cbranch_execz .LBB4_2309
; %bb.2302:                             ;   in Loop: Header=BB4_1769 Depth=4
	v_mov_b32_e32 v90, 0
	s_mov_b32 s75, exec_lo
	v_cmpx_ne_u32_e32 0, v10
	s_cbranch_execz .LBB4_2308
; %bb.2303:                             ;   in Loop: Header=BB4_1769 Depth=4
	v_bfe_u32 v8, v10, 23, 8
	v_and_b32_e32 v9, 0x7fffff, v10
	v_sub_nc_u32_e32 v90, 0x78, v8
	v_cmp_gt_u32_e32 vcc_lo, 0x79, v8
	v_or_b32_e32 v91, 0x800000, v9
	v_cndmask_b32_e32 v90, 0, v90, vcc_lo
	v_cmp_eq_u32_e32 vcc_lo, 0, v8
	v_add_nc_u32_e32 v8, 0xffffff89, v8
	v_cndmask_b32_e64 v90, v90, 0x77, vcc_lo
	v_cndmask_b32_e32 v9, v91, v9, vcc_lo
	v_cndmask_b32_e64 v8, v8, 0xffffff8a, vcc_lo
	v_lshl_add_u32 v91, 0x100000, v90, -1
	v_lshrrev_b32_e32 v92, v90, v9
	v_lshlrev_b32_e64 v94, v90, 0x80000
	v_add_nc_u32_e32 v90, v90, v8
	v_and_b32_e32 v9, v91, v9
	v_bfe_u32 v93, v92, 20, 1
	v_cmp_eq_u32_e64 s17, v9, v94
	v_add_nc_u32_e32 v91, -1, v93
	v_cndmask_b32_e64 v9, 0, v91, s17
	v_lshrrev_b32_e32 v91, 23, v92
	s_mov_b32 s17, exec_lo
	v_add_nc_u32_e32 v9, v9, v92
	v_xor_b32_e32 v91, 1, v91
	v_and_b32_e32 v8, 0xfffff, v9
	v_add_nc_u32_e32 v9, v8, v92
                                        ; implicit-def: $vgpr8
	v_cmpx_ne_u32_e64 v90, v91
	s_xor_b32 s17, exec_lo, s17
; %bb.2304:                             ;   in Loop: Header=BB4_1769 Depth=4
	v_cmp_lt_u32_e32 vcc_lo, 0xffffff, v9
	v_sub_nc_u32_e32 v8, v90, v91
	v_cndmask_b32_e64 v90, 0, 1, vcc_lo
	v_add_co_ci_u32_e64 v8, null, 0, v8, vcc_lo
	v_lshrrev_b32_e32 v9, v90, v9
; %bb.2305:                             ;   in Loop: Header=BB4_1769 Depth=4
	s_andn2_saveexec_b32 s17, s17
; %bb.2306:                             ;   in Loop: Header=BB4_1769 Depth=4
	v_bfe_u32 v8, v9, 23, 1
; %bb.2307:                             ;   in Loop: Header=BB4_1769 Depth=4
	s_or_b32 exec_lo, exec_lo, s17
	v_lshrrev_b32_e32 v9, 20, v9
	v_min_i32_e32 v90, 15, v8
	v_cmp_gt_i32_e32 vcc_lo, 16, v8
	v_and_b32_sdwa v10, v10, v118 dst_sel:DWORD dst_unused:UNUSED_PAD src0_sel:BYTE_3 src1_sel:DWORD
	v_lshlrev_b32_e32 v90, 3, v90
	v_cndmask_b32_e32 v9, 7, v9, vcc_lo
	v_and_b32_e32 v90, 0xf8, v90
	v_and_b32_e32 v91, 7, v9
	v_or_b32_e32 v8, v8, v9
	v_or3_b32 v9, v90, v10, v91
	v_cmp_ne_u32_e32 vcc_lo, 0, v8
	v_cndmask_b32_e32 v90, 0, v9, vcc_lo
.LBB4_2308:                             ;   in Loop: Header=BB4_1769 Depth=4
	s_or_b32 exec_lo, exec_lo, s75
.LBB4_2309:                             ;   in Loop: Header=BB4_1769 Depth=4
	s_or_b32 exec_lo, exec_lo, s74
	v_bfe_u32 v8, v11, 24, 3
	v_bfe_u32 v91, v11, 27, 4
	v_cmp_gt_i16_sdwa s74, v15, v117 src0_sel:BYTE_3 src1_sel:DWORD
	s_mov_b32 s17, -1
	v_ffbh_u32_e32 v9, v8
	v_cmp_eq_u32_e32 vcc_lo, 0, v91
	v_min_u32_e32 v9, 32, v9
	v_subrev_nc_u32_e32 v10, 28, v9
	v_sub_nc_u32_e32 v9, 29, v9
	v_lshlrev_b32_sdwa v10, v10, v11 dst_sel:DWORD dst_unused:UNUSED_PAD src0_sel:DWORD src1_sel:BYTE_3
	v_cndmask_b32_e32 v9, v91, v9, vcc_lo
	v_and_b32_e32 v10, 7, v10
	v_lshl_add_u32 v9, v9, 23, 0x3b800000
	v_cndmask_b32_e32 v8, v8, v10, vcc_lo
	v_and_b32_e32 v10, 0x80000000, v11
	s_and_b32 vcc_lo, exec_lo, s73
	v_lshlrev_b32_e32 v8, 20, v8
	v_or3_b32 v91, v10, v9, v8
                                        ; implicit-def: $vgpr8
	s_cbranch_vccz .LBB4_2323
; %bb.2310:                             ;   in Loop: Header=BB4_1769 Depth=4
	s_mov_b32 s17, 0
	s_and_saveexec_b32 s75, s74
	s_xor_b32 s74, exec_lo, s75
	s_cbranch_execz .LBB4_2463
; %bb.2311:                             ;   in Loop: Header=BB4_1769 Depth=4
	v_cmp_eq_u16_sdwa s76, v15, v118 src0_sel:BYTE_3 src1_sel:DWORD
	s_mov_b32 s17, -1
	s_and_saveexec_b32 s75, s76
; %bb.2312:                             ;   in Loop: Header=BB4_1769 Depth=4
	s_xor_b32 s17, exec_lo, -1
; %bb.2313:                             ;   in Loop: Header=BB4_1769 Depth=4
	s_or_b32 exec_lo, exec_lo, s75
	s_and_b32 s17, s17, exec_lo
	s_or_saveexec_b32 s74, s74
	v_mov_b32_e32 v8, 0x7f800001
	s_xor_b32 exec_lo, exec_lo, s74
	s_cbranch_execnz .LBB4_2464
.LBB4_2314:                             ;   in Loop: Header=BB4_1769 Depth=4
	s_or_b32 exec_lo, exec_lo, s74
	s_and_saveexec_b32 s74, s17
	s_cbranch_execz .LBB4_2316
.LBB4_2315:                             ;   in Loop: Header=BB4_1769 Depth=4
	v_bfe_u32 v8, v15, 24, 3
	v_bfe_u32 v92, v15, 27, 4
	v_ffbh_u32_e32 v9, v8
	v_cmp_eq_u32_e32 vcc_lo, 0, v92
	v_min_u32_e32 v9, 32, v9
	v_subrev_nc_u32_e32 v10, 28, v9
	v_sub_nc_u32_e32 v9, 29, v9
	v_lshlrev_b32_sdwa v10, v10, v15 dst_sel:DWORD dst_unused:UNUSED_PAD src0_sel:DWORD src1_sel:BYTE_3
	v_cndmask_b32_e32 v9, v92, v9, vcc_lo
	v_and_b32_e32 v10, 7, v10
	v_lshl_add_u32 v9, v9, 23, 0x3b800000
	v_cndmask_b32_e32 v8, v8, v10, vcc_lo
	v_and_b32_e32 v10, 0x80000000, v15
	v_lshlrev_b32_e32 v8, 20, v8
	v_or3_b32 v8, v10, v9, v8
.LBB4_2316:                             ;   in Loop: Header=BB4_1769 Depth=4
	s_or_b32 exec_lo, exec_lo, s74
	v_cmp_gt_i16_sdwa s74, v11, v117 src0_sel:BYTE_3 src1_sel:DWORD
	s_mov_b32 s17, 0
	s_and_saveexec_b32 s75, s74
	s_xor_b32 s74, exec_lo, s75
	s_cbranch_execz .LBB4_2465
; %bb.2317:                             ;   in Loop: Header=BB4_1769 Depth=4
	v_cmp_eq_u16_sdwa s76, v11, v118 src0_sel:BYTE_3 src1_sel:DWORD
	s_mov_b32 s17, -1
	s_and_saveexec_b32 s75, s76
; %bb.2318:                             ;   in Loop: Header=BB4_1769 Depth=4
	s_xor_b32 s17, exec_lo, -1
; %bb.2319:                             ;   in Loop: Header=BB4_1769 Depth=4
	s_or_b32 exec_lo, exec_lo, s75
	s_and_b32 s17, s17, exec_lo
	s_or_saveexec_b32 s74, s74
	v_mov_b32_e32 v9, 0x7f800001
	s_xor_b32 exec_lo, exec_lo, s74
	s_cbranch_execnz .LBB4_2466
.LBB4_2320:                             ;   in Loop: Header=BB4_1769 Depth=4
	s_or_b32 exec_lo, exec_lo, s74
	s_and_saveexec_b32 s74, s17
.LBB4_2321:                             ;   in Loop: Header=BB4_1769 Depth=4
	v_mov_b32_e32 v9, v91
.LBB4_2322:                             ;   in Loop: Header=BB4_1769 Depth=4
	s_or_b32 exec_lo, exec_lo, s74
	v_max_f32_e32 v9, v9, v9
	v_max_f32_e32 v8, v8, v8
	s_mov_b32 s17, 0
	v_max_f32_e32 v8, v8, v9
.LBB4_2323:                             ;   in Loop: Header=BB4_1769 Depth=4
	s_and_b32 vcc_lo, exec_lo, s17
	s_cbranch_vccz .LBB4_2337
; %bb.2324:                             ;   in Loop: Header=BB4_1769 Depth=4
	v_cmp_gt_i16_sdwa s74, v15, v117 src0_sel:BYTE_3 src1_sel:DWORD
	s_mov_b32 s17, 0
	s_and_saveexec_b32 s75, s74
	s_xor_b32 s74, exec_lo, s75
	s_cbranch_execz .LBB4_2467
; %bb.2325:                             ;   in Loop: Header=BB4_1769 Depth=4
	v_cmp_eq_u16_sdwa s76, v15, v118 src0_sel:BYTE_3 src1_sel:DWORD
	s_mov_b32 s17, -1
	s_and_saveexec_b32 s75, s76
; %bb.2326:                             ;   in Loop: Header=BB4_1769 Depth=4
	s_xor_b32 s17, exec_lo, -1
; %bb.2327:                             ;   in Loop: Header=BB4_1769 Depth=4
	s_or_b32 exec_lo, exec_lo, s75
	s_and_b32 s17, s17, exec_lo
	s_or_saveexec_b32 s74, s74
	v_mov_b32_e32 v92, 0x7f800001
	s_xor_b32 exec_lo, exec_lo, s74
	s_cbranch_execnz .LBB4_2468
.LBB4_2328:                             ;   in Loop: Header=BB4_1769 Depth=4
	s_or_b32 exec_lo, exec_lo, s74
	s_and_saveexec_b32 s74, s17
	s_cbranch_execz .LBB4_2330
.LBB4_2329:                             ;   in Loop: Header=BB4_1769 Depth=4
	v_bfe_u32 v8, v15, 24, 3
	v_bfe_u32 v92, v15, 27, 4
	v_ffbh_u32_e32 v9, v8
	v_cmp_eq_u32_e32 vcc_lo, 0, v92
	v_min_u32_e32 v9, 32, v9
	v_subrev_nc_u32_e32 v10, 28, v9
	v_sub_nc_u32_e32 v9, 29, v9
	v_lshlrev_b32_sdwa v10, v10, v15 dst_sel:DWORD dst_unused:UNUSED_PAD src0_sel:DWORD src1_sel:BYTE_3
	v_cndmask_b32_e32 v9, v92, v9, vcc_lo
	v_and_b32_e32 v10, 7, v10
	v_lshl_add_u32 v9, v9, 23, 0x3b800000
	v_cndmask_b32_e32 v8, v8, v10, vcc_lo
	v_and_b32_e32 v10, 0x80000000, v15
	v_lshlrev_b32_e32 v8, 20, v8
	v_or3_b32 v92, v10, v9, v8
.LBB4_2330:                             ;   in Loop: Header=BB4_1769 Depth=4
	s_or_b32 exec_lo, exec_lo, s74
	v_cmp_gt_i16_sdwa s74, v11, v117 src0_sel:BYTE_3 src1_sel:DWORD
	s_mov_b32 s17, 0
	s_and_saveexec_b32 s75, s74
	s_xor_b32 s74, exec_lo, s75
	s_cbranch_execz .LBB4_2469
; %bb.2331:                             ;   in Loop: Header=BB4_1769 Depth=4
	v_cmp_eq_u16_sdwa s76, v11, v118 src0_sel:BYTE_3 src1_sel:DWORD
	s_mov_b32 s17, -1
	s_and_saveexec_b32 s75, s76
; %bb.2332:                             ;   in Loop: Header=BB4_1769 Depth=4
	s_xor_b32 s17, exec_lo, -1
; %bb.2333:                             ;   in Loop: Header=BB4_1769 Depth=4
	s_or_b32 exec_lo, exec_lo, s75
	s_and_b32 s17, s17, exec_lo
                                        ; implicit-def: $vgpr8_vgpr9_vgpr10_vgpr11
	s_or_saveexec_b32 s74, s74
	v_mov_b32_e32 v8, 0x7f800001
	s_xor_b32 exec_lo, exec_lo, s74
	s_cbranch_execnz .LBB4_2470
.LBB4_2334:                             ;   in Loop: Header=BB4_1769 Depth=4
	s_or_b32 exec_lo, exec_lo, s74
	s_and_saveexec_b32 s74, s17
.LBB4_2335:                             ;   in Loop: Header=BB4_1769 Depth=4
	v_mov_b32_e32 v8, v91
.LBB4_2336:                             ;   in Loop: Header=BB4_1769 Depth=4
	s_or_b32 exec_lo, exec_lo, s74
	v_max_f32_e32 v8, v8, v8
	v_max_f32_e32 v9, v92, v92
	v_min_f32_e32 v8, v9, v8
.LBB4_2337:                             ;   in Loop: Header=BB4_1769 Depth=4
	v_and_b32_e32 v9, 0x7f800000, v8
	v_cmp_ne_u32_e32 vcc_lo, 0x7f800000, v9
	v_mov_b32_e32 v9, 0x8000
	s_and_saveexec_b32 s74, vcc_lo
	s_cbranch_execz .LBB4_1768
; %bb.2338:                             ;   in Loop: Header=BB4_1769 Depth=4
	v_mov_b32_e32 v9, 0
	s_mov_b32 s75, exec_lo
	v_cmpx_ne_u32_e32 0, v8
	s_cbranch_execz .LBB4_1767
; %bb.2339:                             ;   in Loop: Header=BB4_1769 Depth=4
	v_bfe_u32 v9, v8, 23, 8
	v_and_b32_e32 v10, 0x7fffff, v8
	v_sub_nc_u32_e32 v11, 0x78, v9
	v_cmp_gt_u32_e32 vcc_lo, 0x79, v9
	v_or_b32_e32 v15, 0x800000, v10
	v_cndmask_b32_e32 v11, 0, v11, vcc_lo
	v_cmp_eq_u32_e32 vcc_lo, 0, v9
	v_add_nc_u32_e32 v9, 0xffffff89, v9
	v_cndmask_b32_e64 v11, v11, 0x77, vcc_lo
	v_cndmask_b32_e32 v10, v15, v10, vcc_lo
	v_cndmask_b32_e64 v9, v9, 0xffffff8a, vcc_lo
	v_lshl_add_u32 v15, 0x100000, v11, -1
	v_lshrrev_b32_e32 v91, v11, v10
	v_lshlrev_b32_e64 v93, v11, 0x80000
	v_add_nc_u32_e32 v11, v11, v9
	v_and_b32_e32 v10, v15, v10
	v_bfe_u32 v92, v91, 20, 1
	v_cmp_eq_u32_e64 s17, v10, v93
	v_add_nc_u32_e32 v15, -1, v92
	v_cndmask_b32_e64 v10, 0, v15, s17
	v_lshrrev_b32_e32 v15, 23, v91
	s_mov_b32 s17, exec_lo
	v_add_nc_u32_e32 v10, v10, v91
	v_xor_b32_e32 v15, 1, v15
	v_and_b32_e32 v9, 0xfffff, v10
	v_add_nc_u32_e32 v10, v9, v91
                                        ; implicit-def: $vgpr9
	v_cmpx_ne_u32_e64 v11, v15
	s_xor_b32 s17, exec_lo, s17
; %bb.2340:                             ;   in Loop: Header=BB4_1769 Depth=4
	v_cmp_lt_u32_e32 vcc_lo, 0xffffff, v10
	v_sub_nc_u32_e32 v9, v11, v15
	v_cndmask_b32_e64 v11, 0, 1, vcc_lo
	v_add_co_ci_u32_e64 v9, null, 0, v9, vcc_lo
	v_lshrrev_b32_e32 v10, v11, v10
; %bb.2341:                             ;   in Loop: Header=BB4_1769 Depth=4
	s_andn2_saveexec_b32 s17, s17
	s_cbranch_execz .LBB4_1766
; %bb.2342:                             ;   in Loop: Header=BB4_1769 Depth=4
	v_bfe_u32 v9, v10, 23, 1
	s_branch .LBB4_1766
.LBB4_2343:                             ;   in Loop: Header=BB4_1769 Depth=4
	s_or_saveexec_b32 s74, s74
	v_mov_b32_e32 v96, 0x7f800001
	s_xor_b32 exec_lo, exec_lo, s74
	s_cbranch_execz .LBB4_1774
.LBB4_2344:                             ;   in Loop: Header=BB4_1769 Depth=4
	v_cmp_ne_u16_sdwa s75, v12, v2 src0_sel:BYTE_0 src1_sel:DWORD
	v_mov_b32_e32 v96, 0
	s_andn2_b32 s17, s17, exec_lo
	s_and_b32 s75, s75, exec_lo
	s_or_b32 s17, s17, s75
	s_or_b32 exec_lo, exec_lo, s74
	s_and_saveexec_b32 s74, s17
	s_cbranch_execnz .LBB4_1775
	s_branch .LBB4_1776
.LBB4_2345:                             ;   in Loop: Header=BB4_1769 Depth=4
	s_or_saveexec_b32 s74, s74
	v_mov_b32_e32 v97, 0x7f800001
	s_xor_b32 exec_lo, exec_lo, s74
	s_cbranch_execz .LBB4_1780
.LBB4_2346:                             ;   in Loop: Header=BB4_1769 Depth=4
	v_cmp_ne_u16_sdwa s75, v8, v2 src0_sel:BYTE_0 src1_sel:DWORD
	v_mov_b32_e32 v97, 0
	s_andn2_b32 s17, s17, exec_lo
	s_and_b32 s75, s75, exec_lo
	s_or_b32 s17, s17, s75
	s_or_b32 exec_lo, exec_lo, s74
	s_and_saveexec_b32 s74, s17
	s_cbranch_execnz .LBB4_1781
	s_branch .LBB4_1782
.LBB4_2347:                             ;   in Loop: Header=BB4_1769 Depth=4
	s_or_saveexec_b32 s74, s74
	v_mov_b32_e32 v96, 0x7f800001
	s_xor_b32 exec_lo, exec_lo, s74
	s_cbranch_execz .LBB4_1788
.LBB4_2348:                             ;   in Loop: Header=BB4_1769 Depth=4
	v_cmp_ne_u16_sdwa s75, v12, v2 src0_sel:BYTE_0 src1_sel:DWORD
	v_mov_b32_e32 v96, 0
	s_andn2_b32 s17, s17, exec_lo
	s_and_b32 s75, s75, exec_lo
	s_or_b32 s17, s17, s75
	s_or_b32 exec_lo, exec_lo, s74
	s_and_saveexec_b32 s74, s17
	s_cbranch_execnz .LBB4_1789
	s_branch .LBB4_1790
.LBB4_2349:                             ;   in Loop: Header=BB4_1769 Depth=4
	s_or_saveexec_b32 s74, s74
	v_mov_b32_e32 v97, 0x7f800001
	s_xor_b32 exec_lo, exec_lo, s74
	s_cbranch_execz .LBB4_1794
.LBB4_2350:                             ;   in Loop: Header=BB4_1769 Depth=4
	v_cmp_ne_u16_sdwa s75, v8, v2 src0_sel:BYTE_0 src1_sel:DWORD
	v_mov_b32_e32 v97, 0
	s_andn2_b32 s17, s17, exec_lo
	s_and_b32 s75, s75, exec_lo
	s_or_b32 s17, s17, s75
	s_or_b32 exec_lo, exec_lo, s74
	s_and_saveexec_b32 s74, s17
	s_cbranch_execnz .LBB4_1795
	s_branch .LBB4_1796
.LBB4_2351:                             ;   in Loop: Header=BB4_1769 Depth=4
	s_or_saveexec_b32 s74, s74
	v_mov_b32_e32 v97, 0x7f800001
	s_xor_b32 exec_lo, exec_lo, s74
	s_cbranch_execz .LBB4_1810
.LBB4_2352:                             ;   in Loop: Header=BB4_1769 Depth=4
	v_cmp_ne_u16_sdwa s75, v12, v2 src0_sel:BYTE_1 src1_sel:DWORD
	v_mov_b32_e32 v97, 0
	s_andn2_b32 s17, s17, exec_lo
	s_and_b32 s75, s75, exec_lo
	s_or_b32 s17, s17, s75
	s_or_b32 exec_lo, exec_lo, s74
	s_and_saveexec_b32 s74, s17
	s_cbranch_execnz .LBB4_1811
	s_branch .LBB4_1812
.LBB4_2353:                             ;   in Loop: Header=BB4_1769 Depth=4
	s_or_saveexec_b32 s74, s74
	v_mov_b32_e32 v74, 0x7f800001
	s_xor_b32 exec_lo, exec_lo, s74
	s_cbranch_execz .LBB4_1816
.LBB4_2354:                             ;   in Loop: Header=BB4_1769 Depth=4
	v_cmp_ne_u16_sdwa s75, v8, v2 src0_sel:BYTE_1 src1_sel:DWORD
	v_mov_b32_e32 v74, 0
	s_andn2_b32 s17, s17, exec_lo
	s_and_b32 s75, s75, exec_lo
	s_or_b32 s17, s17, s75
	s_or_b32 exec_lo, exec_lo, s74
	s_and_saveexec_b32 s74, s17
	s_cbranch_execnz .LBB4_1817
	s_branch .LBB4_1818
.LBB4_2355:                             ;   in Loop: Header=BB4_1769 Depth=4
	s_or_saveexec_b32 s74, s74
	v_mov_b32_e32 v97, 0x7f800001
	s_xor_b32 exec_lo, exec_lo, s74
	s_cbranch_execz .LBB4_1824
.LBB4_2356:                             ;   in Loop: Header=BB4_1769 Depth=4
	v_cmp_ne_u16_sdwa s75, v12, v2 src0_sel:BYTE_1 src1_sel:DWORD
	v_mov_b32_e32 v97, 0
	s_andn2_b32 s17, s17, exec_lo
	s_and_b32 s75, s75, exec_lo
	s_or_b32 s17, s17, s75
	s_or_b32 exec_lo, exec_lo, s74
	s_and_saveexec_b32 s74, s17
	s_cbranch_execnz .LBB4_1825
	s_branch .LBB4_1826
.LBB4_2357:                             ;   in Loop: Header=BB4_1769 Depth=4
	s_or_saveexec_b32 s74, s74
	v_mov_b32_e32 v74, 0x7f800001
	s_xor_b32 exec_lo, exec_lo, s74
	s_cbranch_execz .LBB4_1830
.LBB4_2358:                             ;   in Loop: Header=BB4_1769 Depth=4
	v_cmp_ne_u16_sdwa s75, v8, v2 src0_sel:BYTE_1 src1_sel:DWORD
	v_mov_b32_e32 v74, 0
	s_andn2_b32 s17, s17, exec_lo
	s_and_b32 s75, s75, exec_lo
	s_or_b32 s17, s17, s75
	s_or_b32 exec_lo, exec_lo, s74
	s_and_saveexec_b32 s74, s17
	s_cbranch_execnz .LBB4_1831
	s_branch .LBB4_1832
.LBB4_2359:                             ;   in Loop: Header=BB4_1769 Depth=4
	s_or_saveexec_b32 s17, s17
	v_mov_b32_e32 v75, 0x7f800001
	s_xor_b32 exec_lo, exec_lo, s17
	s_cbranch_execz .LBB4_1846
.LBB4_2360:                             ;   in Loop: Header=BB4_1769 Depth=4
	v_cmp_ne_u16_e32 vcc_lo, 0, v74
	v_mov_b32_e32 v75, 0
	s_andn2_b32 s74, s74, exec_lo
	s_and_b32 s75, vcc_lo, exec_lo
	s_or_b32 s74, s74, s75
	s_or_b32 exec_lo, exec_lo, s17
	s_and_saveexec_b32 s17, s74
	s_cbranch_execnz .LBB4_1847
	s_branch .LBB4_1848
.LBB4_2361:                             ;   in Loop: Header=BB4_1769 Depth=4
	s_or_saveexec_b32 s74, s74
	v_mov_b32_e32 v76, 0x7f800001
	s_xor_b32 exec_lo, exec_lo, s74
	s_cbranch_execz .LBB4_1852
.LBB4_2362:                             ;   in Loop: Header=BB4_1769 Depth=4
	v_cmp_ne_u16_e32 vcc_lo, 0, v77
	v_mov_b32_e32 v76, 0
	s_andn2_b32 s17, s17, exec_lo
	s_and_b32 s75, vcc_lo, exec_lo
	s_or_b32 s17, s17, s75
	s_or_b32 exec_lo, exec_lo, s74
	s_and_saveexec_b32 s74, s17
	s_cbranch_execnz .LBB4_1853
	s_branch .LBB4_1854
.LBB4_2363:                             ;   in Loop: Header=BB4_1769 Depth=4
	s_or_saveexec_b32 s74, s74
	v_mov_b32_e32 v75, 0x7f800001
	s_xor_b32 exec_lo, exec_lo, s74
	s_cbranch_execz .LBB4_1860
.LBB4_2364:                             ;   in Loop: Header=BB4_1769 Depth=4
	v_cmp_ne_u16_e32 vcc_lo, 0, v74
	v_mov_b32_e32 v75, 0
	s_andn2_b32 s17, s17, exec_lo
	s_and_b32 s75, vcc_lo, exec_lo
	s_or_b32 s17, s17, s75
	s_or_b32 exec_lo, exec_lo, s74
	s_and_saveexec_b32 s74, s17
	s_cbranch_execnz .LBB4_1861
	s_branch .LBB4_1862
.LBB4_2365:                             ;   in Loop: Header=BB4_1769 Depth=4
	s_or_saveexec_b32 s74, s74
	v_mov_b32_e32 v74, 0x7f800001
	s_xor_b32 exec_lo, exec_lo, s74
	s_cbranch_execz .LBB4_1866
.LBB4_2366:                             ;   in Loop: Header=BB4_1769 Depth=4
	v_cmp_ne_u16_e32 vcc_lo, 0, v76
	v_mov_b32_e32 v74, 0
	s_andn2_b32 s17, s17, exec_lo
	s_and_b32 s75, vcc_lo, exec_lo
	s_or_b32 s17, s17, s75
	s_or_b32 exec_lo, exec_lo, s74
	s_and_saveexec_b32 s74, s17
	s_cbranch_execnz .LBB4_1867
	s_branch .LBB4_1868
.LBB4_2367:                             ;   in Loop: Header=BB4_1769 Depth=4
	s_or_saveexec_b32 s74, s74
	v_mov_b32_e32 v75, 0x7f800001
	s_xor_b32 exec_lo, exec_lo, s74
	s_cbranch_execz .LBB4_1882
.LBB4_2368:                             ;   in Loop: Header=BB4_1769 Depth=4
	v_cmp_ne_u16_sdwa s75, v12, v2 src0_sel:BYTE_3 src1_sel:DWORD
	v_mov_b32_e32 v75, 0
	s_andn2_b32 s17, s17, exec_lo
	s_and_b32 s75, s75, exec_lo
	s_or_b32 s17, s17, s75
	s_or_b32 exec_lo, exec_lo, s74
	s_and_saveexec_b32 s74, s17
	s_cbranch_execnz .LBB4_1883
	s_branch .LBB4_1884
.LBB4_2369:                             ;   in Loop: Header=BB4_1769 Depth=4
	s_or_saveexec_b32 s74, s74
	v_mov_b32_e32 v76, 0x7f800001
	s_xor_b32 exec_lo, exec_lo, s74
	s_cbranch_execz .LBB4_1888
.LBB4_2370:                             ;   in Loop: Header=BB4_1769 Depth=4
	v_cmp_ne_u16_sdwa s75, v8, v2 src0_sel:BYTE_3 src1_sel:DWORD
	v_mov_b32_e32 v76, 0
	s_andn2_b32 s17, s17, exec_lo
	s_and_b32 s75, s75, exec_lo
	s_or_b32 s17, s17, s75
	s_or_b32 exec_lo, exec_lo, s74
	s_and_saveexec_b32 s74, s17
	s_cbranch_execnz .LBB4_1889
	s_branch .LBB4_1890
.LBB4_2371:                             ;   in Loop: Header=BB4_1769 Depth=4
	s_or_saveexec_b32 s74, s74
	v_mov_b32_e32 v75, 0x7f800001
	s_xor_b32 exec_lo, exec_lo, s74
	s_cbranch_execz .LBB4_1896
.LBB4_2372:                             ;   in Loop: Header=BB4_1769 Depth=4
	v_cmp_ne_u16_sdwa s75, v12, v2 src0_sel:BYTE_3 src1_sel:DWORD
	v_mov_b32_e32 v75, 0
	s_andn2_b32 s17, s17, exec_lo
	s_and_b32 s75, s75, exec_lo
	s_or_b32 s17, s17, s75
	s_or_b32 exec_lo, exec_lo, s74
	s_and_saveexec_b32 s74, s17
	s_cbranch_execnz .LBB4_1897
	s_branch .LBB4_1898
.LBB4_2373:                             ;   in Loop: Header=BB4_1769 Depth=4
	s_or_saveexec_b32 s74, s74
	v_mov_b32_e32 v12, 0x7f800001
	s_xor_b32 exec_lo, exec_lo, s74
	s_cbranch_execz .LBB4_1902
.LBB4_2374:                             ;   in Loop: Header=BB4_1769 Depth=4
	v_cmp_ne_u16_sdwa s75, v8, v2 src0_sel:BYTE_3 src1_sel:DWORD
	v_mov_b32_e32 v12, 0
	s_andn2_b32 s17, s17, exec_lo
	s_and_b32 s75, s75, exec_lo
	s_or_b32 s17, s17, s75
	s_or_b32 exec_lo, exec_lo, s74
	s_and_saveexec_b32 s74, s17
	s_cbranch_execnz .LBB4_1903
	s_branch .LBB4_1904
.LBB4_2375:                             ;   in Loop: Header=BB4_1769 Depth=4
	s_or_saveexec_b32 s74, s74
	v_mov_b32_e32 v74, 0x7f800001
	s_xor_b32 exec_lo, exec_lo, s74
	s_cbranch_execz .LBB4_1918
.LBB4_2376:                             ;   in Loop: Header=BB4_1769 Depth=4
	v_cmp_ne_u16_sdwa s75, v13, v2 src0_sel:BYTE_0 src1_sel:DWORD
	v_mov_b32_e32 v74, 0
	s_andn2_b32 s17, s17, exec_lo
	s_and_b32 s75, s75, exec_lo
	s_or_b32 s17, s17, s75
	s_or_b32 exec_lo, exec_lo, s74
	s_and_saveexec_b32 s74, s17
	s_cbranch_execnz .LBB4_1919
	s_branch .LBB4_1920
.LBB4_2377:                             ;   in Loop: Header=BB4_1769 Depth=4
	s_or_saveexec_b32 s74, s74
	v_mov_b32_e32 v75, 0x7f800001
	s_xor_b32 exec_lo, exec_lo, s74
	s_cbranch_execz .LBB4_1924
.LBB4_2378:                             ;   in Loop: Header=BB4_1769 Depth=4
	v_cmp_ne_u16_sdwa s75, v9, v2 src0_sel:BYTE_0 src1_sel:DWORD
	v_mov_b32_e32 v75, 0
	s_andn2_b32 s17, s17, exec_lo
	s_and_b32 s75, s75, exec_lo
	s_or_b32 s17, s17, s75
	s_or_b32 exec_lo, exec_lo, s74
	s_and_saveexec_b32 s74, s17
	s_cbranch_execnz .LBB4_1925
	s_branch .LBB4_1926
.LBB4_2379:                             ;   in Loop: Header=BB4_1769 Depth=4
	s_or_saveexec_b32 s74, s74
	v_mov_b32_e32 v74, 0x7f800001
	s_xor_b32 exec_lo, exec_lo, s74
	s_cbranch_execz .LBB4_1932
.LBB4_2380:                             ;   in Loop: Header=BB4_1769 Depth=4
	v_cmp_ne_u16_sdwa s75, v13, v2 src0_sel:BYTE_0 src1_sel:DWORD
	v_mov_b32_e32 v74, 0
	s_andn2_b32 s17, s17, exec_lo
	s_and_b32 s75, s75, exec_lo
	s_or_b32 s17, s17, s75
	s_or_b32 exec_lo, exec_lo, s74
	s_and_saveexec_b32 s74, s17
	s_cbranch_execnz .LBB4_1933
	s_branch .LBB4_1934
.LBB4_2381:                             ;   in Loop: Header=BB4_1769 Depth=4
	s_or_saveexec_b32 s74, s74
	v_mov_b32_e32 v75, 0x7f800001
	s_xor_b32 exec_lo, exec_lo, s74
	s_cbranch_execz .LBB4_1938
.LBB4_2382:                             ;   in Loop: Header=BB4_1769 Depth=4
	v_cmp_ne_u16_sdwa s75, v9, v2 src0_sel:BYTE_0 src1_sel:DWORD
	v_mov_b32_e32 v75, 0
	s_andn2_b32 s17, s17, exec_lo
	s_and_b32 s75, s75, exec_lo
	s_or_b32 s17, s17, s75
	s_or_b32 exec_lo, exec_lo, s74
	s_and_saveexec_b32 s74, s17
	s_cbranch_execnz .LBB4_1939
	s_branch .LBB4_1940
.LBB4_2383:                             ;   in Loop: Header=BB4_1769 Depth=4
	s_or_saveexec_b32 s74, s74
	v_mov_b32_e32 v75, 0x7f800001
	s_xor_b32 exec_lo, exec_lo, s74
	s_cbranch_execz .LBB4_1954
.LBB4_2384:                             ;   in Loop: Header=BB4_1769 Depth=4
	v_cmp_ne_u16_sdwa s75, v13, v2 src0_sel:BYTE_1 src1_sel:DWORD
	v_mov_b32_e32 v75, 0
	s_andn2_b32 s17, s17, exec_lo
	s_and_b32 s75, s75, exec_lo
	s_or_b32 s17, s17, s75
	s_or_b32 exec_lo, exec_lo, s74
	s_and_saveexec_b32 s74, s17
	s_cbranch_execnz .LBB4_1955
	s_branch .LBB4_1956
.LBB4_2385:                             ;   in Loop: Header=BB4_1769 Depth=4
	s_or_saveexec_b32 s74, s74
	v_mov_b32_e32 v76, 0x7f800001
	s_xor_b32 exec_lo, exec_lo, s74
	s_cbranch_execz .LBB4_1960
.LBB4_2386:                             ;   in Loop: Header=BB4_1769 Depth=4
	v_cmp_ne_u16_sdwa s75, v9, v2 src0_sel:BYTE_1 src1_sel:DWORD
	v_mov_b32_e32 v76, 0
	s_andn2_b32 s17, s17, exec_lo
	s_and_b32 s75, s75, exec_lo
	s_or_b32 s17, s17, s75
	s_or_b32 exec_lo, exec_lo, s74
	s_and_saveexec_b32 s74, s17
	s_cbranch_execnz .LBB4_1961
	s_branch .LBB4_1962
.LBB4_2387:                             ;   in Loop: Header=BB4_1769 Depth=4
	s_or_saveexec_b32 s74, s74
	v_mov_b32_e32 v75, 0x7f800001
	s_xor_b32 exec_lo, exec_lo, s74
	s_cbranch_execz .LBB4_1968
.LBB4_2388:                             ;   in Loop: Header=BB4_1769 Depth=4
	v_cmp_ne_u16_sdwa s75, v13, v2 src0_sel:BYTE_1 src1_sel:DWORD
	v_mov_b32_e32 v75, 0
	s_andn2_b32 s17, s17, exec_lo
	s_and_b32 s75, s75, exec_lo
	s_or_b32 s17, s17, s75
	s_or_b32 exec_lo, exec_lo, s74
	s_and_saveexec_b32 s74, s17
	s_cbranch_execnz .LBB4_1969
	s_branch .LBB4_1970
.LBB4_2389:                             ;   in Loop: Header=BB4_1769 Depth=4
	s_or_saveexec_b32 s74, s74
	v_mov_b32_e32 v76, 0x7f800001
	s_xor_b32 exec_lo, exec_lo, s74
	s_cbranch_execz .LBB4_1974
.LBB4_2390:                             ;   in Loop: Header=BB4_1769 Depth=4
	v_cmp_ne_u16_sdwa s75, v9, v2 src0_sel:BYTE_1 src1_sel:DWORD
	v_mov_b32_e32 v76, 0
	s_andn2_b32 s17, s17, exec_lo
	s_and_b32 s75, s75, exec_lo
	s_or_b32 s17, s17, s75
	s_or_b32 exec_lo, exec_lo, s74
	s_and_saveexec_b32 s74, s17
	s_cbranch_execnz .LBB4_1975
	s_branch .LBB4_1976
.LBB4_2391:                             ;   in Loop: Header=BB4_1769 Depth=4
	s_or_saveexec_b32 s17, s17
	v_mov_b32_e32 v77, 0x7f800001
	s_xor_b32 exec_lo, exec_lo, s17
	s_cbranch_execz .LBB4_1990
.LBB4_2392:                             ;   in Loop: Header=BB4_1769 Depth=4
	v_cmp_ne_u16_e32 vcc_lo, 0, v76
	v_mov_b32_e32 v77, 0
	s_andn2_b32 s74, s74, exec_lo
	s_and_b32 s75, vcc_lo, exec_lo
	s_or_b32 s74, s74, s75
	s_or_b32 exec_lo, exec_lo, s17
	s_and_saveexec_b32 s17, s74
	s_cbranch_execnz .LBB4_1991
	s_branch .LBB4_1992
.LBB4_2393:                             ;   in Loop: Header=BB4_1769 Depth=4
	s_or_saveexec_b32 s74, s74
	v_mov_b32_e32 v78, 0x7f800001
	s_xor_b32 exec_lo, exec_lo, s74
	s_cbranch_execz .LBB4_1996
.LBB4_2394:                             ;   in Loop: Header=BB4_1769 Depth=4
	v_cmp_ne_u16_e32 vcc_lo, 0, v79
	v_mov_b32_e32 v78, 0
	s_andn2_b32 s17, s17, exec_lo
	s_and_b32 s75, vcc_lo, exec_lo
	s_or_b32 s17, s17, s75
	s_or_b32 exec_lo, exec_lo, s74
	s_and_saveexec_b32 s74, s17
	s_cbranch_execnz .LBB4_1997
	s_branch .LBB4_1998
.LBB4_2395:                             ;   in Loop: Header=BB4_1769 Depth=4
	s_or_saveexec_b32 s74, s74
	v_mov_b32_e32 v77, 0x7f800001
	s_xor_b32 exec_lo, exec_lo, s74
	s_cbranch_execz .LBB4_2004
.LBB4_2396:                             ;   in Loop: Header=BB4_1769 Depth=4
	v_cmp_ne_u16_e32 vcc_lo, 0, v76
	v_mov_b32_e32 v77, 0
	s_andn2_b32 s17, s17, exec_lo
	s_and_b32 s75, vcc_lo, exec_lo
	s_or_b32 s17, s17, s75
	s_or_b32 exec_lo, exec_lo, s74
	s_and_saveexec_b32 s74, s17
	s_cbranch_execnz .LBB4_2005
	s_branch .LBB4_2006
.LBB4_2397:                             ;   in Loop: Header=BB4_1769 Depth=4
	s_or_saveexec_b32 s74, s74
	v_mov_b32_e32 v76, 0x7f800001
	s_xor_b32 exec_lo, exec_lo, s74
	s_cbranch_execz .LBB4_2010
.LBB4_2398:                             ;   in Loop: Header=BB4_1769 Depth=4
	v_cmp_ne_u16_e32 vcc_lo, 0, v78
	v_mov_b32_e32 v76, 0
	s_andn2_b32 s17, s17, exec_lo
	s_and_b32 s75, vcc_lo, exec_lo
	s_or_b32 s17, s17, s75
	s_or_b32 exec_lo, exec_lo, s74
	s_and_saveexec_b32 s74, s17
	s_cbranch_execnz .LBB4_2011
	s_branch .LBB4_2012
.LBB4_2399:                             ;   in Loop: Header=BB4_1769 Depth=4
	s_or_saveexec_b32 s74, s74
	v_mov_b32_e32 v77, 0x7f800001
	s_xor_b32 exec_lo, exec_lo, s74
	s_cbranch_execz .LBB4_2026
.LBB4_2400:                             ;   in Loop: Header=BB4_1769 Depth=4
	v_cmp_ne_u16_sdwa s75, v13, v2 src0_sel:BYTE_3 src1_sel:DWORD
	v_mov_b32_e32 v77, 0
	s_andn2_b32 s17, s17, exec_lo
	s_and_b32 s75, s75, exec_lo
	s_or_b32 s17, s17, s75
	s_or_b32 exec_lo, exec_lo, s74
	s_and_saveexec_b32 s74, s17
	s_cbranch_execnz .LBB4_2027
	s_branch .LBB4_2028
.LBB4_2401:                             ;   in Loop: Header=BB4_1769 Depth=4
	s_or_saveexec_b32 s74, s74
	v_mov_b32_e32 v78, 0x7f800001
	s_xor_b32 exec_lo, exec_lo, s74
	s_cbranch_execz .LBB4_2032
.LBB4_2402:                             ;   in Loop: Header=BB4_1769 Depth=4
	v_cmp_ne_u16_sdwa s75, v9, v2 src0_sel:BYTE_3 src1_sel:DWORD
	v_mov_b32_e32 v78, 0
	s_andn2_b32 s17, s17, exec_lo
	s_and_b32 s75, s75, exec_lo
	s_or_b32 s17, s17, s75
	s_or_b32 exec_lo, exec_lo, s74
	s_and_saveexec_b32 s74, s17
	s_cbranch_execnz .LBB4_2033
	s_branch .LBB4_2034
.LBB4_2403:                             ;   in Loop: Header=BB4_1769 Depth=4
	s_or_saveexec_b32 s74, s74
	v_mov_b32_e32 v77, 0x7f800001
	s_xor_b32 exec_lo, exec_lo, s74
	s_cbranch_execz .LBB4_2040
.LBB4_2404:                             ;   in Loop: Header=BB4_1769 Depth=4
	v_cmp_ne_u16_sdwa s75, v13, v2 src0_sel:BYTE_3 src1_sel:DWORD
	v_mov_b32_e32 v77, 0
	s_andn2_b32 s17, s17, exec_lo
	s_and_b32 s75, s75, exec_lo
	s_or_b32 s17, s17, s75
	s_or_b32 exec_lo, exec_lo, s74
	s_and_saveexec_b32 s74, s17
	s_cbranch_execnz .LBB4_2041
	s_branch .LBB4_2042
.LBB4_2405:                             ;   in Loop: Header=BB4_1769 Depth=4
	s_or_saveexec_b32 s74, s74
	v_mov_b32_e32 v13, 0x7f800001
	s_xor_b32 exec_lo, exec_lo, s74
	s_cbranch_execz .LBB4_2046
.LBB4_2406:                             ;   in Loop: Header=BB4_1769 Depth=4
	v_cmp_ne_u16_sdwa s75, v9, v2 src0_sel:BYTE_3 src1_sel:DWORD
	v_mov_b32_e32 v13, 0
	s_andn2_b32 s17, s17, exec_lo
	s_and_b32 s75, s75, exec_lo
	s_or_b32 s17, s17, s75
	s_or_b32 exec_lo, exec_lo, s74
	s_and_saveexec_b32 s74, s17
	s_cbranch_execnz .LBB4_2047
	s_branch .LBB4_2048
.LBB4_2407:                             ;   in Loop: Header=BB4_1769 Depth=4
	s_or_saveexec_b32 s74, s74
	v_mov_b32_e32 v9, 0x7f800001
	s_xor_b32 exec_lo, exec_lo, s74
	s_cbranch_execz .LBB4_2062
.LBB4_2408:                             ;   in Loop: Header=BB4_1769 Depth=4
	v_cmp_ne_u16_sdwa s75, v14, v2 src0_sel:BYTE_0 src1_sel:DWORD
	v_mov_b32_e32 v9, 0
	s_andn2_b32 s17, s17, exec_lo
	s_and_b32 s75, s75, exec_lo
	s_or_b32 s17, s17, s75
	s_or_b32 exec_lo, exec_lo, s74
	s_and_saveexec_b32 s74, s17
	s_cbranch_execnz .LBB4_2063
	s_branch .LBB4_2064
.LBB4_2409:                             ;   in Loop: Header=BB4_1769 Depth=4
	s_or_saveexec_b32 s74, s74
	v_mov_b32_e32 v77, 0x7f800001
	s_xor_b32 exec_lo, exec_lo, s74
	s_cbranch_execz .LBB4_2068
.LBB4_2410:                             ;   in Loop: Header=BB4_1769 Depth=4
	v_cmp_ne_u16_sdwa s75, v10, v2 src0_sel:BYTE_0 src1_sel:DWORD
	v_mov_b32_e32 v77, 0
	s_andn2_b32 s17, s17, exec_lo
	s_and_b32 s75, s75, exec_lo
	s_or_b32 s17, s17, s75
	s_or_b32 exec_lo, exec_lo, s74
	s_and_saveexec_b32 s74, s17
	s_cbranch_execnz .LBB4_2069
	s_branch .LBB4_2070
.LBB4_2411:                             ;   in Loop: Header=BB4_1769 Depth=4
	s_or_saveexec_b32 s74, s74
	v_mov_b32_e32 v9, 0x7f800001
	s_xor_b32 exec_lo, exec_lo, s74
	s_cbranch_execz .LBB4_2076
.LBB4_2412:                             ;   in Loop: Header=BB4_1769 Depth=4
	v_cmp_ne_u16_sdwa s75, v14, v2 src0_sel:BYTE_0 src1_sel:DWORD
	v_mov_b32_e32 v9, 0
	s_andn2_b32 s17, s17, exec_lo
	s_and_b32 s75, s75, exec_lo
	s_or_b32 s17, s17, s75
	s_or_b32 exec_lo, exec_lo, s74
	s_and_saveexec_b32 s74, s17
	s_cbranch_execnz .LBB4_2077
	s_branch .LBB4_2078
.LBB4_2413:                             ;   in Loop: Header=BB4_1769 Depth=4
	s_or_saveexec_b32 s74, s74
	v_mov_b32_e32 v77, 0x7f800001
	s_xor_b32 exec_lo, exec_lo, s74
	s_cbranch_execz .LBB4_2082
.LBB4_2414:                             ;   in Loop: Header=BB4_1769 Depth=4
	v_cmp_ne_u16_sdwa s75, v10, v2 src0_sel:BYTE_0 src1_sel:DWORD
	v_mov_b32_e32 v77, 0
	s_andn2_b32 s17, s17, exec_lo
	s_and_b32 s75, s75, exec_lo
	s_or_b32 s17, s17, s75
	s_or_b32 exec_lo, exec_lo, s74
	s_and_saveexec_b32 s74, s17
	s_cbranch_execnz .LBB4_2083
	s_branch .LBB4_2084
.LBB4_2415:                             ;   in Loop: Header=BB4_1769 Depth=4
	s_or_saveexec_b32 s74, s74
	v_mov_b32_e32 v9, 0x7f800001
	s_xor_b32 exec_lo, exec_lo, s74
	s_cbranch_execz .LBB4_2098
.LBB4_2416:                             ;   in Loop: Header=BB4_1769 Depth=4
	v_cmp_ne_u16_sdwa s75, v14, v2 src0_sel:BYTE_1 src1_sel:DWORD
	v_mov_b32_e32 v9, 0
	s_andn2_b32 s17, s17, exec_lo
	s_and_b32 s75, s75, exec_lo
	s_or_b32 s17, s17, s75
	s_or_b32 exec_lo, exec_lo, s74
	s_and_saveexec_b32 s74, s17
	s_cbranch_execnz .LBB4_2099
	s_branch .LBB4_2100
.LBB4_2417:                             ;   in Loop: Header=BB4_1769 Depth=4
	s_or_saveexec_b32 s74, s74
	v_mov_b32_e32 v78, 0x7f800001
	s_xor_b32 exec_lo, exec_lo, s74
	s_cbranch_execz .LBB4_2104
.LBB4_2418:                             ;   in Loop: Header=BB4_1769 Depth=4
	v_cmp_ne_u16_sdwa s75, v10, v2 src0_sel:BYTE_1 src1_sel:DWORD
	v_mov_b32_e32 v78, 0
	s_andn2_b32 s17, s17, exec_lo
	s_and_b32 s75, s75, exec_lo
	s_or_b32 s17, s17, s75
	s_or_b32 exec_lo, exec_lo, s74
	s_and_saveexec_b32 s74, s17
	s_cbranch_execnz .LBB4_2105
	s_branch .LBB4_2106
.LBB4_2419:                             ;   in Loop: Header=BB4_1769 Depth=4
	s_or_saveexec_b32 s74, s74
	v_mov_b32_e32 v9, 0x7f800001
	s_xor_b32 exec_lo, exec_lo, s74
	s_cbranch_execz .LBB4_2112
.LBB4_2420:                             ;   in Loop: Header=BB4_1769 Depth=4
	v_cmp_ne_u16_sdwa s75, v14, v2 src0_sel:BYTE_1 src1_sel:DWORD
	v_mov_b32_e32 v9, 0
	s_andn2_b32 s17, s17, exec_lo
	s_and_b32 s75, s75, exec_lo
	s_or_b32 s17, s17, s75
	s_or_b32 exec_lo, exec_lo, s74
	s_and_saveexec_b32 s74, s17
	s_cbranch_execnz .LBB4_2113
	s_branch .LBB4_2114
.LBB4_2421:                             ;   in Loop: Header=BB4_1769 Depth=4
	s_or_saveexec_b32 s74, s74
	v_mov_b32_e32 v78, 0x7f800001
	s_xor_b32 exec_lo, exec_lo, s74
	s_cbranch_execz .LBB4_2118
.LBB4_2422:                             ;   in Loop: Header=BB4_1769 Depth=4
	v_cmp_ne_u16_sdwa s75, v10, v2 src0_sel:BYTE_1 src1_sel:DWORD
	v_mov_b32_e32 v78, 0
	s_andn2_b32 s17, s17, exec_lo
	s_and_b32 s75, s75, exec_lo
	s_or_b32 s17, s17, s75
	s_or_b32 exec_lo, exec_lo, s74
	s_and_saveexec_b32 s74, s17
	s_cbranch_execnz .LBB4_2119
	s_branch .LBB4_2120
.LBB4_2423:                             ;   in Loop: Header=BB4_1769 Depth=4
	s_or_saveexec_b32 s17, s17
	v_mov_b32_e32 v79, 0x7f800001
	s_xor_b32 exec_lo, exec_lo, s17
	s_cbranch_execz .LBB4_2134
.LBB4_2424:                             ;   in Loop: Header=BB4_1769 Depth=4
	v_cmp_ne_u16_e32 vcc_lo, 0, v9
	v_mov_b32_e32 v79, 0
	s_andn2_b32 s74, s74, exec_lo
	s_and_b32 s75, vcc_lo, exec_lo
	s_or_b32 s74, s74, s75
	s_or_b32 exec_lo, exec_lo, s17
	s_and_saveexec_b32 s17, s74
	s_cbranch_execnz .LBB4_2135
	s_branch .LBB4_2136
.LBB4_2425:                             ;   in Loop: Header=BB4_1769 Depth=4
	s_or_saveexec_b32 s74, s74
	v_mov_b32_e32 v88, 0x7f800001
	s_xor_b32 exec_lo, exec_lo, s74
	s_cbranch_execz .LBB4_2140
.LBB4_2426:                             ;   in Loop: Header=BB4_1769 Depth=4
	v_cmp_ne_u16_e32 vcc_lo, 0, v89
	v_mov_b32_e32 v88, 0
	s_andn2_b32 s17, s17, exec_lo
	s_and_b32 s75, vcc_lo, exec_lo
	s_or_b32 s17, s17, s75
	s_or_b32 exec_lo, exec_lo, s74
	s_and_saveexec_b32 s74, s17
	s_cbranch_execnz .LBB4_2141
	s_branch .LBB4_2142
.LBB4_2427:                             ;   in Loop: Header=BB4_1769 Depth=4
	s_or_saveexec_b32 s74, s74
	v_mov_b32_e32 v79, 0x7f800001
	s_xor_b32 exec_lo, exec_lo, s74
	s_cbranch_execz .LBB4_2148
.LBB4_2428:                             ;   in Loop: Header=BB4_1769 Depth=4
	v_cmp_ne_u16_e32 vcc_lo, 0, v9
	v_mov_b32_e32 v79, 0
	s_andn2_b32 s17, s17, exec_lo
	s_and_b32 s75, vcc_lo, exec_lo
	s_or_b32 s17, s17, s75
	s_or_b32 exec_lo, exec_lo, s74
	s_and_saveexec_b32 s74, s17
	s_cbranch_execnz .LBB4_2149
	s_branch .LBB4_2150
.LBB4_2429:                             ;   in Loop: Header=BB4_1769 Depth=4
	s_or_saveexec_b32 s74, s74
	v_mov_b32_e32 v9, 0x7f800001
	s_xor_b32 exec_lo, exec_lo, s74
	s_cbranch_execz .LBB4_2154
.LBB4_2430:                             ;   in Loop: Header=BB4_1769 Depth=4
	v_cmp_ne_u16_e32 vcc_lo, 0, v88
	v_mov_b32_e32 v9, 0
	s_andn2_b32 s17, s17, exec_lo
	s_and_b32 s75, vcc_lo, exec_lo
	s_or_b32 s17, s17, s75
	s_or_b32 exec_lo, exec_lo, s74
	s_and_saveexec_b32 s74, s17
	s_cbranch_execnz .LBB4_2155
	s_branch .LBB4_2156
.LBB4_2431:                             ;   in Loop: Header=BB4_1769 Depth=4
	s_or_saveexec_b32 s74, s74
	v_mov_b32_e32 v9, 0x7f800001
	s_xor_b32 exec_lo, exec_lo, s74
	s_cbranch_execz .LBB4_2170
.LBB4_2432:                             ;   in Loop: Header=BB4_1769 Depth=4
	v_cmp_ne_u16_sdwa s75, v14, v2 src0_sel:BYTE_3 src1_sel:DWORD
	v_mov_b32_e32 v9, 0
	s_andn2_b32 s17, s17, exec_lo
	s_and_b32 s75, s75, exec_lo
	s_or_b32 s17, s17, s75
	s_or_b32 exec_lo, exec_lo, s74
	s_and_saveexec_b32 s74, s17
	s_cbranch_execnz .LBB4_2171
	s_branch .LBB4_2172
.LBB4_2433:                             ;   in Loop: Header=BB4_1769 Depth=4
	s_or_saveexec_b32 s74, s74
	v_mov_b32_e32 v88, 0x7f800001
	s_xor_b32 exec_lo, exec_lo, s74
	s_cbranch_execz .LBB4_2176
.LBB4_2434:                             ;   in Loop: Header=BB4_1769 Depth=4
	v_cmp_ne_u16_sdwa s75, v10, v2 src0_sel:BYTE_3 src1_sel:DWORD
	v_mov_b32_e32 v88, 0
	s_andn2_b32 s17, s17, exec_lo
	s_and_b32 s75, s75, exec_lo
	s_or_b32 s17, s17, s75
	s_or_b32 exec_lo, exec_lo, s74
	s_and_saveexec_b32 s74, s17
	s_cbranch_execnz .LBB4_2177
	s_branch .LBB4_2178
.LBB4_2435:                             ;   in Loop: Header=BB4_1769 Depth=4
	s_or_saveexec_b32 s74, s74
	v_mov_b32_e32 v9, 0x7f800001
	s_xor_b32 exec_lo, exec_lo, s74
	s_cbranch_execz .LBB4_2184
.LBB4_2436:                             ;   in Loop: Header=BB4_1769 Depth=4
	v_cmp_ne_u16_sdwa s75, v14, v2 src0_sel:BYTE_3 src1_sel:DWORD
	v_mov_b32_e32 v9, 0
	s_andn2_b32 s17, s17, exec_lo
	s_and_b32 s75, s75, exec_lo
	s_or_b32 s17, s17, s75
	s_or_b32 exec_lo, exec_lo, s74
	s_and_saveexec_b32 s74, s17
	s_cbranch_execnz .LBB4_2185
	s_branch .LBB4_2186
.LBB4_2437:                             ;   in Loop: Header=BB4_1769 Depth=4
	s_or_saveexec_b32 s74, s74
	v_mov_b32_e32 v14, 0x7f800001
	s_xor_b32 exec_lo, exec_lo, s74
	s_cbranch_execz .LBB4_2190
.LBB4_2438:                             ;   in Loop: Header=BB4_1769 Depth=4
	v_cmp_ne_u16_sdwa s75, v10, v2 src0_sel:BYTE_3 src1_sel:DWORD
	v_mov_b32_e32 v14, 0
	s_andn2_b32 s17, s17, exec_lo
	s_and_b32 s75, s75, exec_lo
	s_or_b32 s17, s17, s75
	s_or_b32 exec_lo, exec_lo, s74
	s_and_saveexec_b32 s74, s17
	s_cbranch_execnz .LBB4_2191
	s_branch .LBB4_2192
.LBB4_2439:                             ;   in Loop: Header=BB4_1769 Depth=4
	s_or_saveexec_b32 s74, s74
	v_mov_b32_e32 v9, 0x7f800001
	s_xor_b32 exec_lo, exec_lo, s74
	s_cbranch_execz .LBB4_2206
.LBB4_2440:                             ;   in Loop: Header=BB4_1769 Depth=4
	v_cmp_ne_u16_sdwa s75, v15, v2 src0_sel:BYTE_0 src1_sel:DWORD
	v_mov_b32_e32 v9, 0
	s_andn2_b32 s17, s17, exec_lo
	s_and_b32 s75, s75, exec_lo
	s_or_b32 s17, s17, s75
	s_or_b32 exec_lo, exec_lo, s74
	s_and_saveexec_b32 s74, s17
	s_cbranch_execnz .LBB4_2207
	s_branch .LBB4_2208
.LBB4_2441:                             ;   in Loop: Header=BB4_1769 Depth=4
	s_or_saveexec_b32 s74, s74
	v_mov_b32_e32 v10, 0x7f800001
	s_xor_b32 exec_lo, exec_lo, s74
	s_cbranch_execz .LBB4_2212
.LBB4_2442:                             ;   in Loop: Header=BB4_1769 Depth=4
	v_cmp_ne_u16_sdwa s75, v11, v2 src0_sel:BYTE_0 src1_sel:DWORD
	v_mov_b32_e32 v10, 0
	s_andn2_b32 s17, s17, exec_lo
	s_and_b32 s75, s75, exec_lo
	s_or_b32 s17, s17, s75
	s_or_b32 exec_lo, exec_lo, s74
	s_and_saveexec_b32 s74, s17
	s_cbranch_execnz .LBB4_2213
	s_branch .LBB4_2214
.LBB4_2443:                             ;   in Loop: Header=BB4_1769 Depth=4
	s_or_saveexec_b32 s74, s74
	v_mov_b32_e32 v9, 0x7f800001
	s_xor_b32 exec_lo, exec_lo, s74
	s_cbranch_execz .LBB4_2220
.LBB4_2444:                             ;   in Loop: Header=BB4_1769 Depth=4
	v_cmp_ne_u16_sdwa s75, v15, v2 src0_sel:BYTE_0 src1_sel:DWORD
	v_mov_b32_e32 v9, 0
	s_andn2_b32 s17, s17, exec_lo
	s_and_b32 s75, s75, exec_lo
	s_or_b32 s17, s17, s75
	s_or_b32 exec_lo, exec_lo, s74
	s_and_saveexec_b32 s74, s17
	s_cbranch_execnz .LBB4_2221
	s_branch .LBB4_2222
.LBB4_2445:                             ;   in Loop: Header=BB4_1769 Depth=4
	s_or_saveexec_b32 s74, s74
	v_mov_b32_e32 v10, 0x7f800001
	s_xor_b32 exec_lo, exec_lo, s74
	s_cbranch_execz .LBB4_2226
.LBB4_2446:                             ;   in Loop: Header=BB4_1769 Depth=4
	v_cmp_ne_u16_sdwa s75, v11, v2 src0_sel:BYTE_0 src1_sel:DWORD
	v_mov_b32_e32 v10, 0
	s_andn2_b32 s17, s17, exec_lo
	s_and_b32 s75, s75, exec_lo
	s_or_b32 s17, s17, s75
	s_or_b32 exec_lo, exec_lo, s74
	s_and_saveexec_b32 s74, s17
	s_cbranch_execnz .LBB4_2227
	s_branch .LBB4_2228
.LBB4_2447:                             ;   in Loop: Header=BB4_1769 Depth=4
	s_or_saveexec_b32 s74, s74
	v_mov_b32_e32 v9, 0x7f800001
	s_xor_b32 exec_lo, exec_lo, s74
	s_cbranch_execz .LBB4_2242
.LBB4_2448:                             ;   in Loop: Header=BB4_1769 Depth=4
	v_cmp_ne_u16_sdwa s75, v15, v2 src0_sel:BYTE_1 src1_sel:DWORD
	v_mov_b32_e32 v9, 0
	s_andn2_b32 s17, s17, exec_lo
	s_and_b32 s75, s75, exec_lo
	s_or_b32 s17, s17, s75
	s_or_b32 exec_lo, exec_lo, s74
	s_and_saveexec_b32 s74, s17
	s_cbranch_execnz .LBB4_2243
	s_branch .LBB4_2244
.LBB4_2449:                             ;   in Loop: Header=BB4_1769 Depth=4
	s_or_saveexec_b32 s74, s74
	v_mov_b32_e32 v10, 0x7f800001
	s_xor_b32 exec_lo, exec_lo, s74
	s_cbranch_execz .LBB4_2248
.LBB4_2450:                             ;   in Loop: Header=BB4_1769 Depth=4
	v_cmp_ne_u16_sdwa s75, v11, v2 src0_sel:BYTE_1 src1_sel:DWORD
	v_mov_b32_e32 v10, 0
	s_andn2_b32 s17, s17, exec_lo
	s_and_b32 s75, s75, exec_lo
	s_or_b32 s17, s17, s75
	s_or_b32 exec_lo, exec_lo, s74
	s_and_saveexec_b32 s74, s17
	s_cbranch_execnz .LBB4_2249
	s_branch .LBB4_2250
.LBB4_2451:                             ;   in Loop: Header=BB4_1769 Depth=4
	s_or_saveexec_b32 s74, s74
	v_mov_b32_e32 v9, 0x7f800001
	s_xor_b32 exec_lo, exec_lo, s74
	s_cbranch_execz .LBB4_2256
.LBB4_2452:                             ;   in Loop: Header=BB4_1769 Depth=4
	v_cmp_ne_u16_sdwa s75, v15, v2 src0_sel:BYTE_1 src1_sel:DWORD
	v_mov_b32_e32 v9, 0
	s_andn2_b32 s17, s17, exec_lo
	s_and_b32 s75, s75, exec_lo
	s_or_b32 s17, s17, s75
	s_or_b32 exec_lo, exec_lo, s74
	s_and_saveexec_b32 s74, s17
	s_cbranch_execnz .LBB4_2257
	s_branch .LBB4_2258
.LBB4_2453:                             ;   in Loop: Header=BB4_1769 Depth=4
	s_or_saveexec_b32 s74, s74
	v_mov_b32_e32 v10, 0x7f800001
	s_xor_b32 exec_lo, exec_lo, s74
	s_cbranch_execz .LBB4_2262
.LBB4_2454:                             ;   in Loop: Header=BB4_1769 Depth=4
	v_cmp_ne_u16_sdwa s75, v11, v2 src0_sel:BYTE_1 src1_sel:DWORD
	v_mov_b32_e32 v10, 0
	s_andn2_b32 s17, s17, exec_lo
	s_and_b32 s75, s75, exec_lo
	s_or_b32 s17, s17, s75
	s_or_b32 exec_lo, exec_lo, s74
	s_and_saveexec_b32 s74, s17
	s_cbranch_execnz .LBB4_2263
	s_branch .LBB4_2264
.LBB4_2455:                             ;   in Loop: Header=BB4_1769 Depth=4
	s_or_saveexec_b32 s17, s17
	v_mov_b32_e32 v10, 0x7f800001
	s_xor_b32 exec_lo, exec_lo, s17
	s_cbranch_execz .LBB4_2278
.LBB4_2456:                             ;   in Loop: Header=BB4_1769 Depth=4
	v_cmp_ne_u16_e32 vcc_lo, 0, v9
	v_mov_b32_e32 v10, 0
	s_andn2_b32 s74, s74, exec_lo
	s_and_b32 s75, vcc_lo, exec_lo
	s_or_b32 s74, s74, s75
	s_or_b32 exec_lo, exec_lo, s17
	s_and_saveexec_b32 s17, s74
	s_cbranch_execnz .LBB4_2279
	s_branch .LBB4_2280
.LBB4_2457:                             ;   in Loop: Header=BB4_1769 Depth=4
	s_or_saveexec_b32 s74, s74
	v_mov_b32_e32 v90, 0x7f800001
	s_xor_b32 exec_lo, exec_lo, s74
	s_cbranch_execz .LBB4_2284
.LBB4_2458:                             ;   in Loop: Header=BB4_1769 Depth=4
	v_cmp_ne_u16_e32 vcc_lo, 0, v91
	v_mov_b32_e32 v90, 0
	s_andn2_b32 s17, s17, exec_lo
	s_and_b32 s75, vcc_lo, exec_lo
	s_or_b32 s17, s17, s75
	s_or_b32 exec_lo, exec_lo, s74
	s_and_saveexec_b32 s74, s17
	s_cbranch_execnz .LBB4_2285
	s_branch .LBB4_2286
.LBB4_2459:                             ;   in Loop: Header=BB4_1769 Depth=4
	s_or_saveexec_b32 s74, s74
	v_mov_b32_e32 v10, 0x7f800001
	s_xor_b32 exec_lo, exec_lo, s74
	s_cbranch_execz .LBB4_2292
.LBB4_2460:                             ;   in Loop: Header=BB4_1769 Depth=4
	v_cmp_ne_u16_e32 vcc_lo, 0, v9
	v_mov_b32_e32 v10, 0
	s_andn2_b32 s17, s17, exec_lo
	s_and_b32 s75, vcc_lo, exec_lo
	s_or_b32 s17, s17, s75
	s_or_b32 exec_lo, exec_lo, s74
	s_and_saveexec_b32 s74, s17
	s_cbranch_execnz .LBB4_2293
	s_branch .LBB4_2294
.LBB4_2461:                             ;   in Loop: Header=BB4_1769 Depth=4
	s_or_saveexec_b32 s74, s74
	v_mov_b32_e32 v9, 0x7f800001
	s_xor_b32 exec_lo, exec_lo, s74
	s_cbranch_execz .LBB4_2298
.LBB4_2462:                             ;   in Loop: Header=BB4_1769 Depth=4
	v_cmp_ne_u16_e32 vcc_lo, 0, v90
	v_mov_b32_e32 v9, 0
	s_andn2_b32 s17, s17, exec_lo
	s_and_b32 s75, vcc_lo, exec_lo
	s_or_b32 s17, s17, s75
	s_or_b32 exec_lo, exec_lo, s74
	s_and_saveexec_b32 s74, s17
	s_cbranch_execnz .LBB4_2299
	s_branch .LBB4_2300
.LBB4_2463:                             ;   in Loop: Header=BB4_1769 Depth=4
	s_or_saveexec_b32 s74, s74
	v_mov_b32_e32 v8, 0x7f800001
	s_xor_b32 exec_lo, exec_lo, s74
	s_cbranch_execz .LBB4_2314
.LBB4_2464:                             ;   in Loop: Header=BB4_1769 Depth=4
	v_cmp_ne_u16_sdwa s75, v15, v2 src0_sel:BYTE_3 src1_sel:DWORD
	v_mov_b32_e32 v8, 0
	s_andn2_b32 s17, s17, exec_lo
	s_and_b32 s75, s75, exec_lo
	s_or_b32 s17, s17, s75
	s_or_b32 exec_lo, exec_lo, s74
	s_and_saveexec_b32 s74, s17
	s_cbranch_execnz .LBB4_2315
	s_branch .LBB4_2316
.LBB4_2465:                             ;   in Loop: Header=BB4_1769 Depth=4
	s_or_saveexec_b32 s74, s74
	v_mov_b32_e32 v9, 0x7f800001
	s_xor_b32 exec_lo, exec_lo, s74
	s_cbranch_execz .LBB4_2320
.LBB4_2466:                             ;   in Loop: Header=BB4_1769 Depth=4
	v_cmp_ne_u16_sdwa s75, v11, v2 src0_sel:BYTE_3 src1_sel:DWORD
	v_mov_b32_e32 v9, 0
	s_andn2_b32 s17, s17, exec_lo
	s_and_b32 s75, s75, exec_lo
	s_or_b32 s17, s17, s75
	s_or_b32 exec_lo, exec_lo, s74
	s_and_saveexec_b32 s74, s17
	s_cbranch_execnz .LBB4_2321
	s_branch .LBB4_2322
.LBB4_2467:                             ;   in Loop: Header=BB4_1769 Depth=4
	s_or_saveexec_b32 s74, s74
	v_mov_b32_e32 v92, 0x7f800001
	s_xor_b32 exec_lo, exec_lo, s74
	s_cbranch_execz .LBB4_2328
.LBB4_2468:                             ;   in Loop: Header=BB4_1769 Depth=4
	v_cmp_ne_u16_sdwa s75, v15, v2 src0_sel:BYTE_3 src1_sel:DWORD
	v_mov_b32_e32 v92, 0
	s_andn2_b32 s17, s17, exec_lo
	s_and_b32 s75, s75, exec_lo
	s_or_b32 s17, s17, s75
	s_or_b32 exec_lo, exec_lo, s74
	s_and_saveexec_b32 s74, s17
	s_cbranch_execnz .LBB4_2329
	s_branch .LBB4_2330
.LBB4_2469:                             ;   in Loop: Header=BB4_1769 Depth=4
	s_or_saveexec_b32 s74, s74
	v_mov_b32_e32 v8, 0x7f800001
	s_xor_b32 exec_lo, exec_lo, s74
	s_cbranch_execz .LBB4_2334
.LBB4_2470:                             ;   in Loop: Header=BB4_1769 Depth=4
	v_cmp_ne_u16_sdwa s75, v11, v2 src0_sel:BYTE_3 src1_sel:DWORD
	v_mov_b32_e32 v8, 0
	s_andn2_b32 s17, s17, exec_lo
	s_and_b32 s75, s75, exec_lo
	s_or_b32 s17, s17, s75
	s_or_b32 exec_lo, exec_lo, s74
	s_and_saveexec_b32 s74, s17
	s_cbranch_execnz .LBB4_2335
	s_branch .LBB4_2336
.LBB4_2471:                             ;   in Loop: Header=BB4_272 Depth=3
	s_or_b32 exec_lo, exec_lo, s72
.LBB4_2472:                             ;   in Loop: Header=BB4_272 Depth=3
	s_or_b32 exec_lo, exec_lo, s63
	v_and_b32_e32 v8, 15, v3
	v_cmp_lt_i32_e32 vcc_lo, 0, v85
	v_sub_nc_u32_e32 v9, v84, v8
	v_cndmask_b32_e32 v10, 0, v103, vcc_lo
	v_cndmask_b32_e64 v15, v84, v8, s16
	v_cndmask_b32_e64 v8, 0, v9, s16
	v_sub_nc_u32_e32 v9, v10, v85
	v_cmp_ne_u32_e32 vcc_lo, 0, v15
	v_add3_u32 v14, v69, v22, v8
	v_lshl_add_u32 v16, v9, 5, v23
	s_and_b32 s16, vcc_lo, exec_lo
.LBB4_2473:                             ;   in Loop: Header=BB4_272 Depth=3
	s_or_b32 exec_lo, exec_lo, s62
	s_and_saveexec_b32 s17, s16
	s_cbranch_execz .LBB4_3230
.LBB4_2474:                             ;   in Loop: Header=BB4_272 Depth=3
	v_ashrrev_i32_e32 v8, 31, v16
	v_ashrrev_i32_e32 v9, 31, v15
	s_mov_b32 s62, exec_lo
	v_lshrrev_b32_e32 v8, 27, v8
	v_lshrrev_b32_e32 v9, 23, v9
	v_add_nc_u32_e32 v8, v16, v8
	v_add_nc_u32_e32 v9, v15, v9
	s_waitcnt vmcnt(0)
	v_ashrrev_i32_e32 v17, 5, v8
	v_ashrrev_i32_e32 v19, 9, v9
	v_sub_nc_u32_e32 v18, v19, v17
	v_cmpx_lt_i32_e32 0, v18
	s_cbranch_execz .LBB4_3182
; %bb.2475:                             ;   in Loop: Header=BB4_272 Depth=3
	v_and_b32_e32 v8, 0xffffffe0, v8
	s_trap 2
	ds_read_b64 v[10:11], v0
	v_lshlrev_b32_e32 v9, 9, v17
	v_add_co_u32 v20, vcc_lo, 0x1e0, v82
	v_sub_nc_u32_e32 v8, v16, v8
	v_add_co_ci_u32_e64 v21, null, 0, v83, vcc_lo
	s_bitcmp1_b32 s61, 0
	s_mov_b32 s72, 0
	v_add3_u32 v12, v14, v8, v9
	s_cselect_b32 s63, -1, 0
	v_ashrrev_i32_e32 v13, 31, v12
	v_add_co_u32 v8, vcc_lo, v12, v80
	v_add_co_ci_u32_e64 v9, null, v13, v81, vcc_lo
	s_waitcnt lgkmcnt(0)
	v_add_co_u32 v10, vcc_lo, v10, v12
	v_add_co_ci_u32_e64 v11, null, v11, v13, vcc_lo
	v_add_co_u32 v12, vcc_lo, v20, v12
	v_add_co_ci_u32_e64 v13, null, v21, v13, vcc_lo
	s_branch .LBB4_2479
.LBB4_2476:                             ;   in Loop: Header=BB4_2479 Depth=4
	s_or_b32 exec_lo, exec_lo, s16
	v_lshrrev_b32_e32 v21, 20, v21
	v_cmp_gt_i32_e32 vcc_lo, 16, v20
	v_min_i32_e32 v82, 15, v20
	v_and_b32_sdwa v69, v69, v118 dst_sel:DWORD dst_unused:UNUSED_PAD src0_sel:BYTE_3 src1_sel:DWORD
	v_cndmask_b32_e32 v21, 7, v21, vcc_lo
	v_lshlrev_b32_e32 v82, 3, v82
	v_and_b32_e32 v85, 7, v21
	v_or_b32_e32 v20, v20, v21
	v_or3_b32 v21, v82, v69, v85
	v_cmp_ne_u32_e32 vcc_lo, 0, v20
	v_cndmask_b32_e32 v20, 0, v21, vcc_lo
.LBB4_2477:                             ;   in Loop: Header=BB4_2479 Depth=4
	s_or_b32 exec_lo, exec_lo, s74
.LBB4_2478:                             ;   in Loop: Header=BB4_2479 Depth=4
	s_or_b32 exec_lo, exec_lo, s73
	v_add_co_u32 v91, vcc_lo, 0xfffffe20, v12
	v_add_co_ci_u32_e64 v92, null, -1, v13, vcc_lo
	v_add_co_u32 v93, vcc_lo, 0xfffffe40, v12
	v_add_co_ci_u32_e64 v94, null, -1, v13, vcc_lo
	;; [unrolled: 2-line block ×5, first 2 shown]
	v_add_co_u32 v21, vcc_lo, 0xfffffec0, v12
	flat_store_byte v[91:92], v22 glc slc
	flat_store_byte v[93:94], v80 glc slc
	;; [unrolled: 1-line block ×5, first 2 shown]
	v_add_co_ci_u32_e64 v22, null, -1, v13, vcc_lo
	v_add_co_u32 v82, vcc_lo, 0xfffffee0, v12
	v_add_co_ci_u32_e64 v83, null, -1, v13, vcc_lo
	v_add_co_u32 v85, vcc_lo, 0xffffff00, v12
	v_add_co_ci_u32_e64 v86, null, -1, v13, vcc_lo
	v_add_co_u32 v96, vcc_lo, 0xffffff20, v12
	v_add_co_ci_u32_e64 v97, null, -1, v13, vcc_lo
	v_add_co_u32 v91, vcc_lo, 0xffffff40, v12
	v_add_co_ci_u32_e64 v92, null, -1, v13, vcc_lo
	flat_store_byte v[21:22], v76 glc slc
	flat_store_byte v[82:83], v79 glc slc
	;; [unrolled: 1-line block ×5, first 2 shown]
	v_add_co_u32 v21, vcc_lo, 0xffffff60, v12
	v_add_co_ci_u32_e64 v22, null, -1, v13, vcc_lo
	v_add_co_u32 v82, vcc_lo, 0xffffff80, v12
	v_add_co_ci_u32_e64 v83, null, -1, v13, vcc_lo
	;; [unrolled: 2-line block ×4, first 2 shown]
	v_add_co_u32 v75, vcc_lo, 0xffffffe0, v12
	v_sub_nc_u32_e32 v18, v18, v103
	v_add_co_ci_u32_e64 v76, null, -1, v13, vcc_lo
	v_add_co_u32 v8, vcc_lo, v8, v44
	v_add_co_ci_u32_e64 v9, null, 0, v9, vcc_lo
	v_add_co_u32 v10, vcc_lo, v10, v44
	flat_store_byte v[21:22], v74 glc slc
	flat_store_byte v[82:83], v87 glc slc
	;; [unrolled: 1-line block ×6, first 2 shown]
	v_add_co_ci_u32_e64 v11, null, 0, v11, vcc_lo
	v_cmp_gt_i32_e32 vcc_lo, 1, v18
	v_add_co_u32 v12, s16, v12, v44
	v_add_co_ci_u32_e64 v13, null, 0, v13, s16
	s_or_b32 s72, vcc_lo, s72
	s_andn2_b32 exec_lo, exec_lo, s72
	s_cbranch_execz .LBB4_3181
.LBB4_2479:                             ;   Parent Loop BB4_47 Depth=1
                                        ;     Parent Loop BB4_269 Depth=2
                                        ;       Parent Loop BB4_272 Depth=3
                                        ; =>      This Inner Loop Header: Depth=4
	s_clause 0xf
	flat_load_ubyte v106, v[8:9] slc
	flat_load_ubyte v105, v[8:9] offset:32 slc
	flat_load_ubyte v104, v[8:9] offset:64 slc
	;; [unrolled: 1-line block ×15, first 2 shown]
	s_clause 0xf
	flat_load_ubyte v22, v[10:11] slc
	flat_load_ubyte v80, v[10:11] offset:32 slc
	flat_load_ubyte v83, v[10:11] offset:64 slc
	;; [unrolled: 1-line block ×15, first 2 shown]
	s_and_b32 vcc_lo, exec_lo, s63
	s_mov_b32 s16, -1
                                        ; implicit-def: $vgpr107
	s_waitcnt vmcnt(31) lgkmcnt(31)
	v_cmp_gt_i16_sdwa s73, v106, v117 src0_sel:BYTE_0 src1_sel:DWORD
	s_cbranch_vccz .LBB4_2493
; %bb.2480:                             ;   in Loop: Header=BB4_2479 Depth=4
	s_mov_b32 s16, 0
	s_and_saveexec_b32 s74, s73
	s_xor_b32 s73, exec_lo, s74
	s_cbranch_execz .LBB4_3053
; %bb.2481:                             ;   in Loop: Header=BB4_2479 Depth=4
	v_cmp_eq_u16_sdwa s75, v106, v118 src0_sel:BYTE_0 src1_sel:DWORD
	s_mov_b32 s16, -1
	s_and_saveexec_b32 s74, s75
; %bb.2482:                             ;   in Loop: Header=BB4_2479 Depth=4
	s_xor_b32 s16, exec_lo, -1
; %bb.2483:                             ;   in Loop: Header=BB4_2479 Depth=4
	s_or_b32 exec_lo, exec_lo, s74
	s_and_b32 s16, s16, exec_lo
	s_or_saveexec_b32 s73, s73
	v_mov_b32_e32 v107, 0x7f800001
	s_xor_b32 exec_lo, exec_lo, s73
	s_cbranch_execnz .LBB4_3054
.LBB4_2484:                             ;   in Loop: Header=BB4_2479 Depth=4
	s_or_b32 exec_lo, exec_lo, s73
	s_and_saveexec_b32 s73, s16
	s_cbranch_execz .LBB4_2486
.LBB4_2485:                             ;   in Loop: Header=BB4_2479 Depth=4
	v_and_b32_e32 v107, 7, v106
	v_lshrrev_b16 v109, 3, v106
	v_lshlrev_b32_e32 v111, 24, v106
	v_ffbh_u32_e32 v108, v107
	v_and_b32_e32 v109, 15, v109
	v_min_u32_e32 v108, 32, v108
	v_cmp_eq_u32_e32 vcc_lo, 0, v109
	v_subrev_nc_u32_e32 v110, 28, v108
	v_sub_nc_u32_e32 v108, 29, v108
	v_lshlrev_b32_e32 v110, v110, v106
	v_cndmask_b32_e32 v108, v109, v108, vcc_lo
	v_and_b32_e32 v109, 0x80000000, v111
	v_and_b32_e32 v110, 7, v110
	v_lshl_add_u32 v108, v108, 23, 0x3b800000
	v_cndmask_b32_e32 v107, v107, v110, vcc_lo
	v_lshlrev_b32_e32 v107, 20, v107
	v_or3_b32 v107, v109, v108, v107
.LBB4_2486:                             ;   in Loop: Header=BB4_2479 Depth=4
	s_or_b32 exec_lo, exec_lo, s73
	s_waitcnt vmcnt(15) lgkmcnt(15)
	v_cmp_gt_i16_sdwa s73, v22, v117 src0_sel:BYTE_0 src1_sel:DWORD
	s_mov_b32 s16, 0
	s_and_saveexec_b32 s74, s73
	s_xor_b32 s73, exec_lo, s74
	s_cbranch_execz .LBB4_3055
; %bb.2487:                             ;   in Loop: Header=BB4_2479 Depth=4
	v_cmp_eq_u16_sdwa s75, v22, v118 src0_sel:BYTE_0 src1_sel:DWORD
	s_mov_b32 s16, -1
	s_and_saveexec_b32 s74, s75
; %bb.2488:                             ;   in Loop: Header=BB4_2479 Depth=4
	s_xor_b32 s16, exec_lo, -1
; %bb.2489:                             ;   in Loop: Header=BB4_2479 Depth=4
	s_or_b32 exec_lo, exec_lo, s74
	s_and_b32 s16, s16, exec_lo
	s_or_saveexec_b32 s73, s73
	v_mov_b32_e32 v108, 0x7f800001
	s_xor_b32 exec_lo, exec_lo, s73
	s_cbranch_execnz .LBB4_3056
.LBB4_2490:                             ;   in Loop: Header=BB4_2479 Depth=4
	s_or_b32 exec_lo, exec_lo, s73
	s_and_saveexec_b32 s73, s16
	s_cbranch_execz .LBB4_2492
.LBB4_2491:                             ;   in Loop: Header=BB4_2479 Depth=4
	v_and_b32_e32 v108, 7, v22
	v_lshrrev_b16 v110, 3, v22
	v_lshlrev_b32_e32 v120, 24, v22
	v_ffbh_u32_e32 v109, v108
	v_and_b32_e32 v110, 15, v110
	v_min_u32_e32 v109, 32, v109
	v_cmp_eq_u32_e32 vcc_lo, 0, v110
	v_subrev_nc_u32_e32 v111, 28, v109
	v_sub_nc_u32_e32 v109, 29, v109
	v_lshlrev_b32_e32 v111, v111, v22
	v_cndmask_b32_e32 v109, v110, v109, vcc_lo
	v_and_b32_e32 v110, 0x80000000, v120
	v_and_b32_e32 v111, 7, v111
	v_lshl_add_u32 v109, v109, 23, 0x3b800000
	v_cndmask_b32_e32 v108, v108, v111, vcc_lo
	v_lshlrev_b32_e32 v108, 20, v108
	v_or3_b32 v108, v110, v109, v108
.LBB4_2492:                             ;   in Loop: Header=BB4_2479 Depth=4
	s_or_b32 exec_lo, exec_lo, s73
	v_max_f32_e32 v108, v108, v108
	v_max_f32_e32 v107, v107, v107
	s_mov_b32 s16, 0
	v_max_f32_e32 v107, v107, v108
.LBB4_2493:                             ;   in Loop: Header=BB4_2479 Depth=4
	s_and_b32 vcc_lo, exec_lo, s16
	s_cbranch_vccz .LBB4_2507
; %bb.2494:                             ;   in Loop: Header=BB4_2479 Depth=4
	v_cmp_gt_i16_sdwa s73, v106, v117 src0_sel:BYTE_0 src1_sel:DWORD
	s_mov_b32 s16, 0
	s_and_saveexec_b32 s74, s73
	s_xor_b32 s73, exec_lo, s74
	s_cbranch_execz .LBB4_3057
; %bb.2495:                             ;   in Loop: Header=BB4_2479 Depth=4
	v_cmp_eq_u16_sdwa s75, v106, v118 src0_sel:BYTE_0 src1_sel:DWORD
	s_mov_b32 s16, -1
	s_and_saveexec_b32 s74, s75
; %bb.2496:                             ;   in Loop: Header=BB4_2479 Depth=4
	s_xor_b32 s16, exec_lo, -1
; %bb.2497:                             ;   in Loop: Header=BB4_2479 Depth=4
	s_or_b32 exec_lo, exec_lo, s74
	s_and_b32 s16, s16, exec_lo
	s_or_saveexec_b32 s73, s73
	v_mov_b32_e32 v107, 0x7f800001
	s_xor_b32 exec_lo, exec_lo, s73
	s_cbranch_execnz .LBB4_3058
.LBB4_2498:                             ;   in Loop: Header=BB4_2479 Depth=4
	s_or_b32 exec_lo, exec_lo, s73
	s_and_saveexec_b32 s73, s16
	s_cbranch_execz .LBB4_2500
.LBB4_2499:                             ;   in Loop: Header=BB4_2479 Depth=4
	v_and_b32_e32 v107, 7, v106
	v_lshrrev_b16 v109, 3, v106
	v_ffbh_u32_e32 v108, v107
	v_and_b32_e32 v109, 15, v109
	v_min_u32_e32 v108, 32, v108
	v_cmp_eq_u32_e32 vcc_lo, 0, v109
	v_subrev_nc_u32_e32 v110, 28, v108
	v_sub_nc_u32_e32 v108, 29, v108
	v_lshlrev_b32_e32 v110, v110, v106
	v_lshlrev_b32_e32 v106, 24, v106
	v_cndmask_b32_e32 v108, v109, v108, vcc_lo
	v_and_b32_e32 v110, 7, v110
	v_and_b32_e32 v106, 0x80000000, v106
	v_lshl_add_u32 v108, v108, 23, 0x3b800000
	v_cndmask_b32_e32 v107, v107, v110, vcc_lo
	v_lshlrev_b32_e32 v107, 20, v107
	v_or3_b32 v107, v106, v108, v107
.LBB4_2500:                             ;   in Loop: Header=BB4_2479 Depth=4
	s_or_b32 exec_lo, exec_lo, s73
	s_waitcnt vmcnt(15) lgkmcnt(15)
	v_cmp_gt_i16_sdwa s73, v22, v117 src0_sel:BYTE_0 src1_sel:DWORD
	s_mov_b32 s16, 0
	s_and_saveexec_b32 s74, s73
	s_xor_b32 s73, exec_lo, s74
	s_cbranch_execz .LBB4_3059
; %bb.2501:                             ;   in Loop: Header=BB4_2479 Depth=4
	v_cmp_eq_u16_sdwa s75, v22, v118 src0_sel:BYTE_0 src1_sel:DWORD
	s_mov_b32 s16, -1
	s_and_saveexec_b32 s74, s75
; %bb.2502:                             ;   in Loop: Header=BB4_2479 Depth=4
	s_xor_b32 s16, exec_lo, -1
; %bb.2503:                             ;   in Loop: Header=BB4_2479 Depth=4
	s_or_b32 exec_lo, exec_lo, s74
	s_and_b32 s16, s16, exec_lo
	s_or_saveexec_b32 s73, s73
	v_mov_b32_e32 v106, 0x7f800001
	s_xor_b32 exec_lo, exec_lo, s73
	s_cbranch_execnz .LBB4_3060
.LBB4_2504:                             ;   in Loop: Header=BB4_2479 Depth=4
	s_or_b32 exec_lo, exec_lo, s73
	s_and_saveexec_b32 s73, s16
	s_cbranch_execz .LBB4_2506
.LBB4_2505:                             ;   in Loop: Header=BB4_2479 Depth=4
	v_and_b32_e32 v106, 7, v22
	v_lshrrev_b16 v109, 3, v22
	v_ffbh_u32_e32 v108, v106
	v_and_b32_e32 v109, 15, v109
	v_min_u32_e32 v108, 32, v108
	v_cmp_eq_u32_e32 vcc_lo, 0, v109
	v_subrev_nc_u32_e32 v110, 28, v108
	v_sub_nc_u32_e32 v108, 29, v108
	v_lshlrev_b32_e32 v110, v110, v22
	v_lshlrev_b32_e32 v22, 24, v22
	v_cndmask_b32_e32 v108, v109, v108, vcc_lo
	v_and_b32_e32 v110, 7, v110
	v_and_b32_e32 v22, 0x80000000, v22
	v_lshl_add_u32 v108, v108, 23, 0x3b800000
	v_cndmask_b32_e32 v106, v106, v110, vcc_lo
	v_lshlrev_b32_e32 v106, 20, v106
	v_or3_b32 v106, v22, v108, v106
.LBB4_2506:                             ;   in Loop: Header=BB4_2479 Depth=4
	s_or_b32 exec_lo, exec_lo, s73
	v_max_f32_e32 v22, v106, v106
	v_max_f32_e32 v106, v107, v107
	v_min_f32_e32 v107, v106, v22
.LBB4_2507:                             ;   in Loop: Header=BB4_2479 Depth=4
	s_waitcnt vmcnt(15) lgkmcnt(15)
	v_and_b32_e32 v22, 0x7f800000, v107
	v_cmp_ne_u32_e32 vcc_lo, 0x7f800000, v22
	v_mov_b32_e32 v22, 0x80
	s_and_saveexec_b32 s73, vcc_lo
	s_cbranch_execz .LBB4_2515
; %bb.2508:                             ;   in Loop: Header=BB4_2479 Depth=4
	v_mov_b32_e32 v22, 0
	s_mov_b32 s74, exec_lo
	v_cmpx_ne_u32_e32 0, v107
	s_cbranch_execz .LBB4_2514
; %bb.2509:                             ;   in Loop: Header=BB4_2479 Depth=4
	v_bfe_u32 v22, v107, 23, 8
	v_and_b32_e32 v106, 0x7fffff, v107
	v_sub_nc_u32_e32 v108, 0x78, v22
	v_cmp_gt_u32_e32 vcc_lo, 0x79, v22
	v_or_b32_e32 v109, 0x800000, v106
	v_cndmask_b32_e32 v108, 0, v108, vcc_lo
	v_cmp_eq_u32_e32 vcc_lo, 0, v22
	v_add_nc_u32_e32 v22, 0xffffff89, v22
	v_cndmask_b32_e64 v108, v108, 0x77, vcc_lo
	v_cndmask_b32_e32 v106, v109, v106, vcc_lo
	v_cndmask_b32_e64 v22, v22, 0xffffff8a, vcc_lo
	v_lshl_add_u32 v109, 0x100000, v108, -1
	v_lshrrev_b32_e32 v110, v108, v106
	v_lshlrev_b32_e64 v120, v108, 0x80000
	v_add_nc_u32_e32 v108, v108, v22
	v_and_b32_e32 v106, v109, v106
	v_bfe_u32 v111, v110, 20, 1
	v_cmp_eq_u32_e64 s16, v106, v120
	v_add_nc_u32_e32 v109, -1, v111
	v_cndmask_b32_e64 v106, 0, v109, s16
	v_lshrrev_b32_e32 v109, 23, v110
	s_mov_b32 s16, exec_lo
	v_add_nc_u32_e32 v106, v106, v110
	v_xor_b32_e32 v109, 1, v109
	v_and_b32_e32 v22, 0xfffff, v106
	v_add_nc_u32_e32 v106, v22, v110
                                        ; implicit-def: $vgpr22
	v_cmpx_ne_u32_e64 v108, v109
	s_xor_b32 s16, exec_lo, s16
; %bb.2510:                             ;   in Loop: Header=BB4_2479 Depth=4
	v_cmp_lt_u32_e32 vcc_lo, 0xffffff, v106
	v_sub_nc_u32_e32 v22, v108, v109
	v_cndmask_b32_e64 v108, 0, 1, vcc_lo
	v_add_co_ci_u32_e64 v22, null, 0, v22, vcc_lo
	v_lshrrev_b32_e32 v106, v108, v106
; %bb.2511:                             ;   in Loop: Header=BB4_2479 Depth=4
	s_andn2_saveexec_b32 s16, s16
; %bb.2512:                             ;   in Loop: Header=BB4_2479 Depth=4
	v_bfe_u32 v22, v106, 23, 1
; %bb.2513:                             ;   in Loop: Header=BB4_2479 Depth=4
	s_or_b32 exec_lo, exec_lo, s16
	v_lshrrev_b32_e32 v106, 20, v106
	v_cmp_gt_i32_e32 vcc_lo, 16, v22
	v_min_i32_e32 v108, 15, v22
	v_and_b32_sdwa v107, v107, v118 dst_sel:DWORD dst_unused:UNUSED_PAD src0_sel:BYTE_3 src1_sel:DWORD
	v_cndmask_b32_e32 v106, 7, v106, vcc_lo
	v_lshlrev_b32_e32 v108, 3, v108
	v_and_b32_e32 v109, 7, v106
	v_or_b32_e32 v22, v22, v106
	v_or3_b32 v106, v108, v107, v109
	v_cmp_ne_u32_e32 vcc_lo, 0, v22
	v_cndmask_b32_e32 v22, 0, v106, vcc_lo
.LBB4_2514:                             ;   in Loop: Header=BB4_2479 Depth=4
	s_or_b32 exec_lo, exec_lo, s74
.LBB4_2515:                             ;   in Loop: Header=BB4_2479 Depth=4
	s_or_b32 exec_lo, exec_lo, s73
	v_cmp_gt_i16_sdwa s73, v105, v117 src0_sel:BYTE_0 src1_sel:DWORD
	s_andn2_b32 vcc_lo, exec_lo, s63
	s_mov_b32 s16, -1
                                        ; implicit-def: $vgpr106
	s_cbranch_vccnz .LBB4_2529
; %bb.2516:                             ;   in Loop: Header=BB4_2479 Depth=4
	s_mov_b32 s16, 0
	s_and_saveexec_b32 s74, s73
	s_xor_b32 s73, exec_lo, s74
	s_cbranch_execz .LBB4_3061
; %bb.2517:                             ;   in Loop: Header=BB4_2479 Depth=4
	v_cmp_eq_u16_sdwa s75, v105, v118 src0_sel:BYTE_0 src1_sel:DWORD
	s_mov_b32 s16, -1
	s_and_saveexec_b32 s74, s75
; %bb.2518:                             ;   in Loop: Header=BB4_2479 Depth=4
	s_xor_b32 s16, exec_lo, -1
; %bb.2519:                             ;   in Loop: Header=BB4_2479 Depth=4
	s_or_b32 exec_lo, exec_lo, s74
	s_and_b32 s16, s16, exec_lo
	s_or_saveexec_b32 s73, s73
	v_mov_b32_e32 v106, 0x7f800001
	s_xor_b32 exec_lo, exec_lo, s73
	s_cbranch_execnz .LBB4_3062
.LBB4_2520:                             ;   in Loop: Header=BB4_2479 Depth=4
	s_or_b32 exec_lo, exec_lo, s73
	s_and_saveexec_b32 s73, s16
	s_cbranch_execz .LBB4_2522
.LBB4_2521:                             ;   in Loop: Header=BB4_2479 Depth=4
	v_and_b32_e32 v106, 7, v105
	v_lshrrev_b16 v108, 3, v105
	v_lshlrev_b32_e32 v110, 24, v105
	v_ffbh_u32_e32 v107, v106
	v_and_b32_e32 v108, 15, v108
	v_min_u32_e32 v107, 32, v107
	v_cmp_eq_u32_e32 vcc_lo, 0, v108
	v_subrev_nc_u32_e32 v109, 28, v107
	v_sub_nc_u32_e32 v107, 29, v107
	v_lshlrev_b32_e32 v109, v109, v105
	v_cndmask_b32_e32 v107, v108, v107, vcc_lo
	v_and_b32_e32 v108, 0x80000000, v110
	v_and_b32_e32 v109, 7, v109
	v_lshl_add_u32 v107, v107, 23, 0x3b800000
	v_cndmask_b32_e32 v106, v106, v109, vcc_lo
	v_lshlrev_b32_e32 v106, 20, v106
	v_or3_b32 v106, v108, v107, v106
.LBB4_2522:                             ;   in Loop: Header=BB4_2479 Depth=4
	s_or_b32 exec_lo, exec_lo, s73
	s_waitcnt vmcnt(14) lgkmcnt(14)
	v_cmp_gt_i16_sdwa s73, v80, v117 src0_sel:BYTE_0 src1_sel:DWORD
	s_mov_b32 s16, 0
	s_and_saveexec_b32 s74, s73
	s_xor_b32 s73, exec_lo, s74
	s_cbranch_execz .LBB4_3063
; %bb.2523:                             ;   in Loop: Header=BB4_2479 Depth=4
	v_cmp_eq_u16_sdwa s75, v80, v118 src0_sel:BYTE_0 src1_sel:DWORD
	s_mov_b32 s16, -1
	s_and_saveexec_b32 s74, s75
; %bb.2524:                             ;   in Loop: Header=BB4_2479 Depth=4
	s_xor_b32 s16, exec_lo, -1
; %bb.2525:                             ;   in Loop: Header=BB4_2479 Depth=4
	s_or_b32 exec_lo, exec_lo, s74
	s_and_b32 s16, s16, exec_lo
	s_or_saveexec_b32 s73, s73
	v_mov_b32_e32 v107, 0x7f800001
	s_xor_b32 exec_lo, exec_lo, s73
	s_cbranch_execnz .LBB4_3064
.LBB4_2526:                             ;   in Loop: Header=BB4_2479 Depth=4
	s_or_b32 exec_lo, exec_lo, s73
	s_and_saveexec_b32 s73, s16
	s_cbranch_execz .LBB4_2528
.LBB4_2527:                             ;   in Loop: Header=BB4_2479 Depth=4
	v_and_b32_e32 v107, 7, v80
	v_lshrrev_b16 v109, 3, v80
	v_lshlrev_b32_e32 v111, 24, v80
	v_ffbh_u32_e32 v108, v107
	v_and_b32_e32 v109, 15, v109
	v_min_u32_e32 v108, 32, v108
	v_cmp_eq_u32_e32 vcc_lo, 0, v109
	v_subrev_nc_u32_e32 v110, 28, v108
	v_sub_nc_u32_e32 v108, 29, v108
	v_lshlrev_b32_e32 v110, v110, v80
	v_cndmask_b32_e32 v108, v109, v108, vcc_lo
	v_and_b32_e32 v109, 0x80000000, v111
	v_and_b32_e32 v110, 7, v110
	v_lshl_add_u32 v108, v108, 23, 0x3b800000
	v_cndmask_b32_e32 v107, v107, v110, vcc_lo
	v_lshlrev_b32_e32 v107, 20, v107
	v_or3_b32 v107, v109, v108, v107
.LBB4_2528:                             ;   in Loop: Header=BB4_2479 Depth=4
	s_or_b32 exec_lo, exec_lo, s73
	v_max_f32_e32 v107, v107, v107
	v_max_f32_e32 v106, v106, v106
	s_mov_b32 s16, 0
	v_max_f32_e32 v106, v106, v107
.LBB4_2529:                             ;   in Loop: Header=BB4_2479 Depth=4
	s_and_b32 vcc_lo, exec_lo, s16
	s_cbranch_vccz .LBB4_2543
; %bb.2530:                             ;   in Loop: Header=BB4_2479 Depth=4
	v_cmp_gt_i16_sdwa s73, v105, v117 src0_sel:BYTE_0 src1_sel:DWORD
	s_mov_b32 s16, 0
	s_and_saveexec_b32 s74, s73
	s_xor_b32 s73, exec_lo, s74
	s_cbranch_execz .LBB4_3065
; %bb.2531:                             ;   in Loop: Header=BB4_2479 Depth=4
	v_cmp_eq_u16_sdwa s75, v105, v118 src0_sel:BYTE_0 src1_sel:DWORD
	s_mov_b32 s16, -1
	s_and_saveexec_b32 s74, s75
; %bb.2532:                             ;   in Loop: Header=BB4_2479 Depth=4
	s_xor_b32 s16, exec_lo, -1
; %bb.2533:                             ;   in Loop: Header=BB4_2479 Depth=4
	s_or_b32 exec_lo, exec_lo, s74
	s_and_b32 s16, s16, exec_lo
	s_or_saveexec_b32 s73, s73
	v_mov_b32_e32 v106, 0x7f800001
	s_xor_b32 exec_lo, exec_lo, s73
	s_cbranch_execnz .LBB4_3066
.LBB4_2534:                             ;   in Loop: Header=BB4_2479 Depth=4
	s_or_b32 exec_lo, exec_lo, s73
	s_and_saveexec_b32 s73, s16
	s_cbranch_execz .LBB4_2536
.LBB4_2535:                             ;   in Loop: Header=BB4_2479 Depth=4
	v_and_b32_e32 v106, 7, v105
	v_lshrrev_b16 v108, 3, v105
	v_ffbh_u32_e32 v107, v106
	v_and_b32_e32 v108, 15, v108
	v_min_u32_e32 v107, 32, v107
	v_cmp_eq_u32_e32 vcc_lo, 0, v108
	v_subrev_nc_u32_e32 v109, 28, v107
	v_sub_nc_u32_e32 v107, 29, v107
	v_lshlrev_b32_e32 v109, v109, v105
	v_lshlrev_b32_e32 v105, 24, v105
	v_cndmask_b32_e32 v107, v108, v107, vcc_lo
	v_and_b32_e32 v109, 7, v109
	v_and_b32_e32 v105, 0x80000000, v105
	v_lshl_add_u32 v107, v107, 23, 0x3b800000
	v_cndmask_b32_e32 v106, v106, v109, vcc_lo
	v_lshlrev_b32_e32 v106, 20, v106
	v_or3_b32 v106, v105, v107, v106
.LBB4_2536:                             ;   in Loop: Header=BB4_2479 Depth=4
	s_or_b32 exec_lo, exec_lo, s73
	s_waitcnt vmcnt(14) lgkmcnt(14)
	v_cmp_gt_i16_sdwa s73, v80, v117 src0_sel:BYTE_0 src1_sel:DWORD
	s_mov_b32 s16, 0
	s_and_saveexec_b32 s74, s73
	s_xor_b32 s73, exec_lo, s74
	s_cbranch_execz .LBB4_3067
; %bb.2537:                             ;   in Loop: Header=BB4_2479 Depth=4
	v_cmp_eq_u16_sdwa s75, v80, v118 src0_sel:BYTE_0 src1_sel:DWORD
	s_mov_b32 s16, -1
	s_and_saveexec_b32 s74, s75
; %bb.2538:                             ;   in Loop: Header=BB4_2479 Depth=4
	s_xor_b32 s16, exec_lo, -1
; %bb.2539:                             ;   in Loop: Header=BB4_2479 Depth=4
	s_or_b32 exec_lo, exec_lo, s74
	s_and_b32 s16, s16, exec_lo
	s_or_saveexec_b32 s73, s73
	v_mov_b32_e32 v105, 0x7f800001
	s_xor_b32 exec_lo, exec_lo, s73
	s_cbranch_execnz .LBB4_3068
.LBB4_2540:                             ;   in Loop: Header=BB4_2479 Depth=4
	s_or_b32 exec_lo, exec_lo, s73
	s_and_saveexec_b32 s73, s16
	s_cbranch_execz .LBB4_2542
.LBB4_2541:                             ;   in Loop: Header=BB4_2479 Depth=4
	v_and_b32_e32 v105, 7, v80
	v_lshrrev_b16 v108, 3, v80
	v_ffbh_u32_e32 v107, v105
	v_and_b32_e32 v108, 15, v108
	v_min_u32_e32 v107, 32, v107
	v_cmp_eq_u32_e32 vcc_lo, 0, v108
	v_subrev_nc_u32_e32 v109, 28, v107
	v_sub_nc_u32_e32 v107, 29, v107
	v_lshlrev_b32_e32 v109, v109, v80
	v_lshlrev_b32_e32 v80, 24, v80
	v_cndmask_b32_e32 v107, v108, v107, vcc_lo
	v_and_b32_e32 v109, 7, v109
	v_and_b32_e32 v80, 0x80000000, v80
	v_lshl_add_u32 v107, v107, 23, 0x3b800000
	v_cndmask_b32_e32 v105, v105, v109, vcc_lo
	v_lshlrev_b32_e32 v105, 20, v105
	v_or3_b32 v105, v80, v107, v105
.LBB4_2542:                             ;   in Loop: Header=BB4_2479 Depth=4
	s_or_b32 exec_lo, exec_lo, s73
	v_max_f32_e32 v80, v105, v105
	v_max_f32_e32 v105, v106, v106
	v_min_f32_e32 v106, v105, v80
.LBB4_2543:                             ;   in Loop: Header=BB4_2479 Depth=4
	s_waitcnt vmcnt(14) lgkmcnt(14)
	v_and_b32_e32 v80, 0x7f800000, v106
	v_cmp_ne_u32_e32 vcc_lo, 0x7f800000, v80
	v_mov_b32_e32 v80, 0x80
	s_and_saveexec_b32 s73, vcc_lo
	s_cbranch_execz .LBB4_2551
; %bb.2544:                             ;   in Loop: Header=BB4_2479 Depth=4
	v_mov_b32_e32 v80, 0
	s_mov_b32 s74, exec_lo
	v_cmpx_ne_u32_e32 0, v106
	s_cbranch_execz .LBB4_2550
; %bb.2545:                             ;   in Loop: Header=BB4_2479 Depth=4
	v_bfe_u32 v80, v106, 23, 8
	v_and_b32_e32 v105, 0x7fffff, v106
	v_sub_nc_u32_e32 v107, 0x78, v80
	v_cmp_gt_u32_e32 vcc_lo, 0x79, v80
	v_or_b32_e32 v108, 0x800000, v105
	v_cndmask_b32_e32 v107, 0, v107, vcc_lo
	v_cmp_eq_u32_e32 vcc_lo, 0, v80
	v_add_nc_u32_e32 v80, 0xffffff89, v80
	v_cndmask_b32_e64 v107, v107, 0x77, vcc_lo
	v_cndmask_b32_e32 v105, v108, v105, vcc_lo
	v_cndmask_b32_e64 v80, v80, 0xffffff8a, vcc_lo
	v_lshl_add_u32 v108, 0x100000, v107, -1
	v_lshrrev_b32_e32 v109, v107, v105
	v_lshlrev_b32_e64 v111, v107, 0x80000
	v_add_nc_u32_e32 v107, v107, v80
	v_and_b32_e32 v105, v108, v105
	v_bfe_u32 v110, v109, 20, 1
	v_cmp_eq_u32_e64 s16, v105, v111
	v_add_nc_u32_e32 v108, -1, v110
	v_cndmask_b32_e64 v105, 0, v108, s16
	v_lshrrev_b32_e32 v108, 23, v109
	s_mov_b32 s16, exec_lo
	v_add_nc_u32_e32 v105, v105, v109
	v_xor_b32_e32 v108, 1, v108
	v_and_b32_e32 v80, 0xfffff, v105
	v_add_nc_u32_e32 v105, v80, v109
                                        ; implicit-def: $vgpr80
	v_cmpx_ne_u32_e64 v107, v108
	s_xor_b32 s16, exec_lo, s16
; %bb.2546:                             ;   in Loop: Header=BB4_2479 Depth=4
	v_cmp_lt_u32_e32 vcc_lo, 0xffffff, v105
	v_sub_nc_u32_e32 v80, v107, v108
	v_cndmask_b32_e64 v107, 0, 1, vcc_lo
	v_add_co_ci_u32_e64 v80, null, 0, v80, vcc_lo
	v_lshrrev_b32_e32 v105, v107, v105
; %bb.2547:                             ;   in Loop: Header=BB4_2479 Depth=4
	s_andn2_saveexec_b32 s16, s16
; %bb.2548:                             ;   in Loop: Header=BB4_2479 Depth=4
	v_bfe_u32 v80, v105, 23, 1
; %bb.2549:                             ;   in Loop: Header=BB4_2479 Depth=4
	s_or_b32 exec_lo, exec_lo, s16
	v_lshrrev_b32_e32 v105, 20, v105
	v_cmp_gt_i32_e32 vcc_lo, 16, v80
	v_min_i32_e32 v107, 15, v80
	v_and_b32_sdwa v106, v106, v118 dst_sel:DWORD dst_unused:UNUSED_PAD src0_sel:BYTE_3 src1_sel:DWORD
	v_cndmask_b32_e32 v105, 7, v105, vcc_lo
	v_lshlrev_b32_e32 v107, 3, v107
	v_and_b32_e32 v108, 7, v105
	v_or_b32_e32 v80, v80, v105
	v_or3_b32 v105, v107, v106, v108
	v_cmp_ne_u32_e32 vcc_lo, 0, v80
	v_cndmask_b32_e32 v80, 0, v105, vcc_lo
.LBB4_2550:                             ;   in Loop: Header=BB4_2479 Depth=4
	s_or_b32 exec_lo, exec_lo, s74
.LBB4_2551:                             ;   in Loop: Header=BB4_2479 Depth=4
	s_or_b32 exec_lo, exec_lo, s73
	v_cmp_gt_i16_sdwa s73, v104, v117 src0_sel:BYTE_0 src1_sel:DWORD
	s_andn2_b32 vcc_lo, exec_lo, s63
	s_mov_b32 s16, -1
                                        ; implicit-def: $vgpr105
	s_cbranch_vccnz .LBB4_2565
; %bb.2552:                             ;   in Loop: Header=BB4_2479 Depth=4
	s_mov_b32 s16, 0
	s_and_saveexec_b32 s74, s73
	s_xor_b32 s73, exec_lo, s74
	s_cbranch_execz .LBB4_3069
; %bb.2553:                             ;   in Loop: Header=BB4_2479 Depth=4
	v_cmp_eq_u16_sdwa s75, v104, v118 src0_sel:BYTE_0 src1_sel:DWORD
	s_mov_b32 s16, -1
	s_and_saveexec_b32 s74, s75
; %bb.2554:                             ;   in Loop: Header=BB4_2479 Depth=4
	s_xor_b32 s16, exec_lo, -1
; %bb.2555:                             ;   in Loop: Header=BB4_2479 Depth=4
	s_or_b32 exec_lo, exec_lo, s74
	s_and_b32 s16, s16, exec_lo
	s_or_saveexec_b32 s73, s73
	v_mov_b32_e32 v105, 0x7f800001
	s_xor_b32 exec_lo, exec_lo, s73
	s_cbranch_execnz .LBB4_3070
.LBB4_2556:                             ;   in Loop: Header=BB4_2479 Depth=4
	s_or_b32 exec_lo, exec_lo, s73
	s_and_saveexec_b32 s73, s16
	s_cbranch_execz .LBB4_2558
.LBB4_2557:                             ;   in Loop: Header=BB4_2479 Depth=4
	v_and_b32_e32 v105, 7, v104
	v_lshrrev_b16 v107, 3, v104
	v_lshlrev_b32_e32 v109, 24, v104
	v_ffbh_u32_e32 v106, v105
	v_and_b32_e32 v107, 15, v107
	v_min_u32_e32 v106, 32, v106
	v_cmp_eq_u32_e32 vcc_lo, 0, v107
	v_subrev_nc_u32_e32 v108, 28, v106
	v_sub_nc_u32_e32 v106, 29, v106
	v_lshlrev_b32_e32 v108, v108, v104
	v_cndmask_b32_e32 v106, v107, v106, vcc_lo
	v_and_b32_e32 v107, 0x80000000, v109
	v_and_b32_e32 v108, 7, v108
	v_lshl_add_u32 v106, v106, 23, 0x3b800000
	v_cndmask_b32_e32 v105, v105, v108, vcc_lo
	v_lshlrev_b32_e32 v105, 20, v105
	v_or3_b32 v105, v107, v106, v105
.LBB4_2558:                             ;   in Loop: Header=BB4_2479 Depth=4
	s_or_b32 exec_lo, exec_lo, s73
	s_waitcnt vmcnt(13) lgkmcnt(13)
	v_cmp_gt_i16_sdwa s73, v83, v117 src0_sel:BYTE_0 src1_sel:DWORD
	s_mov_b32 s16, 0
	s_and_saveexec_b32 s74, s73
	s_xor_b32 s73, exec_lo, s74
	s_cbranch_execz .LBB4_3071
; %bb.2559:                             ;   in Loop: Header=BB4_2479 Depth=4
	v_cmp_eq_u16_sdwa s75, v83, v118 src0_sel:BYTE_0 src1_sel:DWORD
	s_mov_b32 s16, -1
	s_and_saveexec_b32 s74, s75
; %bb.2560:                             ;   in Loop: Header=BB4_2479 Depth=4
	s_xor_b32 s16, exec_lo, -1
; %bb.2561:                             ;   in Loop: Header=BB4_2479 Depth=4
	s_or_b32 exec_lo, exec_lo, s74
	s_and_b32 s16, s16, exec_lo
	s_or_saveexec_b32 s73, s73
	v_mov_b32_e32 v106, 0x7f800001
	s_xor_b32 exec_lo, exec_lo, s73
	s_cbranch_execnz .LBB4_3072
.LBB4_2562:                             ;   in Loop: Header=BB4_2479 Depth=4
	s_or_b32 exec_lo, exec_lo, s73
	s_and_saveexec_b32 s73, s16
	s_cbranch_execz .LBB4_2564
.LBB4_2563:                             ;   in Loop: Header=BB4_2479 Depth=4
	v_and_b32_e32 v106, 7, v83
	v_lshrrev_b16 v108, 3, v83
	v_lshlrev_b32_e32 v110, 24, v83
	v_ffbh_u32_e32 v107, v106
	v_and_b32_e32 v108, 15, v108
	v_min_u32_e32 v107, 32, v107
	v_cmp_eq_u32_e32 vcc_lo, 0, v108
	v_subrev_nc_u32_e32 v109, 28, v107
	v_sub_nc_u32_e32 v107, 29, v107
	v_lshlrev_b32_e32 v109, v109, v83
	v_cndmask_b32_e32 v107, v108, v107, vcc_lo
	v_and_b32_e32 v108, 0x80000000, v110
	v_and_b32_e32 v109, 7, v109
	v_lshl_add_u32 v107, v107, 23, 0x3b800000
	v_cndmask_b32_e32 v106, v106, v109, vcc_lo
	v_lshlrev_b32_e32 v106, 20, v106
	v_or3_b32 v106, v108, v107, v106
.LBB4_2564:                             ;   in Loop: Header=BB4_2479 Depth=4
	s_or_b32 exec_lo, exec_lo, s73
	v_max_f32_e32 v106, v106, v106
	v_max_f32_e32 v105, v105, v105
	s_mov_b32 s16, 0
	v_max_f32_e32 v105, v105, v106
.LBB4_2565:                             ;   in Loop: Header=BB4_2479 Depth=4
	s_and_b32 vcc_lo, exec_lo, s16
	s_cbranch_vccz .LBB4_2579
; %bb.2566:                             ;   in Loop: Header=BB4_2479 Depth=4
	v_cmp_gt_i16_sdwa s73, v104, v117 src0_sel:BYTE_0 src1_sel:DWORD
	s_mov_b32 s16, 0
	s_and_saveexec_b32 s74, s73
	s_xor_b32 s73, exec_lo, s74
	s_cbranch_execz .LBB4_3073
; %bb.2567:                             ;   in Loop: Header=BB4_2479 Depth=4
	v_cmp_eq_u16_sdwa s75, v104, v118 src0_sel:BYTE_0 src1_sel:DWORD
	s_mov_b32 s16, -1
	s_and_saveexec_b32 s74, s75
; %bb.2568:                             ;   in Loop: Header=BB4_2479 Depth=4
	s_xor_b32 s16, exec_lo, -1
; %bb.2569:                             ;   in Loop: Header=BB4_2479 Depth=4
	s_or_b32 exec_lo, exec_lo, s74
	s_and_b32 s16, s16, exec_lo
	s_or_saveexec_b32 s73, s73
	v_mov_b32_e32 v105, 0x7f800001
	s_xor_b32 exec_lo, exec_lo, s73
	s_cbranch_execnz .LBB4_3074
.LBB4_2570:                             ;   in Loop: Header=BB4_2479 Depth=4
	s_or_b32 exec_lo, exec_lo, s73
	s_and_saveexec_b32 s73, s16
	s_cbranch_execz .LBB4_2572
.LBB4_2571:                             ;   in Loop: Header=BB4_2479 Depth=4
	v_and_b32_e32 v105, 7, v104
	v_lshrrev_b16 v107, 3, v104
	v_ffbh_u32_e32 v106, v105
	v_and_b32_e32 v107, 15, v107
	v_min_u32_e32 v106, 32, v106
	v_cmp_eq_u32_e32 vcc_lo, 0, v107
	v_subrev_nc_u32_e32 v108, 28, v106
	v_sub_nc_u32_e32 v106, 29, v106
	v_lshlrev_b32_e32 v108, v108, v104
	v_lshlrev_b32_e32 v104, 24, v104
	v_cndmask_b32_e32 v106, v107, v106, vcc_lo
	v_and_b32_e32 v108, 7, v108
	v_and_b32_e32 v104, 0x80000000, v104
	v_lshl_add_u32 v106, v106, 23, 0x3b800000
	v_cndmask_b32_e32 v105, v105, v108, vcc_lo
	v_lshlrev_b32_e32 v105, 20, v105
	v_or3_b32 v105, v104, v106, v105
.LBB4_2572:                             ;   in Loop: Header=BB4_2479 Depth=4
	s_or_b32 exec_lo, exec_lo, s73
	s_waitcnt vmcnt(13) lgkmcnt(13)
	v_cmp_gt_i16_sdwa s73, v83, v117 src0_sel:BYTE_0 src1_sel:DWORD
	s_mov_b32 s16, 0
	s_and_saveexec_b32 s74, s73
	s_xor_b32 s73, exec_lo, s74
	s_cbranch_execz .LBB4_3075
; %bb.2573:                             ;   in Loop: Header=BB4_2479 Depth=4
	v_cmp_eq_u16_sdwa s75, v83, v118 src0_sel:BYTE_0 src1_sel:DWORD
	s_mov_b32 s16, -1
	s_and_saveexec_b32 s74, s75
; %bb.2574:                             ;   in Loop: Header=BB4_2479 Depth=4
	s_xor_b32 s16, exec_lo, -1
; %bb.2575:                             ;   in Loop: Header=BB4_2479 Depth=4
	s_or_b32 exec_lo, exec_lo, s74
	s_and_b32 s16, s16, exec_lo
	s_or_saveexec_b32 s73, s73
	v_mov_b32_e32 v104, 0x7f800001
	s_xor_b32 exec_lo, exec_lo, s73
	s_cbranch_execnz .LBB4_3076
.LBB4_2576:                             ;   in Loop: Header=BB4_2479 Depth=4
	s_or_b32 exec_lo, exec_lo, s73
	s_and_saveexec_b32 s73, s16
	s_cbranch_execz .LBB4_2578
.LBB4_2577:                             ;   in Loop: Header=BB4_2479 Depth=4
	v_and_b32_e32 v104, 7, v83
	v_lshrrev_b16 v107, 3, v83
	v_ffbh_u32_e32 v106, v104
	v_and_b32_e32 v107, 15, v107
	v_min_u32_e32 v106, 32, v106
	v_cmp_eq_u32_e32 vcc_lo, 0, v107
	v_subrev_nc_u32_e32 v108, 28, v106
	v_sub_nc_u32_e32 v106, 29, v106
	v_lshlrev_b32_e32 v108, v108, v83
	v_lshlrev_b32_e32 v83, 24, v83
	v_cndmask_b32_e32 v106, v107, v106, vcc_lo
	v_and_b32_e32 v108, 7, v108
	v_and_b32_e32 v83, 0x80000000, v83
	v_lshl_add_u32 v106, v106, 23, 0x3b800000
	v_cndmask_b32_e32 v104, v104, v108, vcc_lo
	v_lshlrev_b32_e32 v104, 20, v104
	v_or3_b32 v104, v83, v106, v104
.LBB4_2578:                             ;   in Loop: Header=BB4_2479 Depth=4
	s_or_b32 exec_lo, exec_lo, s73
	v_max_f32_e32 v83, v104, v104
	v_max_f32_e32 v104, v105, v105
	v_min_f32_e32 v105, v104, v83
.LBB4_2579:                             ;   in Loop: Header=BB4_2479 Depth=4
	s_waitcnt vmcnt(13) lgkmcnt(13)
	v_and_b32_e32 v83, 0x7f800000, v105
	v_cmp_ne_u32_e32 vcc_lo, 0x7f800000, v83
	v_mov_b32_e32 v83, 0x80
	s_and_saveexec_b32 s73, vcc_lo
	s_cbranch_execz .LBB4_2587
; %bb.2580:                             ;   in Loop: Header=BB4_2479 Depth=4
	v_mov_b32_e32 v83, 0
	s_mov_b32 s74, exec_lo
	v_cmpx_ne_u32_e32 0, v105
	s_cbranch_execz .LBB4_2586
; %bb.2581:                             ;   in Loop: Header=BB4_2479 Depth=4
	v_bfe_u32 v83, v105, 23, 8
	v_and_b32_e32 v104, 0x7fffff, v105
	v_sub_nc_u32_e32 v106, 0x78, v83
	v_cmp_gt_u32_e32 vcc_lo, 0x79, v83
	v_or_b32_e32 v107, 0x800000, v104
	v_cndmask_b32_e32 v106, 0, v106, vcc_lo
	v_cmp_eq_u32_e32 vcc_lo, 0, v83
	v_add_nc_u32_e32 v83, 0xffffff89, v83
	v_cndmask_b32_e64 v106, v106, 0x77, vcc_lo
	v_cndmask_b32_e32 v104, v107, v104, vcc_lo
	v_cndmask_b32_e64 v83, v83, 0xffffff8a, vcc_lo
	v_lshl_add_u32 v107, 0x100000, v106, -1
	v_lshrrev_b32_e32 v108, v106, v104
	v_lshlrev_b32_e64 v110, v106, 0x80000
	v_add_nc_u32_e32 v106, v106, v83
	v_and_b32_e32 v104, v107, v104
	v_bfe_u32 v109, v108, 20, 1
	v_cmp_eq_u32_e64 s16, v104, v110
	v_add_nc_u32_e32 v107, -1, v109
	v_cndmask_b32_e64 v104, 0, v107, s16
	v_lshrrev_b32_e32 v107, 23, v108
	s_mov_b32 s16, exec_lo
	v_add_nc_u32_e32 v104, v104, v108
	v_xor_b32_e32 v107, 1, v107
	v_and_b32_e32 v83, 0xfffff, v104
	v_add_nc_u32_e32 v104, v83, v108
                                        ; implicit-def: $vgpr83
	v_cmpx_ne_u32_e64 v106, v107
	s_xor_b32 s16, exec_lo, s16
; %bb.2582:                             ;   in Loop: Header=BB4_2479 Depth=4
	v_cmp_lt_u32_e32 vcc_lo, 0xffffff, v104
	v_sub_nc_u32_e32 v83, v106, v107
	v_cndmask_b32_e64 v106, 0, 1, vcc_lo
	v_add_co_ci_u32_e64 v83, null, 0, v83, vcc_lo
	v_lshrrev_b32_e32 v104, v106, v104
; %bb.2583:                             ;   in Loop: Header=BB4_2479 Depth=4
	s_andn2_saveexec_b32 s16, s16
; %bb.2584:                             ;   in Loop: Header=BB4_2479 Depth=4
	v_bfe_u32 v83, v104, 23, 1
; %bb.2585:                             ;   in Loop: Header=BB4_2479 Depth=4
	s_or_b32 exec_lo, exec_lo, s16
	v_lshrrev_b32_e32 v104, 20, v104
	v_cmp_gt_i32_e32 vcc_lo, 16, v83
	v_min_i32_e32 v106, 15, v83
	v_and_b32_sdwa v105, v105, v118 dst_sel:DWORD dst_unused:UNUSED_PAD src0_sel:BYTE_3 src1_sel:DWORD
	v_cndmask_b32_e32 v104, 7, v104, vcc_lo
	v_lshlrev_b32_e32 v106, 3, v106
	v_and_b32_e32 v107, 7, v104
	v_or_b32_e32 v83, v83, v104
	v_or3_b32 v104, v106, v105, v107
	v_cmp_ne_u32_e32 vcc_lo, 0, v83
	v_cndmask_b32_e32 v83, 0, v104, vcc_lo
.LBB4_2586:                             ;   in Loop: Header=BB4_2479 Depth=4
	s_or_b32 exec_lo, exec_lo, s74
.LBB4_2587:                             ;   in Loop: Header=BB4_2479 Depth=4
	s_or_b32 exec_lo, exec_lo, s73
	v_cmp_gt_i16_sdwa s73, v95, v117 src0_sel:BYTE_0 src1_sel:DWORD
	s_andn2_b32 vcc_lo, exec_lo, s63
	s_mov_b32 s16, -1
                                        ; implicit-def: $vgpr104
	s_cbranch_vccnz .LBB4_2601
; %bb.2588:                             ;   in Loop: Header=BB4_2479 Depth=4
	s_mov_b32 s16, 0
	s_and_saveexec_b32 s74, s73
	s_xor_b32 s73, exec_lo, s74
	s_cbranch_execz .LBB4_3077
; %bb.2589:                             ;   in Loop: Header=BB4_2479 Depth=4
	v_cmp_eq_u16_sdwa s75, v95, v118 src0_sel:BYTE_0 src1_sel:DWORD
	s_mov_b32 s16, -1
	s_and_saveexec_b32 s74, s75
; %bb.2590:                             ;   in Loop: Header=BB4_2479 Depth=4
	s_xor_b32 s16, exec_lo, -1
; %bb.2591:                             ;   in Loop: Header=BB4_2479 Depth=4
	s_or_b32 exec_lo, exec_lo, s74
	s_and_b32 s16, s16, exec_lo
	s_or_saveexec_b32 s73, s73
	v_mov_b32_e32 v104, 0x7f800001
	s_xor_b32 exec_lo, exec_lo, s73
	s_cbranch_execnz .LBB4_3078
.LBB4_2592:                             ;   in Loop: Header=BB4_2479 Depth=4
	s_or_b32 exec_lo, exec_lo, s73
	s_and_saveexec_b32 s73, s16
	s_cbranch_execz .LBB4_2594
.LBB4_2593:                             ;   in Loop: Header=BB4_2479 Depth=4
	v_and_b32_e32 v104, 7, v95
	v_lshrrev_b16 v106, 3, v95
	v_lshlrev_b32_e32 v108, 24, v95
	v_ffbh_u32_e32 v105, v104
	v_and_b32_e32 v106, 15, v106
	v_min_u32_e32 v105, 32, v105
	v_cmp_eq_u32_e32 vcc_lo, 0, v106
	v_subrev_nc_u32_e32 v107, 28, v105
	v_sub_nc_u32_e32 v105, 29, v105
	v_lshlrev_b32_e32 v107, v107, v95
	v_cndmask_b32_e32 v105, v106, v105, vcc_lo
	v_and_b32_e32 v106, 0x80000000, v108
	v_and_b32_e32 v107, 7, v107
	v_lshl_add_u32 v105, v105, 23, 0x3b800000
	v_cndmask_b32_e32 v104, v104, v107, vcc_lo
	v_lshlrev_b32_e32 v104, 20, v104
	v_or3_b32 v104, v106, v105, v104
.LBB4_2594:                             ;   in Loop: Header=BB4_2479 Depth=4
	s_or_b32 exec_lo, exec_lo, s73
	s_waitcnt vmcnt(12) lgkmcnt(12)
	v_cmp_gt_i16_sdwa s73, v86, v117 src0_sel:BYTE_0 src1_sel:DWORD
	s_mov_b32 s16, 0
	s_and_saveexec_b32 s74, s73
	s_xor_b32 s73, exec_lo, s74
	s_cbranch_execz .LBB4_3079
; %bb.2595:                             ;   in Loop: Header=BB4_2479 Depth=4
	v_cmp_eq_u16_sdwa s75, v86, v118 src0_sel:BYTE_0 src1_sel:DWORD
	s_mov_b32 s16, -1
	s_and_saveexec_b32 s74, s75
; %bb.2596:                             ;   in Loop: Header=BB4_2479 Depth=4
	s_xor_b32 s16, exec_lo, -1
; %bb.2597:                             ;   in Loop: Header=BB4_2479 Depth=4
	s_or_b32 exec_lo, exec_lo, s74
	s_and_b32 s16, s16, exec_lo
	s_or_saveexec_b32 s73, s73
	v_mov_b32_e32 v105, 0x7f800001
	s_xor_b32 exec_lo, exec_lo, s73
	s_cbranch_execnz .LBB4_3080
.LBB4_2598:                             ;   in Loop: Header=BB4_2479 Depth=4
	s_or_b32 exec_lo, exec_lo, s73
	s_and_saveexec_b32 s73, s16
	s_cbranch_execz .LBB4_2600
.LBB4_2599:                             ;   in Loop: Header=BB4_2479 Depth=4
	v_and_b32_e32 v105, 7, v86
	v_lshrrev_b16 v107, 3, v86
	v_lshlrev_b32_e32 v109, 24, v86
	v_ffbh_u32_e32 v106, v105
	v_and_b32_e32 v107, 15, v107
	v_min_u32_e32 v106, 32, v106
	v_cmp_eq_u32_e32 vcc_lo, 0, v107
	v_subrev_nc_u32_e32 v108, 28, v106
	v_sub_nc_u32_e32 v106, 29, v106
	v_lshlrev_b32_e32 v108, v108, v86
	v_cndmask_b32_e32 v106, v107, v106, vcc_lo
	v_and_b32_e32 v107, 0x80000000, v109
	v_and_b32_e32 v108, 7, v108
	v_lshl_add_u32 v106, v106, 23, 0x3b800000
	v_cndmask_b32_e32 v105, v105, v108, vcc_lo
	v_lshlrev_b32_e32 v105, 20, v105
	v_or3_b32 v105, v107, v106, v105
.LBB4_2600:                             ;   in Loop: Header=BB4_2479 Depth=4
	s_or_b32 exec_lo, exec_lo, s73
	v_max_f32_e32 v105, v105, v105
	v_max_f32_e32 v104, v104, v104
	s_mov_b32 s16, 0
	v_max_f32_e32 v104, v104, v105
.LBB4_2601:                             ;   in Loop: Header=BB4_2479 Depth=4
	s_and_b32 vcc_lo, exec_lo, s16
	s_cbranch_vccz .LBB4_2615
; %bb.2602:                             ;   in Loop: Header=BB4_2479 Depth=4
	v_cmp_gt_i16_sdwa s73, v95, v117 src0_sel:BYTE_0 src1_sel:DWORD
	s_mov_b32 s16, 0
	s_and_saveexec_b32 s74, s73
	s_xor_b32 s73, exec_lo, s74
	s_cbranch_execz .LBB4_3081
; %bb.2603:                             ;   in Loop: Header=BB4_2479 Depth=4
	v_cmp_eq_u16_sdwa s75, v95, v118 src0_sel:BYTE_0 src1_sel:DWORD
	s_mov_b32 s16, -1
	s_and_saveexec_b32 s74, s75
; %bb.2604:                             ;   in Loop: Header=BB4_2479 Depth=4
	s_xor_b32 s16, exec_lo, -1
; %bb.2605:                             ;   in Loop: Header=BB4_2479 Depth=4
	s_or_b32 exec_lo, exec_lo, s74
	s_and_b32 s16, s16, exec_lo
	s_or_saveexec_b32 s73, s73
	v_mov_b32_e32 v104, 0x7f800001
	s_xor_b32 exec_lo, exec_lo, s73
	s_cbranch_execnz .LBB4_3082
.LBB4_2606:                             ;   in Loop: Header=BB4_2479 Depth=4
	s_or_b32 exec_lo, exec_lo, s73
	s_and_saveexec_b32 s73, s16
	s_cbranch_execz .LBB4_2608
.LBB4_2607:                             ;   in Loop: Header=BB4_2479 Depth=4
	v_and_b32_e32 v104, 7, v95
	v_lshrrev_b16 v106, 3, v95
	v_ffbh_u32_e32 v105, v104
	v_and_b32_e32 v106, 15, v106
	v_min_u32_e32 v105, 32, v105
	v_cmp_eq_u32_e32 vcc_lo, 0, v106
	v_subrev_nc_u32_e32 v107, 28, v105
	v_sub_nc_u32_e32 v105, 29, v105
	v_lshlrev_b32_e32 v107, v107, v95
	v_lshlrev_b32_e32 v95, 24, v95
	v_cndmask_b32_e32 v105, v106, v105, vcc_lo
	v_and_b32_e32 v107, 7, v107
	v_and_b32_e32 v95, 0x80000000, v95
	v_lshl_add_u32 v105, v105, 23, 0x3b800000
	v_cndmask_b32_e32 v104, v104, v107, vcc_lo
	v_lshlrev_b32_e32 v104, 20, v104
	v_or3_b32 v104, v95, v105, v104
.LBB4_2608:                             ;   in Loop: Header=BB4_2479 Depth=4
	s_or_b32 exec_lo, exec_lo, s73
	s_waitcnt vmcnt(12) lgkmcnt(12)
	v_cmp_gt_i16_sdwa s73, v86, v117 src0_sel:BYTE_0 src1_sel:DWORD
	s_mov_b32 s16, 0
	s_and_saveexec_b32 s74, s73
	s_xor_b32 s73, exec_lo, s74
	s_cbranch_execz .LBB4_3083
; %bb.2609:                             ;   in Loop: Header=BB4_2479 Depth=4
	v_cmp_eq_u16_sdwa s75, v86, v118 src0_sel:BYTE_0 src1_sel:DWORD
	s_mov_b32 s16, -1
	s_and_saveexec_b32 s74, s75
; %bb.2610:                             ;   in Loop: Header=BB4_2479 Depth=4
	s_xor_b32 s16, exec_lo, -1
; %bb.2611:                             ;   in Loop: Header=BB4_2479 Depth=4
	s_or_b32 exec_lo, exec_lo, s74
	s_and_b32 s16, s16, exec_lo
	s_or_saveexec_b32 s73, s73
	v_mov_b32_e32 v95, 0x7f800001
	s_xor_b32 exec_lo, exec_lo, s73
	s_cbranch_execnz .LBB4_3084
.LBB4_2612:                             ;   in Loop: Header=BB4_2479 Depth=4
	s_or_b32 exec_lo, exec_lo, s73
	s_and_saveexec_b32 s73, s16
	s_cbranch_execz .LBB4_2614
.LBB4_2613:                             ;   in Loop: Header=BB4_2479 Depth=4
	v_and_b32_e32 v95, 7, v86
	v_lshrrev_b16 v106, 3, v86
	v_ffbh_u32_e32 v105, v95
	v_and_b32_e32 v106, 15, v106
	v_min_u32_e32 v105, 32, v105
	v_cmp_eq_u32_e32 vcc_lo, 0, v106
	v_subrev_nc_u32_e32 v107, 28, v105
	v_sub_nc_u32_e32 v105, 29, v105
	v_lshlrev_b32_e32 v107, v107, v86
	v_lshlrev_b32_e32 v86, 24, v86
	v_cndmask_b32_e32 v105, v106, v105, vcc_lo
	v_and_b32_e32 v107, 7, v107
	v_and_b32_e32 v86, 0x80000000, v86
	v_lshl_add_u32 v105, v105, 23, 0x3b800000
	v_cndmask_b32_e32 v95, v95, v107, vcc_lo
	v_lshlrev_b32_e32 v95, 20, v95
	v_or3_b32 v95, v86, v105, v95
.LBB4_2614:                             ;   in Loop: Header=BB4_2479 Depth=4
	s_or_b32 exec_lo, exec_lo, s73
	v_max_f32_e32 v86, v95, v95
	v_max_f32_e32 v95, v104, v104
	v_min_f32_e32 v104, v95, v86
.LBB4_2615:                             ;   in Loop: Header=BB4_2479 Depth=4
	s_waitcnt vmcnt(12) lgkmcnt(12)
	v_and_b32_e32 v86, 0x7f800000, v104
	v_cmp_ne_u32_e32 vcc_lo, 0x7f800000, v86
	v_mov_b32_e32 v86, 0x80
	s_and_saveexec_b32 s73, vcc_lo
	s_cbranch_execz .LBB4_2623
; %bb.2616:                             ;   in Loop: Header=BB4_2479 Depth=4
	v_mov_b32_e32 v86, 0
	s_mov_b32 s74, exec_lo
	v_cmpx_ne_u32_e32 0, v104
	s_cbranch_execz .LBB4_2622
; %bb.2617:                             ;   in Loop: Header=BB4_2479 Depth=4
	v_bfe_u32 v86, v104, 23, 8
	v_and_b32_e32 v95, 0x7fffff, v104
	v_sub_nc_u32_e32 v105, 0x78, v86
	v_cmp_gt_u32_e32 vcc_lo, 0x79, v86
	v_or_b32_e32 v106, 0x800000, v95
	v_cndmask_b32_e32 v105, 0, v105, vcc_lo
	v_cmp_eq_u32_e32 vcc_lo, 0, v86
	v_add_nc_u32_e32 v86, 0xffffff89, v86
	v_cndmask_b32_e64 v105, v105, 0x77, vcc_lo
	v_cndmask_b32_e32 v95, v106, v95, vcc_lo
	v_cndmask_b32_e64 v86, v86, 0xffffff8a, vcc_lo
	v_lshl_add_u32 v106, 0x100000, v105, -1
	v_lshrrev_b32_e32 v107, v105, v95
	v_lshlrev_b32_e64 v109, v105, 0x80000
	v_add_nc_u32_e32 v105, v105, v86
	v_and_b32_e32 v95, v106, v95
	v_bfe_u32 v108, v107, 20, 1
	v_cmp_eq_u32_e64 s16, v95, v109
	v_add_nc_u32_e32 v106, -1, v108
	v_cndmask_b32_e64 v95, 0, v106, s16
	v_lshrrev_b32_e32 v106, 23, v107
	s_mov_b32 s16, exec_lo
	v_add_nc_u32_e32 v95, v95, v107
	v_xor_b32_e32 v106, 1, v106
	v_and_b32_e32 v86, 0xfffff, v95
	v_add_nc_u32_e32 v95, v86, v107
                                        ; implicit-def: $vgpr86
	v_cmpx_ne_u32_e64 v105, v106
	s_xor_b32 s16, exec_lo, s16
; %bb.2618:                             ;   in Loop: Header=BB4_2479 Depth=4
	v_cmp_lt_u32_e32 vcc_lo, 0xffffff, v95
	v_sub_nc_u32_e32 v86, v105, v106
	v_cndmask_b32_e64 v105, 0, 1, vcc_lo
	v_add_co_ci_u32_e64 v86, null, 0, v86, vcc_lo
	v_lshrrev_b32_e32 v95, v105, v95
; %bb.2619:                             ;   in Loop: Header=BB4_2479 Depth=4
	s_andn2_saveexec_b32 s16, s16
; %bb.2620:                             ;   in Loop: Header=BB4_2479 Depth=4
	v_bfe_u32 v86, v95, 23, 1
; %bb.2621:                             ;   in Loop: Header=BB4_2479 Depth=4
	s_or_b32 exec_lo, exec_lo, s16
	v_lshrrev_b32_e32 v95, 20, v95
	v_cmp_gt_i32_e32 vcc_lo, 16, v86
	v_min_i32_e32 v105, 15, v86
	v_and_b32_sdwa v104, v104, v118 dst_sel:DWORD dst_unused:UNUSED_PAD src0_sel:BYTE_3 src1_sel:DWORD
	v_cndmask_b32_e32 v95, 7, v95, vcc_lo
	v_lshlrev_b32_e32 v105, 3, v105
	v_and_b32_e32 v106, 7, v95
	v_or_b32_e32 v86, v86, v95
	v_or3_b32 v95, v105, v104, v106
	v_cmp_ne_u32_e32 vcc_lo, 0, v86
	v_cndmask_b32_e32 v86, 0, v95, vcc_lo
.LBB4_2622:                             ;   in Loop: Header=BB4_2479 Depth=4
	s_or_b32 exec_lo, exec_lo, s74
.LBB4_2623:                             ;   in Loop: Header=BB4_2479 Depth=4
	s_or_b32 exec_lo, exec_lo, s73
	v_cmp_gt_i16_sdwa s73, v94, v117 src0_sel:BYTE_0 src1_sel:DWORD
	s_andn2_b32 vcc_lo, exec_lo, s63
	s_mov_b32 s16, -1
                                        ; implicit-def: $vgpr95
	s_cbranch_vccnz .LBB4_2637
; %bb.2624:                             ;   in Loop: Header=BB4_2479 Depth=4
	s_mov_b32 s16, 0
	s_and_saveexec_b32 s74, s73
	s_xor_b32 s73, exec_lo, s74
	s_cbranch_execz .LBB4_3085
; %bb.2625:                             ;   in Loop: Header=BB4_2479 Depth=4
	v_cmp_eq_u16_sdwa s75, v94, v118 src0_sel:BYTE_0 src1_sel:DWORD
	s_mov_b32 s16, -1
	s_and_saveexec_b32 s74, s75
; %bb.2626:                             ;   in Loop: Header=BB4_2479 Depth=4
	s_xor_b32 s16, exec_lo, -1
; %bb.2627:                             ;   in Loop: Header=BB4_2479 Depth=4
	s_or_b32 exec_lo, exec_lo, s74
	s_and_b32 s16, s16, exec_lo
	s_or_saveexec_b32 s73, s73
	v_mov_b32_e32 v95, 0x7f800001
	s_xor_b32 exec_lo, exec_lo, s73
	s_cbranch_execnz .LBB4_3086
.LBB4_2628:                             ;   in Loop: Header=BB4_2479 Depth=4
	s_or_b32 exec_lo, exec_lo, s73
	s_and_saveexec_b32 s73, s16
	s_cbranch_execz .LBB4_2630
.LBB4_2629:                             ;   in Loop: Header=BB4_2479 Depth=4
	v_and_b32_e32 v95, 7, v94
	v_lshrrev_b16 v105, 3, v94
	v_lshlrev_b32_e32 v107, 24, v94
	v_ffbh_u32_e32 v104, v95
	v_and_b32_e32 v105, 15, v105
	v_min_u32_e32 v104, 32, v104
	v_cmp_eq_u32_e32 vcc_lo, 0, v105
	v_subrev_nc_u32_e32 v106, 28, v104
	v_sub_nc_u32_e32 v104, 29, v104
	v_lshlrev_b32_e32 v106, v106, v94
	v_cndmask_b32_e32 v104, v105, v104, vcc_lo
	v_and_b32_e32 v105, 0x80000000, v107
	v_and_b32_e32 v106, 7, v106
	v_lshl_add_u32 v104, v104, 23, 0x3b800000
	v_cndmask_b32_e32 v95, v95, v106, vcc_lo
	v_lshlrev_b32_e32 v95, 20, v95
	v_or3_b32 v95, v105, v104, v95
.LBB4_2630:                             ;   in Loop: Header=BB4_2479 Depth=4
	s_or_b32 exec_lo, exec_lo, s73
	s_waitcnt vmcnt(11) lgkmcnt(11)
	v_cmp_gt_i16_sdwa s73, v97, v117 src0_sel:BYTE_0 src1_sel:DWORD
	s_mov_b32 s16, 0
	s_and_saveexec_b32 s74, s73
	s_xor_b32 s73, exec_lo, s74
	s_cbranch_execz .LBB4_3087
; %bb.2631:                             ;   in Loop: Header=BB4_2479 Depth=4
	v_cmp_eq_u16_sdwa s75, v97, v118 src0_sel:BYTE_0 src1_sel:DWORD
	s_mov_b32 s16, -1
	s_and_saveexec_b32 s74, s75
; %bb.2632:                             ;   in Loop: Header=BB4_2479 Depth=4
	s_xor_b32 s16, exec_lo, -1
; %bb.2633:                             ;   in Loop: Header=BB4_2479 Depth=4
	s_or_b32 exec_lo, exec_lo, s74
	s_and_b32 s16, s16, exec_lo
	s_or_saveexec_b32 s73, s73
	v_mov_b32_e32 v104, 0x7f800001
	s_xor_b32 exec_lo, exec_lo, s73
	s_cbranch_execnz .LBB4_3088
.LBB4_2634:                             ;   in Loop: Header=BB4_2479 Depth=4
	s_or_b32 exec_lo, exec_lo, s73
	s_and_saveexec_b32 s73, s16
	s_cbranch_execz .LBB4_2636
.LBB4_2635:                             ;   in Loop: Header=BB4_2479 Depth=4
	v_and_b32_e32 v104, 7, v97
	v_lshrrev_b16 v106, 3, v97
	v_lshlrev_b32_e32 v108, 24, v97
	v_ffbh_u32_e32 v105, v104
	v_and_b32_e32 v106, 15, v106
	v_min_u32_e32 v105, 32, v105
	v_cmp_eq_u32_e32 vcc_lo, 0, v106
	v_subrev_nc_u32_e32 v107, 28, v105
	v_sub_nc_u32_e32 v105, 29, v105
	v_lshlrev_b32_e32 v107, v107, v97
	v_cndmask_b32_e32 v105, v106, v105, vcc_lo
	v_and_b32_e32 v106, 0x80000000, v108
	v_and_b32_e32 v107, 7, v107
	v_lshl_add_u32 v105, v105, 23, 0x3b800000
	v_cndmask_b32_e32 v104, v104, v107, vcc_lo
	v_lshlrev_b32_e32 v104, 20, v104
	v_or3_b32 v104, v106, v105, v104
.LBB4_2636:                             ;   in Loop: Header=BB4_2479 Depth=4
	s_or_b32 exec_lo, exec_lo, s73
	v_max_f32_e32 v104, v104, v104
	v_max_f32_e32 v95, v95, v95
	s_mov_b32 s16, 0
	v_max_f32_e32 v95, v95, v104
.LBB4_2637:                             ;   in Loop: Header=BB4_2479 Depth=4
	s_and_b32 vcc_lo, exec_lo, s16
	s_cbranch_vccz .LBB4_2651
; %bb.2638:                             ;   in Loop: Header=BB4_2479 Depth=4
	v_cmp_gt_i16_sdwa s73, v94, v117 src0_sel:BYTE_0 src1_sel:DWORD
	s_mov_b32 s16, 0
	s_and_saveexec_b32 s74, s73
	s_xor_b32 s73, exec_lo, s74
	s_cbranch_execz .LBB4_3089
; %bb.2639:                             ;   in Loop: Header=BB4_2479 Depth=4
	v_cmp_eq_u16_sdwa s75, v94, v118 src0_sel:BYTE_0 src1_sel:DWORD
	s_mov_b32 s16, -1
	s_and_saveexec_b32 s74, s75
; %bb.2640:                             ;   in Loop: Header=BB4_2479 Depth=4
	s_xor_b32 s16, exec_lo, -1
; %bb.2641:                             ;   in Loop: Header=BB4_2479 Depth=4
	s_or_b32 exec_lo, exec_lo, s74
	s_and_b32 s16, s16, exec_lo
	s_or_saveexec_b32 s73, s73
	v_mov_b32_e32 v95, 0x7f800001
	s_xor_b32 exec_lo, exec_lo, s73
	s_cbranch_execnz .LBB4_3090
.LBB4_2642:                             ;   in Loop: Header=BB4_2479 Depth=4
	s_or_b32 exec_lo, exec_lo, s73
	s_and_saveexec_b32 s73, s16
	s_cbranch_execz .LBB4_2644
.LBB4_2643:                             ;   in Loop: Header=BB4_2479 Depth=4
	v_and_b32_e32 v95, 7, v94
	v_lshrrev_b16 v105, 3, v94
	v_ffbh_u32_e32 v104, v95
	v_and_b32_e32 v105, 15, v105
	v_min_u32_e32 v104, 32, v104
	v_cmp_eq_u32_e32 vcc_lo, 0, v105
	v_subrev_nc_u32_e32 v106, 28, v104
	v_sub_nc_u32_e32 v104, 29, v104
	v_lshlrev_b32_e32 v106, v106, v94
	v_lshlrev_b32_e32 v94, 24, v94
	v_cndmask_b32_e32 v104, v105, v104, vcc_lo
	v_and_b32_e32 v106, 7, v106
	v_and_b32_e32 v94, 0x80000000, v94
	v_lshl_add_u32 v104, v104, 23, 0x3b800000
	v_cndmask_b32_e32 v95, v95, v106, vcc_lo
	v_lshlrev_b32_e32 v95, 20, v95
	v_or3_b32 v95, v94, v104, v95
.LBB4_2644:                             ;   in Loop: Header=BB4_2479 Depth=4
	s_or_b32 exec_lo, exec_lo, s73
	s_waitcnt vmcnt(11) lgkmcnt(11)
	v_cmp_gt_i16_sdwa s73, v97, v117 src0_sel:BYTE_0 src1_sel:DWORD
	s_mov_b32 s16, 0
	s_and_saveexec_b32 s74, s73
	s_xor_b32 s73, exec_lo, s74
	s_cbranch_execz .LBB4_3091
; %bb.2645:                             ;   in Loop: Header=BB4_2479 Depth=4
	v_cmp_eq_u16_sdwa s75, v97, v118 src0_sel:BYTE_0 src1_sel:DWORD
	s_mov_b32 s16, -1
	s_and_saveexec_b32 s74, s75
; %bb.2646:                             ;   in Loop: Header=BB4_2479 Depth=4
	s_xor_b32 s16, exec_lo, -1
; %bb.2647:                             ;   in Loop: Header=BB4_2479 Depth=4
	s_or_b32 exec_lo, exec_lo, s74
	s_and_b32 s16, s16, exec_lo
	s_or_saveexec_b32 s73, s73
	v_mov_b32_e32 v94, 0x7f800001
	s_xor_b32 exec_lo, exec_lo, s73
	s_cbranch_execnz .LBB4_3092
.LBB4_2648:                             ;   in Loop: Header=BB4_2479 Depth=4
	s_or_b32 exec_lo, exec_lo, s73
	s_and_saveexec_b32 s73, s16
	s_cbranch_execz .LBB4_2650
.LBB4_2649:                             ;   in Loop: Header=BB4_2479 Depth=4
	v_and_b32_e32 v94, 7, v97
	v_lshrrev_b16 v105, 3, v97
	v_ffbh_u32_e32 v104, v94
	v_and_b32_e32 v105, 15, v105
	v_min_u32_e32 v104, 32, v104
	v_cmp_eq_u32_e32 vcc_lo, 0, v105
	v_subrev_nc_u32_e32 v106, 28, v104
	v_sub_nc_u32_e32 v104, 29, v104
	v_lshlrev_b32_e32 v106, v106, v97
	v_lshlrev_b32_e32 v97, 24, v97
	v_cndmask_b32_e32 v104, v105, v104, vcc_lo
	v_and_b32_e32 v106, 7, v106
	v_and_b32_e32 v97, 0x80000000, v97
	v_lshl_add_u32 v104, v104, 23, 0x3b800000
	v_cndmask_b32_e32 v94, v94, v106, vcc_lo
	v_lshlrev_b32_e32 v94, 20, v94
	v_or3_b32 v94, v97, v104, v94
.LBB4_2650:                             ;   in Loop: Header=BB4_2479 Depth=4
	s_or_b32 exec_lo, exec_lo, s73
	v_max_f32_e32 v97, v94, v94
	v_max_f32_e32 v94, v95, v95
	v_min_f32_e32 v95, v94, v97
.LBB4_2651:                             ;   in Loop: Header=BB4_2479 Depth=4
	s_waitcnt vmcnt(11) lgkmcnt(11)
	v_and_b32_e32 v97, 0x7f800000, v95
	v_cmp_ne_u32_e32 vcc_lo, 0x7f800000, v97
	v_mov_b32_e32 v97, 0x80
	s_and_saveexec_b32 s73, vcc_lo
	s_cbranch_execz .LBB4_2659
; %bb.2652:                             ;   in Loop: Header=BB4_2479 Depth=4
	v_mov_b32_e32 v97, 0
	s_mov_b32 s74, exec_lo
	v_cmpx_ne_u32_e32 0, v95
	s_cbranch_execz .LBB4_2658
; %bb.2653:                             ;   in Loop: Header=BB4_2479 Depth=4
	v_bfe_u32 v97, v95, 23, 8
	v_and_b32_e32 v94, 0x7fffff, v95
	v_sub_nc_u32_e32 v104, 0x78, v97
	v_cmp_gt_u32_e32 vcc_lo, 0x79, v97
	v_or_b32_e32 v105, 0x800000, v94
	v_cndmask_b32_e32 v104, 0, v104, vcc_lo
	v_cmp_eq_u32_e32 vcc_lo, 0, v97
	v_add_nc_u32_e32 v97, 0xffffff89, v97
	v_cndmask_b32_e64 v104, v104, 0x77, vcc_lo
	v_cndmask_b32_e32 v94, v105, v94, vcc_lo
	v_cndmask_b32_e64 v97, v97, 0xffffff8a, vcc_lo
	v_lshl_add_u32 v105, 0x100000, v104, -1
	v_lshrrev_b32_e32 v106, v104, v94
	v_lshlrev_b32_e64 v108, v104, 0x80000
	v_add_nc_u32_e32 v104, v104, v97
	v_and_b32_e32 v94, v105, v94
	v_bfe_u32 v107, v106, 20, 1
	v_cmp_eq_u32_e64 s16, v94, v108
	v_add_nc_u32_e32 v105, -1, v107
	v_cndmask_b32_e64 v94, 0, v105, s16
	v_lshrrev_b32_e32 v105, 23, v106
	s_mov_b32 s16, exec_lo
	v_add_nc_u32_e32 v94, v94, v106
	v_xor_b32_e32 v105, 1, v105
	v_and_b32_e32 v97, 0xfffff, v94
	v_add_nc_u32_e32 v94, v97, v106
                                        ; implicit-def: $vgpr97
	v_cmpx_ne_u32_e64 v104, v105
	s_xor_b32 s16, exec_lo, s16
; %bb.2654:                             ;   in Loop: Header=BB4_2479 Depth=4
	v_cmp_lt_u32_e32 vcc_lo, 0xffffff, v94
	v_sub_nc_u32_e32 v97, v104, v105
	v_cndmask_b32_e64 v104, 0, 1, vcc_lo
	v_add_co_ci_u32_e64 v97, null, 0, v97, vcc_lo
	v_lshrrev_b32_e32 v94, v104, v94
; %bb.2655:                             ;   in Loop: Header=BB4_2479 Depth=4
	s_andn2_saveexec_b32 s16, s16
; %bb.2656:                             ;   in Loop: Header=BB4_2479 Depth=4
	v_bfe_u32 v97, v94, 23, 1
; %bb.2657:                             ;   in Loop: Header=BB4_2479 Depth=4
	s_or_b32 exec_lo, exec_lo, s16
	v_lshrrev_b32_e32 v94, 20, v94
	v_cmp_gt_i32_e32 vcc_lo, 16, v97
	v_min_i32_e32 v104, 15, v97
	v_and_b32_sdwa v95, v95, v118 dst_sel:DWORD dst_unused:UNUSED_PAD src0_sel:BYTE_3 src1_sel:DWORD
	v_cndmask_b32_e32 v94, 7, v94, vcc_lo
	v_lshlrev_b32_e32 v104, 3, v104
	v_and_b32_e32 v105, 7, v94
	v_or_b32_e32 v97, v97, v94
	v_or3_b32 v94, v104, v95, v105
	v_cmp_ne_u32_e32 vcc_lo, 0, v97
	v_cndmask_b32_e32 v97, 0, v94, vcc_lo
.LBB4_2658:                             ;   in Loop: Header=BB4_2479 Depth=4
	s_or_b32 exec_lo, exec_lo, s74
.LBB4_2659:                             ;   in Loop: Header=BB4_2479 Depth=4
	s_or_b32 exec_lo, exec_lo, s73
	v_cmp_gt_i16_sdwa s73, v93, v117 src0_sel:BYTE_0 src1_sel:DWORD
	s_andn2_b32 vcc_lo, exec_lo, s63
	s_mov_b32 s16, -1
                                        ; implicit-def: $vgpr94
	s_cbranch_vccnz .LBB4_2673
; %bb.2660:                             ;   in Loop: Header=BB4_2479 Depth=4
	s_mov_b32 s16, 0
	s_and_saveexec_b32 s74, s73
	s_xor_b32 s73, exec_lo, s74
	s_cbranch_execz .LBB4_3093
; %bb.2661:                             ;   in Loop: Header=BB4_2479 Depth=4
	v_cmp_eq_u16_sdwa s75, v93, v118 src0_sel:BYTE_0 src1_sel:DWORD
	s_mov_b32 s16, -1
	s_and_saveexec_b32 s74, s75
; %bb.2662:                             ;   in Loop: Header=BB4_2479 Depth=4
	s_xor_b32 s16, exec_lo, -1
; %bb.2663:                             ;   in Loop: Header=BB4_2479 Depth=4
	s_or_b32 exec_lo, exec_lo, s74
	s_and_b32 s16, s16, exec_lo
	s_or_saveexec_b32 s73, s73
	v_mov_b32_e32 v94, 0x7f800001
	s_xor_b32 exec_lo, exec_lo, s73
	s_cbranch_execnz .LBB4_3094
.LBB4_2664:                             ;   in Loop: Header=BB4_2479 Depth=4
	s_or_b32 exec_lo, exec_lo, s73
	s_and_saveexec_b32 s73, s16
	s_cbranch_execz .LBB4_2666
.LBB4_2665:                             ;   in Loop: Header=BB4_2479 Depth=4
	v_and_b32_e32 v94, 7, v93
	v_lshrrev_b16 v104, 3, v93
	v_lshlrev_b32_e32 v106, 24, v93
	v_ffbh_u32_e32 v95, v94
	v_and_b32_e32 v104, 15, v104
	v_min_u32_e32 v95, 32, v95
	v_cmp_eq_u32_e32 vcc_lo, 0, v104
	v_subrev_nc_u32_e32 v105, 28, v95
	v_sub_nc_u32_e32 v95, 29, v95
	v_lshlrev_b32_e32 v105, v105, v93
	v_cndmask_b32_e32 v95, v104, v95, vcc_lo
	v_and_b32_e32 v104, 0x80000000, v106
	v_and_b32_e32 v105, 7, v105
	v_lshl_add_u32 v95, v95, 23, 0x3b800000
	v_cndmask_b32_e32 v94, v94, v105, vcc_lo
	v_lshlrev_b32_e32 v94, 20, v94
	v_or3_b32 v94, v104, v95, v94
.LBB4_2666:                             ;   in Loop: Header=BB4_2479 Depth=4
	s_or_b32 exec_lo, exec_lo, s73
	s_waitcnt vmcnt(10) lgkmcnt(10)
	v_cmp_gt_i16_sdwa s73, v76, v117 src0_sel:BYTE_0 src1_sel:DWORD
	s_mov_b32 s16, 0
	s_and_saveexec_b32 s74, s73
	s_xor_b32 s73, exec_lo, s74
	s_cbranch_execz .LBB4_3095
; %bb.2667:                             ;   in Loop: Header=BB4_2479 Depth=4
	v_cmp_eq_u16_sdwa s75, v76, v118 src0_sel:BYTE_0 src1_sel:DWORD
	s_mov_b32 s16, -1
	s_and_saveexec_b32 s74, s75
; %bb.2668:                             ;   in Loop: Header=BB4_2479 Depth=4
	s_xor_b32 s16, exec_lo, -1
; %bb.2669:                             ;   in Loop: Header=BB4_2479 Depth=4
	s_or_b32 exec_lo, exec_lo, s74
	s_and_b32 s16, s16, exec_lo
	s_or_saveexec_b32 s73, s73
	v_mov_b32_e32 v95, 0x7f800001
	s_xor_b32 exec_lo, exec_lo, s73
	s_cbranch_execnz .LBB4_3096
.LBB4_2670:                             ;   in Loop: Header=BB4_2479 Depth=4
	s_or_b32 exec_lo, exec_lo, s73
	s_and_saveexec_b32 s73, s16
	s_cbranch_execz .LBB4_2672
.LBB4_2671:                             ;   in Loop: Header=BB4_2479 Depth=4
	v_and_b32_e32 v95, 7, v76
	v_lshrrev_b16 v105, 3, v76
	v_lshlrev_b32_e32 v107, 24, v76
	v_ffbh_u32_e32 v104, v95
	v_and_b32_e32 v105, 15, v105
	v_min_u32_e32 v104, 32, v104
	v_cmp_eq_u32_e32 vcc_lo, 0, v105
	v_subrev_nc_u32_e32 v106, 28, v104
	v_sub_nc_u32_e32 v104, 29, v104
	v_lshlrev_b32_e32 v106, v106, v76
	v_cndmask_b32_e32 v104, v105, v104, vcc_lo
	v_and_b32_e32 v105, 0x80000000, v107
	v_and_b32_e32 v106, 7, v106
	v_lshl_add_u32 v104, v104, 23, 0x3b800000
	v_cndmask_b32_e32 v95, v95, v106, vcc_lo
	v_lshlrev_b32_e32 v95, 20, v95
	v_or3_b32 v95, v105, v104, v95
.LBB4_2672:                             ;   in Loop: Header=BB4_2479 Depth=4
	s_or_b32 exec_lo, exec_lo, s73
	v_max_f32_e32 v95, v95, v95
	v_max_f32_e32 v94, v94, v94
	s_mov_b32 s16, 0
	v_max_f32_e32 v94, v94, v95
.LBB4_2673:                             ;   in Loop: Header=BB4_2479 Depth=4
	s_and_b32 vcc_lo, exec_lo, s16
	s_cbranch_vccz .LBB4_2687
; %bb.2674:                             ;   in Loop: Header=BB4_2479 Depth=4
	v_cmp_gt_i16_sdwa s73, v93, v117 src0_sel:BYTE_0 src1_sel:DWORD
	s_mov_b32 s16, 0
	s_and_saveexec_b32 s74, s73
	s_xor_b32 s73, exec_lo, s74
	s_cbranch_execz .LBB4_3097
; %bb.2675:                             ;   in Loop: Header=BB4_2479 Depth=4
	v_cmp_eq_u16_sdwa s75, v93, v118 src0_sel:BYTE_0 src1_sel:DWORD
	s_mov_b32 s16, -1
	s_and_saveexec_b32 s74, s75
; %bb.2676:                             ;   in Loop: Header=BB4_2479 Depth=4
	s_xor_b32 s16, exec_lo, -1
; %bb.2677:                             ;   in Loop: Header=BB4_2479 Depth=4
	s_or_b32 exec_lo, exec_lo, s74
	s_and_b32 s16, s16, exec_lo
	s_or_saveexec_b32 s73, s73
	v_mov_b32_e32 v94, 0x7f800001
	s_xor_b32 exec_lo, exec_lo, s73
	s_cbranch_execnz .LBB4_3098
.LBB4_2678:                             ;   in Loop: Header=BB4_2479 Depth=4
	s_or_b32 exec_lo, exec_lo, s73
	s_and_saveexec_b32 s73, s16
	s_cbranch_execz .LBB4_2680
.LBB4_2679:                             ;   in Loop: Header=BB4_2479 Depth=4
	v_and_b32_e32 v94, 7, v93
	v_lshrrev_b16 v104, 3, v93
	v_ffbh_u32_e32 v95, v94
	v_and_b32_e32 v104, 15, v104
	v_min_u32_e32 v95, 32, v95
	v_cmp_eq_u32_e32 vcc_lo, 0, v104
	v_subrev_nc_u32_e32 v105, 28, v95
	v_sub_nc_u32_e32 v95, 29, v95
	v_lshlrev_b32_e32 v105, v105, v93
	v_lshlrev_b32_e32 v93, 24, v93
	v_cndmask_b32_e32 v95, v104, v95, vcc_lo
	v_and_b32_e32 v105, 7, v105
	v_and_b32_e32 v93, 0x80000000, v93
	v_lshl_add_u32 v95, v95, 23, 0x3b800000
	v_cndmask_b32_e32 v94, v94, v105, vcc_lo
	v_lshlrev_b32_e32 v94, 20, v94
	v_or3_b32 v94, v93, v95, v94
.LBB4_2680:                             ;   in Loop: Header=BB4_2479 Depth=4
	s_or_b32 exec_lo, exec_lo, s73
	s_waitcnt vmcnt(10) lgkmcnt(10)
	v_cmp_gt_i16_sdwa s73, v76, v117 src0_sel:BYTE_0 src1_sel:DWORD
	s_mov_b32 s16, 0
	s_and_saveexec_b32 s74, s73
	s_xor_b32 s73, exec_lo, s74
	s_cbranch_execz .LBB4_3099
; %bb.2681:                             ;   in Loop: Header=BB4_2479 Depth=4
	v_cmp_eq_u16_sdwa s75, v76, v118 src0_sel:BYTE_0 src1_sel:DWORD
	s_mov_b32 s16, -1
	s_and_saveexec_b32 s74, s75
; %bb.2682:                             ;   in Loop: Header=BB4_2479 Depth=4
	s_xor_b32 s16, exec_lo, -1
; %bb.2683:                             ;   in Loop: Header=BB4_2479 Depth=4
	s_or_b32 exec_lo, exec_lo, s74
	s_and_b32 s16, s16, exec_lo
	s_or_saveexec_b32 s73, s73
	v_mov_b32_e32 v93, 0x7f800001
	s_xor_b32 exec_lo, exec_lo, s73
	s_cbranch_execnz .LBB4_3100
.LBB4_2684:                             ;   in Loop: Header=BB4_2479 Depth=4
	s_or_b32 exec_lo, exec_lo, s73
	s_and_saveexec_b32 s73, s16
	s_cbranch_execz .LBB4_2686
.LBB4_2685:                             ;   in Loop: Header=BB4_2479 Depth=4
	v_and_b32_e32 v93, 7, v76
	v_lshrrev_b16 v104, 3, v76
	v_ffbh_u32_e32 v95, v93
	v_and_b32_e32 v104, 15, v104
	v_min_u32_e32 v95, 32, v95
	v_cmp_eq_u32_e32 vcc_lo, 0, v104
	v_subrev_nc_u32_e32 v105, 28, v95
	v_sub_nc_u32_e32 v95, 29, v95
	v_lshlrev_b32_e32 v105, v105, v76
	v_lshlrev_b32_e32 v76, 24, v76
	v_cndmask_b32_e32 v95, v104, v95, vcc_lo
	v_and_b32_e32 v105, 7, v105
	v_and_b32_e32 v76, 0x80000000, v76
	v_lshl_add_u32 v95, v95, 23, 0x3b800000
	v_cndmask_b32_e32 v93, v93, v105, vcc_lo
	v_lshlrev_b32_e32 v93, 20, v93
	v_or3_b32 v93, v76, v95, v93
.LBB4_2686:                             ;   in Loop: Header=BB4_2479 Depth=4
	s_or_b32 exec_lo, exec_lo, s73
	v_max_f32_e32 v76, v93, v93
	v_max_f32_e32 v93, v94, v94
	v_min_f32_e32 v94, v93, v76
.LBB4_2687:                             ;   in Loop: Header=BB4_2479 Depth=4
	s_waitcnt vmcnt(10) lgkmcnt(10)
	v_and_b32_e32 v76, 0x7f800000, v94
	v_cmp_ne_u32_e32 vcc_lo, 0x7f800000, v76
	v_mov_b32_e32 v76, 0x80
	s_and_saveexec_b32 s73, vcc_lo
	s_cbranch_execz .LBB4_2695
; %bb.2688:                             ;   in Loop: Header=BB4_2479 Depth=4
	v_mov_b32_e32 v76, 0
	s_mov_b32 s74, exec_lo
	v_cmpx_ne_u32_e32 0, v94
	s_cbranch_execz .LBB4_2694
; %bb.2689:                             ;   in Loop: Header=BB4_2479 Depth=4
	v_bfe_u32 v76, v94, 23, 8
	v_and_b32_e32 v93, 0x7fffff, v94
	v_sub_nc_u32_e32 v95, 0x78, v76
	v_cmp_gt_u32_e32 vcc_lo, 0x79, v76
	v_or_b32_e32 v104, 0x800000, v93
	v_cndmask_b32_e32 v95, 0, v95, vcc_lo
	v_cmp_eq_u32_e32 vcc_lo, 0, v76
	v_add_nc_u32_e32 v76, 0xffffff89, v76
	v_cndmask_b32_e64 v95, v95, 0x77, vcc_lo
	v_cndmask_b32_e32 v93, v104, v93, vcc_lo
	v_cndmask_b32_e64 v76, v76, 0xffffff8a, vcc_lo
	v_lshl_add_u32 v104, 0x100000, v95, -1
	v_lshrrev_b32_e32 v105, v95, v93
	v_lshlrev_b32_e64 v107, v95, 0x80000
	v_add_nc_u32_e32 v95, v95, v76
	v_and_b32_e32 v93, v104, v93
	v_bfe_u32 v106, v105, 20, 1
	v_cmp_eq_u32_e64 s16, v93, v107
	v_add_nc_u32_e32 v104, -1, v106
	v_cndmask_b32_e64 v93, 0, v104, s16
	v_lshrrev_b32_e32 v104, 23, v105
	s_mov_b32 s16, exec_lo
	v_add_nc_u32_e32 v93, v93, v105
	v_xor_b32_e32 v104, 1, v104
	v_and_b32_e32 v76, 0xfffff, v93
	v_add_nc_u32_e32 v93, v76, v105
                                        ; implicit-def: $vgpr76
	v_cmpx_ne_u32_e64 v95, v104
	s_xor_b32 s16, exec_lo, s16
; %bb.2690:                             ;   in Loop: Header=BB4_2479 Depth=4
	v_cmp_lt_u32_e32 vcc_lo, 0xffffff, v93
	v_sub_nc_u32_e32 v76, v95, v104
	v_cndmask_b32_e64 v95, 0, 1, vcc_lo
	v_add_co_ci_u32_e64 v76, null, 0, v76, vcc_lo
	v_lshrrev_b32_e32 v93, v95, v93
; %bb.2691:                             ;   in Loop: Header=BB4_2479 Depth=4
	s_andn2_saveexec_b32 s16, s16
; %bb.2692:                             ;   in Loop: Header=BB4_2479 Depth=4
	v_bfe_u32 v76, v93, 23, 1
; %bb.2693:                             ;   in Loop: Header=BB4_2479 Depth=4
	s_or_b32 exec_lo, exec_lo, s16
	v_lshrrev_b32_e32 v93, 20, v93
	v_cmp_gt_i32_e32 vcc_lo, 16, v76
	v_min_i32_e32 v95, 15, v76
	v_and_b32_sdwa v94, v94, v118 dst_sel:DWORD dst_unused:UNUSED_PAD src0_sel:BYTE_3 src1_sel:DWORD
	v_cndmask_b32_e32 v93, 7, v93, vcc_lo
	v_lshlrev_b32_e32 v95, 3, v95
	v_and_b32_e32 v104, 7, v93
	v_or_b32_e32 v76, v76, v93
	v_or3_b32 v93, v95, v94, v104
	v_cmp_ne_u32_e32 vcc_lo, 0, v76
	v_cndmask_b32_e32 v76, 0, v93, vcc_lo
.LBB4_2694:                             ;   in Loop: Header=BB4_2479 Depth=4
	s_or_b32 exec_lo, exec_lo, s74
.LBB4_2695:                             ;   in Loop: Header=BB4_2479 Depth=4
	s_or_b32 exec_lo, exec_lo, s73
	v_cmp_gt_i16_sdwa s73, v92, v117 src0_sel:BYTE_0 src1_sel:DWORD
	s_andn2_b32 vcc_lo, exec_lo, s63
	s_mov_b32 s16, -1
                                        ; implicit-def: $vgpr93
	s_cbranch_vccnz .LBB4_2709
; %bb.2696:                             ;   in Loop: Header=BB4_2479 Depth=4
	s_mov_b32 s16, 0
	s_and_saveexec_b32 s74, s73
	s_xor_b32 s73, exec_lo, s74
	s_cbranch_execz .LBB4_3101
; %bb.2697:                             ;   in Loop: Header=BB4_2479 Depth=4
	v_cmp_eq_u16_sdwa s75, v92, v118 src0_sel:BYTE_0 src1_sel:DWORD
	s_mov_b32 s16, -1
	s_and_saveexec_b32 s74, s75
; %bb.2698:                             ;   in Loop: Header=BB4_2479 Depth=4
	s_xor_b32 s16, exec_lo, -1
; %bb.2699:                             ;   in Loop: Header=BB4_2479 Depth=4
	s_or_b32 exec_lo, exec_lo, s74
	s_and_b32 s16, s16, exec_lo
	s_or_saveexec_b32 s73, s73
	v_mov_b32_e32 v93, 0x7f800001
	s_xor_b32 exec_lo, exec_lo, s73
	s_cbranch_execnz .LBB4_3102
.LBB4_2700:                             ;   in Loop: Header=BB4_2479 Depth=4
	s_or_b32 exec_lo, exec_lo, s73
	s_and_saveexec_b32 s73, s16
	s_cbranch_execz .LBB4_2702
.LBB4_2701:                             ;   in Loop: Header=BB4_2479 Depth=4
	v_and_b32_e32 v93, 7, v92
	v_lshrrev_b16 v95, 3, v92
	v_lshlrev_b32_e32 v105, 24, v92
	v_ffbh_u32_e32 v94, v93
	v_and_b32_e32 v95, 15, v95
	v_min_u32_e32 v94, 32, v94
	v_cmp_eq_u32_e32 vcc_lo, 0, v95
	v_subrev_nc_u32_e32 v104, 28, v94
	v_sub_nc_u32_e32 v94, 29, v94
	v_lshlrev_b32_e32 v104, v104, v92
	v_cndmask_b32_e32 v94, v95, v94, vcc_lo
	v_and_b32_e32 v95, 0x80000000, v105
	v_and_b32_e32 v104, 7, v104
	v_lshl_add_u32 v94, v94, 23, 0x3b800000
	v_cndmask_b32_e32 v93, v93, v104, vcc_lo
	v_lshlrev_b32_e32 v93, 20, v93
	v_or3_b32 v93, v95, v94, v93
.LBB4_2702:                             ;   in Loop: Header=BB4_2479 Depth=4
	s_or_b32 exec_lo, exec_lo, s73
	s_waitcnt vmcnt(9) lgkmcnt(9)
	v_cmp_gt_i16_sdwa s73, v79, v117 src0_sel:BYTE_0 src1_sel:DWORD
	s_mov_b32 s16, 0
	s_and_saveexec_b32 s74, s73
	s_xor_b32 s73, exec_lo, s74
	s_cbranch_execz .LBB4_3103
; %bb.2703:                             ;   in Loop: Header=BB4_2479 Depth=4
	v_cmp_eq_u16_sdwa s75, v79, v118 src0_sel:BYTE_0 src1_sel:DWORD
	s_mov_b32 s16, -1
	s_and_saveexec_b32 s74, s75
; %bb.2704:                             ;   in Loop: Header=BB4_2479 Depth=4
	s_xor_b32 s16, exec_lo, -1
; %bb.2705:                             ;   in Loop: Header=BB4_2479 Depth=4
	s_or_b32 exec_lo, exec_lo, s74
	s_and_b32 s16, s16, exec_lo
	s_or_saveexec_b32 s73, s73
	v_mov_b32_e32 v94, 0x7f800001
	s_xor_b32 exec_lo, exec_lo, s73
	s_cbranch_execnz .LBB4_3104
.LBB4_2706:                             ;   in Loop: Header=BB4_2479 Depth=4
	s_or_b32 exec_lo, exec_lo, s73
	s_and_saveexec_b32 s73, s16
	s_cbranch_execz .LBB4_2708
.LBB4_2707:                             ;   in Loop: Header=BB4_2479 Depth=4
	v_and_b32_e32 v94, 7, v79
	v_lshrrev_b16 v104, 3, v79
	v_lshlrev_b32_e32 v106, 24, v79
	v_ffbh_u32_e32 v95, v94
	v_and_b32_e32 v104, 15, v104
	v_min_u32_e32 v95, 32, v95
	v_cmp_eq_u32_e32 vcc_lo, 0, v104
	v_subrev_nc_u32_e32 v105, 28, v95
	v_sub_nc_u32_e32 v95, 29, v95
	v_lshlrev_b32_e32 v105, v105, v79
	v_cndmask_b32_e32 v95, v104, v95, vcc_lo
	v_and_b32_e32 v104, 0x80000000, v106
	v_and_b32_e32 v105, 7, v105
	v_lshl_add_u32 v95, v95, 23, 0x3b800000
	v_cndmask_b32_e32 v94, v94, v105, vcc_lo
	v_lshlrev_b32_e32 v94, 20, v94
	v_or3_b32 v94, v104, v95, v94
.LBB4_2708:                             ;   in Loop: Header=BB4_2479 Depth=4
	s_or_b32 exec_lo, exec_lo, s73
	v_max_f32_e32 v94, v94, v94
	v_max_f32_e32 v93, v93, v93
	s_mov_b32 s16, 0
	v_max_f32_e32 v93, v93, v94
.LBB4_2709:                             ;   in Loop: Header=BB4_2479 Depth=4
	s_and_b32 vcc_lo, exec_lo, s16
	s_cbranch_vccz .LBB4_2723
; %bb.2710:                             ;   in Loop: Header=BB4_2479 Depth=4
	v_cmp_gt_i16_sdwa s73, v92, v117 src0_sel:BYTE_0 src1_sel:DWORD
	s_mov_b32 s16, 0
	s_and_saveexec_b32 s74, s73
	s_xor_b32 s73, exec_lo, s74
	s_cbranch_execz .LBB4_3105
; %bb.2711:                             ;   in Loop: Header=BB4_2479 Depth=4
	v_cmp_eq_u16_sdwa s75, v92, v118 src0_sel:BYTE_0 src1_sel:DWORD
	s_mov_b32 s16, -1
	s_and_saveexec_b32 s74, s75
; %bb.2712:                             ;   in Loop: Header=BB4_2479 Depth=4
	s_xor_b32 s16, exec_lo, -1
; %bb.2713:                             ;   in Loop: Header=BB4_2479 Depth=4
	s_or_b32 exec_lo, exec_lo, s74
	s_and_b32 s16, s16, exec_lo
	s_or_saveexec_b32 s73, s73
	v_mov_b32_e32 v93, 0x7f800001
	s_xor_b32 exec_lo, exec_lo, s73
	s_cbranch_execnz .LBB4_3106
.LBB4_2714:                             ;   in Loop: Header=BB4_2479 Depth=4
	s_or_b32 exec_lo, exec_lo, s73
	s_and_saveexec_b32 s73, s16
	s_cbranch_execz .LBB4_2716
.LBB4_2715:                             ;   in Loop: Header=BB4_2479 Depth=4
	v_and_b32_e32 v93, 7, v92
	v_lshrrev_b16 v95, 3, v92
	v_ffbh_u32_e32 v94, v93
	v_and_b32_e32 v95, 15, v95
	v_min_u32_e32 v94, 32, v94
	v_cmp_eq_u32_e32 vcc_lo, 0, v95
	v_subrev_nc_u32_e32 v104, 28, v94
	v_sub_nc_u32_e32 v94, 29, v94
	v_lshlrev_b32_e32 v104, v104, v92
	v_lshlrev_b32_e32 v92, 24, v92
	v_cndmask_b32_e32 v94, v95, v94, vcc_lo
	v_and_b32_e32 v104, 7, v104
	v_and_b32_e32 v92, 0x80000000, v92
	v_lshl_add_u32 v94, v94, 23, 0x3b800000
	v_cndmask_b32_e32 v93, v93, v104, vcc_lo
	v_lshlrev_b32_e32 v93, 20, v93
	v_or3_b32 v93, v92, v94, v93
.LBB4_2716:                             ;   in Loop: Header=BB4_2479 Depth=4
	s_or_b32 exec_lo, exec_lo, s73
	s_waitcnt vmcnt(9) lgkmcnt(9)
	v_cmp_gt_i16_sdwa s73, v79, v117 src0_sel:BYTE_0 src1_sel:DWORD
	s_mov_b32 s16, 0
	s_and_saveexec_b32 s74, s73
	s_xor_b32 s73, exec_lo, s74
	s_cbranch_execz .LBB4_3107
; %bb.2717:                             ;   in Loop: Header=BB4_2479 Depth=4
	v_cmp_eq_u16_sdwa s75, v79, v118 src0_sel:BYTE_0 src1_sel:DWORD
	s_mov_b32 s16, -1
	s_and_saveexec_b32 s74, s75
; %bb.2718:                             ;   in Loop: Header=BB4_2479 Depth=4
	s_xor_b32 s16, exec_lo, -1
; %bb.2719:                             ;   in Loop: Header=BB4_2479 Depth=4
	s_or_b32 exec_lo, exec_lo, s74
	s_and_b32 s16, s16, exec_lo
	s_or_saveexec_b32 s73, s73
	v_mov_b32_e32 v92, 0x7f800001
	s_xor_b32 exec_lo, exec_lo, s73
	s_cbranch_execnz .LBB4_3108
.LBB4_2720:                             ;   in Loop: Header=BB4_2479 Depth=4
	s_or_b32 exec_lo, exec_lo, s73
	s_and_saveexec_b32 s73, s16
	s_cbranch_execz .LBB4_2722
.LBB4_2721:                             ;   in Loop: Header=BB4_2479 Depth=4
	v_and_b32_e32 v92, 7, v79
	v_lshrrev_b16 v95, 3, v79
	v_ffbh_u32_e32 v94, v92
	v_and_b32_e32 v95, 15, v95
	v_min_u32_e32 v94, 32, v94
	v_cmp_eq_u32_e32 vcc_lo, 0, v95
	v_subrev_nc_u32_e32 v104, 28, v94
	v_sub_nc_u32_e32 v94, 29, v94
	v_lshlrev_b32_e32 v104, v104, v79
	v_lshlrev_b32_e32 v79, 24, v79
	v_cndmask_b32_e32 v94, v95, v94, vcc_lo
	v_and_b32_e32 v104, 7, v104
	v_and_b32_e32 v79, 0x80000000, v79
	v_lshl_add_u32 v94, v94, 23, 0x3b800000
	v_cndmask_b32_e32 v92, v92, v104, vcc_lo
	v_lshlrev_b32_e32 v92, 20, v92
	v_or3_b32 v92, v79, v94, v92
.LBB4_2722:                             ;   in Loop: Header=BB4_2479 Depth=4
	s_or_b32 exec_lo, exec_lo, s73
	v_max_f32_e32 v79, v92, v92
	v_max_f32_e32 v92, v93, v93
	v_min_f32_e32 v93, v92, v79
.LBB4_2723:                             ;   in Loop: Header=BB4_2479 Depth=4
	s_waitcnt vmcnt(9) lgkmcnt(9)
	v_and_b32_e32 v79, 0x7f800000, v93
	v_cmp_ne_u32_e32 vcc_lo, 0x7f800000, v79
	v_mov_b32_e32 v79, 0x80
	s_and_saveexec_b32 s73, vcc_lo
	s_cbranch_execz .LBB4_2731
; %bb.2724:                             ;   in Loop: Header=BB4_2479 Depth=4
	v_mov_b32_e32 v79, 0
	s_mov_b32 s74, exec_lo
	v_cmpx_ne_u32_e32 0, v93
	s_cbranch_execz .LBB4_2730
; %bb.2725:                             ;   in Loop: Header=BB4_2479 Depth=4
	v_bfe_u32 v79, v93, 23, 8
	v_and_b32_e32 v92, 0x7fffff, v93
	v_sub_nc_u32_e32 v94, 0x78, v79
	v_cmp_gt_u32_e32 vcc_lo, 0x79, v79
	v_or_b32_e32 v95, 0x800000, v92
	v_cndmask_b32_e32 v94, 0, v94, vcc_lo
	v_cmp_eq_u32_e32 vcc_lo, 0, v79
	v_add_nc_u32_e32 v79, 0xffffff89, v79
	v_cndmask_b32_e64 v94, v94, 0x77, vcc_lo
	v_cndmask_b32_e32 v92, v95, v92, vcc_lo
	v_cndmask_b32_e64 v79, v79, 0xffffff8a, vcc_lo
	v_lshl_add_u32 v95, 0x100000, v94, -1
	v_lshrrev_b32_e32 v104, v94, v92
	v_lshlrev_b32_e64 v106, v94, 0x80000
	v_add_nc_u32_e32 v94, v94, v79
	v_and_b32_e32 v92, v95, v92
	v_bfe_u32 v105, v104, 20, 1
	v_cmp_eq_u32_e64 s16, v92, v106
	v_add_nc_u32_e32 v95, -1, v105
	v_cndmask_b32_e64 v92, 0, v95, s16
	v_lshrrev_b32_e32 v95, 23, v104
	s_mov_b32 s16, exec_lo
	v_add_nc_u32_e32 v92, v92, v104
	v_xor_b32_e32 v95, 1, v95
	v_and_b32_e32 v79, 0xfffff, v92
	v_add_nc_u32_e32 v92, v79, v104
                                        ; implicit-def: $vgpr79
	v_cmpx_ne_u32_e64 v94, v95
	s_xor_b32 s16, exec_lo, s16
; %bb.2726:                             ;   in Loop: Header=BB4_2479 Depth=4
	v_cmp_lt_u32_e32 vcc_lo, 0xffffff, v92
	v_sub_nc_u32_e32 v79, v94, v95
	v_cndmask_b32_e64 v94, 0, 1, vcc_lo
	v_add_co_ci_u32_e64 v79, null, 0, v79, vcc_lo
	v_lshrrev_b32_e32 v92, v94, v92
; %bb.2727:                             ;   in Loop: Header=BB4_2479 Depth=4
	s_andn2_saveexec_b32 s16, s16
; %bb.2728:                             ;   in Loop: Header=BB4_2479 Depth=4
	v_bfe_u32 v79, v92, 23, 1
; %bb.2729:                             ;   in Loop: Header=BB4_2479 Depth=4
	s_or_b32 exec_lo, exec_lo, s16
	v_lshrrev_b32_e32 v92, 20, v92
	v_cmp_gt_i32_e32 vcc_lo, 16, v79
	v_min_i32_e32 v94, 15, v79
	v_and_b32_sdwa v93, v93, v118 dst_sel:DWORD dst_unused:UNUSED_PAD src0_sel:BYTE_3 src1_sel:DWORD
	v_cndmask_b32_e32 v92, 7, v92, vcc_lo
	v_lshlrev_b32_e32 v94, 3, v94
	v_and_b32_e32 v95, 7, v92
	v_or_b32_e32 v79, v79, v92
	v_or3_b32 v92, v94, v93, v95
	v_cmp_ne_u32_e32 vcc_lo, 0, v79
	v_cndmask_b32_e32 v79, 0, v92, vcc_lo
.LBB4_2730:                             ;   in Loop: Header=BB4_2479 Depth=4
	s_or_b32 exec_lo, exec_lo, s74
.LBB4_2731:                             ;   in Loop: Header=BB4_2479 Depth=4
	s_or_b32 exec_lo, exec_lo, s73
	v_cmp_gt_i16_sdwa s73, v91, v117 src0_sel:BYTE_0 src1_sel:DWORD
	s_andn2_b32 vcc_lo, exec_lo, s63
	s_mov_b32 s16, -1
                                        ; implicit-def: $vgpr92
	s_cbranch_vccnz .LBB4_2745
; %bb.2732:                             ;   in Loop: Header=BB4_2479 Depth=4
	s_mov_b32 s16, 0
	s_and_saveexec_b32 s74, s73
	s_xor_b32 s73, exec_lo, s74
	s_cbranch_execz .LBB4_3109
; %bb.2733:                             ;   in Loop: Header=BB4_2479 Depth=4
	v_cmp_eq_u16_sdwa s75, v91, v118 src0_sel:BYTE_0 src1_sel:DWORD
	s_mov_b32 s16, -1
	s_and_saveexec_b32 s74, s75
; %bb.2734:                             ;   in Loop: Header=BB4_2479 Depth=4
	s_xor_b32 s16, exec_lo, -1
; %bb.2735:                             ;   in Loop: Header=BB4_2479 Depth=4
	s_or_b32 exec_lo, exec_lo, s74
	s_and_b32 s16, s16, exec_lo
	s_or_saveexec_b32 s73, s73
	v_mov_b32_e32 v92, 0x7f800001
	s_xor_b32 exec_lo, exec_lo, s73
	s_cbranch_execnz .LBB4_3110
.LBB4_2736:                             ;   in Loop: Header=BB4_2479 Depth=4
	s_or_b32 exec_lo, exec_lo, s73
	s_and_saveexec_b32 s73, s16
	s_cbranch_execz .LBB4_2738
.LBB4_2737:                             ;   in Loop: Header=BB4_2479 Depth=4
	v_and_b32_e32 v92, 7, v91
	v_lshrrev_b16 v94, 3, v91
	v_lshlrev_b32_e32 v104, 24, v91
	v_ffbh_u32_e32 v93, v92
	v_and_b32_e32 v94, 15, v94
	v_min_u32_e32 v93, 32, v93
	v_cmp_eq_u32_e32 vcc_lo, 0, v94
	v_subrev_nc_u32_e32 v95, 28, v93
	v_sub_nc_u32_e32 v93, 29, v93
	v_lshlrev_b32_e32 v95, v95, v91
	v_cndmask_b32_e32 v93, v94, v93, vcc_lo
	v_and_b32_e32 v94, 0x80000000, v104
	v_and_b32_e32 v95, 7, v95
	v_lshl_add_u32 v93, v93, 23, 0x3b800000
	v_cndmask_b32_e32 v92, v92, v95, vcc_lo
	v_lshlrev_b32_e32 v92, 20, v92
	v_or3_b32 v92, v94, v93, v92
.LBB4_2738:                             ;   in Loop: Header=BB4_2479 Depth=4
	s_or_b32 exec_lo, exec_lo, s73
	s_waitcnt vmcnt(8) lgkmcnt(8)
	v_cmp_gt_i16_sdwa s73, v90, v117 src0_sel:BYTE_0 src1_sel:DWORD
	s_mov_b32 s16, 0
	s_and_saveexec_b32 s74, s73
	s_xor_b32 s73, exec_lo, s74
	s_cbranch_execz .LBB4_3111
; %bb.2739:                             ;   in Loop: Header=BB4_2479 Depth=4
	v_cmp_eq_u16_sdwa s75, v90, v118 src0_sel:BYTE_0 src1_sel:DWORD
	s_mov_b32 s16, -1
	s_and_saveexec_b32 s74, s75
; %bb.2740:                             ;   in Loop: Header=BB4_2479 Depth=4
	s_xor_b32 s16, exec_lo, -1
; %bb.2741:                             ;   in Loop: Header=BB4_2479 Depth=4
	s_or_b32 exec_lo, exec_lo, s74
	s_and_b32 s16, s16, exec_lo
	s_or_saveexec_b32 s73, s73
	v_mov_b32_e32 v93, 0x7f800001
	s_xor_b32 exec_lo, exec_lo, s73
	s_cbranch_execnz .LBB4_3112
.LBB4_2742:                             ;   in Loop: Header=BB4_2479 Depth=4
	s_or_b32 exec_lo, exec_lo, s73
	s_and_saveexec_b32 s73, s16
	s_cbranch_execz .LBB4_2744
.LBB4_2743:                             ;   in Loop: Header=BB4_2479 Depth=4
	v_and_b32_e32 v93, 7, v90
	v_lshrrev_b16 v95, 3, v90
	v_lshlrev_b32_e32 v105, 24, v90
	v_ffbh_u32_e32 v94, v93
	v_and_b32_e32 v95, 15, v95
	v_min_u32_e32 v94, 32, v94
	v_cmp_eq_u32_e32 vcc_lo, 0, v95
	v_subrev_nc_u32_e32 v104, 28, v94
	v_sub_nc_u32_e32 v94, 29, v94
	v_lshlrev_b32_e32 v104, v104, v90
	v_cndmask_b32_e32 v94, v95, v94, vcc_lo
	v_and_b32_e32 v95, 0x80000000, v105
	v_and_b32_e32 v104, 7, v104
	v_lshl_add_u32 v94, v94, 23, 0x3b800000
	v_cndmask_b32_e32 v93, v93, v104, vcc_lo
	v_lshlrev_b32_e32 v93, 20, v93
	v_or3_b32 v93, v95, v94, v93
.LBB4_2744:                             ;   in Loop: Header=BB4_2479 Depth=4
	s_or_b32 exec_lo, exec_lo, s73
	v_max_f32_e32 v93, v93, v93
	v_max_f32_e32 v92, v92, v92
	s_mov_b32 s16, 0
	v_max_f32_e32 v92, v92, v93
.LBB4_2745:                             ;   in Loop: Header=BB4_2479 Depth=4
	s_and_b32 vcc_lo, exec_lo, s16
	s_cbranch_vccz .LBB4_2759
; %bb.2746:                             ;   in Loop: Header=BB4_2479 Depth=4
	v_cmp_gt_i16_sdwa s73, v91, v117 src0_sel:BYTE_0 src1_sel:DWORD
	s_mov_b32 s16, 0
	s_and_saveexec_b32 s74, s73
	s_xor_b32 s73, exec_lo, s74
	s_cbranch_execz .LBB4_3113
; %bb.2747:                             ;   in Loop: Header=BB4_2479 Depth=4
	v_cmp_eq_u16_sdwa s75, v91, v118 src0_sel:BYTE_0 src1_sel:DWORD
	s_mov_b32 s16, -1
	s_and_saveexec_b32 s74, s75
; %bb.2748:                             ;   in Loop: Header=BB4_2479 Depth=4
	s_xor_b32 s16, exec_lo, -1
; %bb.2749:                             ;   in Loop: Header=BB4_2479 Depth=4
	s_or_b32 exec_lo, exec_lo, s74
	s_and_b32 s16, s16, exec_lo
	s_or_saveexec_b32 s73, s73
	v_mov_b32_e32 v92, 0x7f800001
	s_xor_b32 exec_lo, exec_lo, s73
	s_cbranch_execnz .LBB4_3114
.LBB4_2750:                             ;   in Loop: Header=BB4_2479 Depth=4
	s_or_b32 exec_lo, exec_lo, s73
	s_and_saveexec_b32 s73, s16
	s_cbranch_execz .LBB4_2752
.LBB4_2751:                             ;   in Loop: Header=BB4_2479 Depth=4
	v_and_b32_e32 v92, 7, v91
	v_lshrrev_b16 v94, 3, v91
	v_ffbh_u32_e32 v93, v92
	v_and_b32_e32 v94, 15, v94
	v_min_u32_e32 v93, 32, v93
	v_cmp_eq_u32_e32 vcc_lo, 0, v94
	v_subrev_nc_u32_e32 v95, 28, v93
	v_sub_nc_u32_e32 v93, 29, v93
	v_lshlrev_b32_e32 v95, v95, v91
	v_lshlrev_b32_e32 v91, 24, v91
	v_cndmask_b32_e32 v93, v94, v93, vcc_lo
	v_and_b32_e32 v95, 7, v95
	v_and_b32_e32 v91, 0x80000000, v91
	v_lshl_add_u32 v93, v93, 23, 0x3b800000
	v_cndmask_b32_e32 v92, v92, v95, vcc_lo
	v_lshlrev_b32_e32 v92, 20, v92
	v_or3_b32 v92, v91, v93, v92
.LBB4_2752:                             ;   in Loop: Header=BB4_2479 Depth=4
	s_or_b32 exec_lo, exec_lo, s73
	s_waitcnt vmcnt(8) lgkmcnt(8)
	v_cmp_gt_i16_sdwa s73, v90, v117 src0_sel:BYTE_0 src1_sel:DWORD
	s_mov_b32 s16, 0
	s_and_saveexec_b32 s74, s73
	s_xor_b32 s73, exec_lo, s74
	s_cbranch_execz .LBB4_3115
; %bb.2753:                             ;   in Loop: Header=BB4_2479 Depth=4
	v_cmp_eq_u16_sdwa s75, v90, v118 src0_sel:BYTE_0 src1_sel:DWORD
	s_mov_b32 s16, -1
	s_and_saveexec_b32 s74, s75
; %bb.2754:                             ;   in Loop: Header=BB4_2479 Depth=4
	s_xor_b32 s16, exec_lo, -1
; %bb.2755:                             ;   in Loop: Header=BB4_2479 Depth=4
	s_or_b32 exec_lo, exec_lo, s74
	s_and_b32 s16, s16, exec_lo
	s_or_saveexec_b32 s73, s73
	v_mov_b32_e32 v91, 0x7f800001
	s_xor_b32 exec_lo, exec_lo, s73
	s_cbranch_execnz .LBB4_3116
.LBB4_2756:                             ;   in Loop: Header=BB4_2479 Depth=4
	s_or_b32 exec_lo, exec_lo, s73
	s_and_saveexec_b32 s73, s16
	s_cbranch_execz .LBB4_2758
.LBB4_2757:                             ;   in Loop: Header=BB4_2479 Depth=4
	v_and_b32_e32 v91, 7, v90
	v_lshrrev_b16 v94, 3, v90
	v_ffbh_u32_e32 v93, v91
	v_and_b32_e32 v94, 15, v94
	v_min_u32_e32 v93, 32, v93
	v_cmp_eq_u32_e32 vcc_lo, 0, v94
	v_subrev_nc_u32_e32 v95, 28, v93
	v_sub_nc_u32_e32 v93, 29, v93
	v_lshlrev_b32_e32 v95, v95, v90
	v_lshlrev_b32_e32 v90, 24, v90
	v_cndmask_b32_e32 v93, v94, v93, vcc_lo
	v_and_b32_e32 v95, 7, v95
	v_and_b32_e32 v90, 0x80000000, v90
	v_lshl_add_u32 v93, v93, 23, 0x3b800000
	v_cndmask_b32_e32 v91, v91, v95, vcc_lo
	v_lshlrev_b32_e32 v91, 20, v91
	v_or3_b32 v91, v90, v93, v91
.LBB4_2758:                             ;   in Loop: Header=BB4_2479 Depth=4
	s_or_b32 exec_lo, exec_lo, s73
	v_max_f32_e32 v90, v91, v91
	v_max_f32_e32 v91, v92, v92
	v_min_f32_e32 v92, v91, v90
.LBB4_2759:                             ;   in Loop: Header=BB4_2479 Depth=4
	s_waitcnt vmcnt(8) lgkmcnt(8)
	v_and_b32_e32 v90, 0x7f800000, v92
	v_cmp_ne_u32_e32 vcc_lo, 0x7f800000, v90
	v_mov_b32_e32 v90, 0x80
	s_and_saveexec_b32 s73, vcc_lo
	s_cbranch_execz .LBB4_2767
; %bb.2760:                             ;   in Loop: Header=BB4_2479 Depth=4
	v_mov_b32_e32 v90, 0
	s_mov_b32 s74, exec_lo
	v_cmpx_ne_u32_e32 0, v92
	s_cbranch_execz .LBB4_2766
; %bb.2761:                             ;   in Loop: Header=BB4_2479 Depth=4
	v_bfe_u32 v90, v92, 23, 8
	v_and_b32_e32 v91, 0x7fffff, v92
	v_sub_nc_u32_e32 v93, 0x78, v90
	v_cmp_gt_u32_e32 vcc_lo, 0x79, v90
	v_or_b32_e32 v94, 0x800000, v91
	v_cndmask_b32_e32 v93, 0, v93, vcc_lo
	v_cmp_eq_u32_e32 vcc_lo, 0, v90
	v_add_nc_u32_e32 v90, 0xffffff89, v90
	v_cndmask_b32_e64 v93, v93, 0x77, vcc_lo
	v_cndmask_b32_e32 v91, v94, v91, vcc_lo
	v_cndmask_b32_e64 v90, v90, 0xffffff8a, vcc_lo
	v_lshl_add_u32 v94, 0x100000, v93, -1
	v_lshrrev_b32_e32 v95, v93, v91
	v_lshlrev_b32_e64 v105, v93, 0x80000
	v_add_nc_u32_e32 v93, v93, v90
	v_and_b32_e32 v91, v94, v91
	v_bfe_u32 v104, v95, 20, 1
	v_cmp_eq_u32_e64 s16, v91, v105
	v_add_nc_u32_e32 v94, -1, v104
	v_cndmask_b32_e64 v91, 0, v94, s16
	v_lshrrev_b32_e32 v94, 23, v95
	s_mov_b32 s16, exec_lo
	v_add_nc_u32_e32 v91, v91, v95
	v_xor_b32_e32 v94, 1, v94
	v_and_b32_e32 v90, 0xfffff, v91
	v_add_nc_u32_e32 v91, v90, v95
                                        ; implicit-def: $vgpr90
	v_cmpx_ne_u32_e64 v93, v94
	s_xor_b32 s16, exec_lo, s16
; %bb.2762:                             ;   in Loop: Header=BB4_2479 Depth=4
	v_cmp_lt_u32_e32 vcc_lo, 0xffffff, v91
	v_sub_nc_u32_e32 v90, v93, v94
	v_cndmask_b32_e64 v93, 0, 1, vcc_lo
	v_add_co_ci_u32_e64 v90, null, 0, v90, vcc_lo
	v_lshrrev_b32_e32 v91, v93, v91
; %bb.2763:                             ;   in Loop: Header=BB4_2479 Depth=4
	s_andn2_saveexec_b32 s16, s16
; %bb.2764:                             ;   in Loop: Header=BB4_2479 Depth=4
	v_bfe_u32 v90, v91, 23, 1
; %bb.2765:                             ;   in Loop: Header=BB4_2479 Depth=4
	s_or_b32 exec_lo, exec_lo, s16
	v_lshrrev_b32_e32 v91, 20, v91
	v_cmp_gt_i32_e32 vcc_lo, 16, v90
	v_min_i32_e32 v93, 15, v90
	v_and_b32_sdwa v92, v92, v118 dst_sel:DWORD dst_unused:UNUSED_PAD src0_sel:BYTE_3 src1_sel:DWORD
	v_cndmask_b32_e32 v91, 7, v91, vcc_lo
	v_lshlrev_b32_e32 v93, 3, v93
	v_and_b32_e32 v94, 7, v91
	v_or_b32_e32 v90, v90, v91
	v_or3_b32 v91, v93, v92, v94
	v_cmp_ne_u32_e32 vcc_lo, 0, v90
	v_cndmask_b32_e32 v90, 0, v91, vcc_lo
.LBB4_2766:                             ;   in Loop: Header=BB4_2479 Depth=4
	s_or_b32 exec_lo, exec_lo, s74
.LBB4_2767:                             ;   in Loop: Header=BB4_2479 Depth=4
	s_or_b32 exec_lo, exec_lo, s73
	v_cmp_gt_i16_sdwa s73, v89, v117 src0_sel:BYTE_0 src1_sel:DWORD
	s_andn2_b32 vcc_lo, exec_lo, s63
	s_mov_b32 s16, -1
                                        ; implicit-def: $vgpr91
	s_cbranch_vccnz .LBB4_2781
; %bb.2768:                             ;   in Loop: Header=BB4_2479 Depth=4
	s_mov_b32 s16, 0
	s_and_saveexec_b32 s74, s73
	s_xor_b32 s73, exec_lo, s74
	s_cbranch_execz .LBB4_3117
; %bb.2769:                             ;   in Loop: Header=BB4_2479 Depth=4
	v_cmp_eq_u16_sdwa s75, v89, v118 src0_sel:BYTE_0 src1_sel:DWORD
	s_mov_b32 s16, -1
	s_and_saveexec_b32 s74, s75
; %bb.2770:                             ;   in Loop: Header=BB4_2479 Depth=4
	s_xor_b32 s16, exec_lo, -1
; %bb.2771:                             ;   in Loop: Header=BB4_2479 Depth=4
	s_or_b32 exec_lo, exec_lo, s74
	s_and_b32 s16, s16, exec_lo
	s_or_saveexec_b32 s73, s73
	v_mov_b32_e32 v91, 0x7f800001
	s_xor_b32 exec_lo, exec_lo, s73
	s_cbranch_execnz .LBB4_3118
.LBB4_2772:                             ;   in Loop: Header=BB4_2479 Depth=4
	s_or_b32 exec_lo, exec_lo, s73
	s_and_saveexec_b32 s73, s16
	s_cbranch_execz .LBB4_2774
.LBB4_2773:                             ;   in Loop: Header=BB4_2479 Depth=4
	v_and_b32_e32 v91, 7, v89
	v_lshrrev_b16 v93, 3, v89
	v_lshlrev_b32_e32 v95, 24, v89
	v_ffbh_u32_e32 v92, v91
	v_and_b32_e32 v93, 15, v93
	v_min_u32_e32 v92, 32, v92
	v_cmp_eq_u32_e32 vcc_lo, 0, v93
	v_subrev_nc_u32_e32 v94, 28, v92
	v_sub_nc_u32_e32 v92, 29, v92
	v_lshlrev_b32_e32 v94, v94, v89
	v_cndmask_b32_e32 v92, v93, v92, vcc_lo
	v_and_b32_e32 v93, 0x80000000, v95
	v_and_b32_e32 v94, 7, v94
	v_lshl_add_u32 v92, v92, 23, 0x3b800000
	v_cndmask_b32_e32 v91, v91, v94, vcc_lo
	v_lshlrev_b32_e32 v91, 20, v91
	v_or3_b32 v91, v93, v92, v91
.LBB4_2774:                             ;   in Loop: Header=BB4_2479 Depth=4
	s_or_b32 exec_lo, exec_lo, s73
	s_waitcnt vmcnt(7) lgkmcnt(7)
	v_cmp_gt_i16_sdwa s73, v88, v117 src0_sel:BYTE_0 src1_sel:DWORD
	s_mov_b32 s16, 0
	s_and_saveexec_b32 s74, s73
	s_xor_b32 s73, exec_lo, s74
	s_cbranch_execz .LBB4_3119
; %bb.2775:                             ;   in Loop: Header=BB4_2479 Depth=4
	v_cmp_eq_u16_sdwa s75, v88, v118 src0_sel:BYTE_0 src1_sel:DWORD
	s_mov_b32 s16, -1
	s_and_saveexec_b32 s74, s75
; %bb.2776:                             ;   in Loop: Header=BB4_2479 Depth=4
	s_xor_b32 s16, exec_lo, -1
; %bb.2777:                             ;   in Loop: Header=BB4_2479 Depth=4
	s_or_b32 exec_lo, exec_lo, s74
	s_and_b32 s16, s16, exec_lo
	s_or_saveexec_b32 s73, s73
	v_mov_b32_e32 v92, 0x7f800001
	s_xor_b32 exec_lo, exec_lo, s73
	s_cbranch_execnz .LBB4_3120
.LBB4_2778:                             ;   in Loop: Header=BB4_2479 Depth=4
	s_or_b32 exec_lo, exec_lo, s73
	s_and_saveexec_b32 s73, s16
	s_cbranch_execz .LBB4_2780
.LBB4_2779:                             ;   in Loop: Header=BB4_2479 Depth=4
	v_and_b32_e32 v92, 7, v88
	v_lshrrev_b16 v94, 3, v88
	v_lshlrev_b32_e32 v104, 24, v88
	v_ffbh_u32_e32 v93, v92
	v_and_b32_e32 v94, 15, v94
	v_min_u32_e32 v93, 32, v93
	v_cmp_eq_u32_e32 vcc_lo, 0, v94
	v_subrev_nc_u32_e32 v95, 28, v93
	v_sub_nc_u32_e32 v93, 29, v93
	v_lshlrev_b32_e32 v95, v95, v88
	v_cndmask_b32_e32 v93, v94, v93, vcc_lo
	v_and_b32_e32 v94, 0x80000000, v104
	v_and_b32_e32 v95, 7, v95
	v_lshl_add_u32 v93, v93, 23, 0x3b800000
	v_cndmask_b32_e32 v92, v92, v95, vcc_lo
	v_lshlrev_b32_e32 v92, 20, v92
	v_or3_b32 v92, v94, v93, v92
.LBB4_2780:                             ;   in Loop: Header=BB4_2479 Depth=4
	s_or_b32 exec_lo, exec_lo, s73
	v_max_f32_e32 v92, v92, v92
	v_max_f32_e32 v91, v91, v91
	s_mov_b32 s16, 0
	v_max_f32_e32 v91, v91, v92
.LBB4_2781:                             ;   in Loop: Header=BB4_2479 Depth=4
	s_and_b32 vcc_lo, exec_lo, s16
	s_cbranch_vccz .LBB4_2795
; %bb.2782:                             ;   in Loop: Header=BB4_2479 Depth=4
	v_cmp_gt_i16_sdwa s73, v89, v117 src0_sel:BYTE_0 src1_sel:DWORD
	s_mov_b32 s16, 0
	s_and_saveexec_b32 s74, s73
	s_xor_b32 s73, exec_lo, s74
	s_cbranch_execz .LBB4_3121
; %bb.2783:                             ;   in Loop: Header=BB4_2479 Depth=4
	v_cmp_eq_u16_sdwa s75, v89, v118 src0_sel:BYTE_0 src1_sel:DWORD
	s_mov_b32 s16, -1
	s_and_saveexec_b32 s74, s75
; %bb.2784:                             ;   in Loop: Header=BB4_2479 Depth=4
	s_xor_b32 s16, exec_lo, -1
; %bb.2785:                             ;   in Loop: Header=BB4_2479 Depth=4
	s_or_b32 exec_lo, exec_lo, s74
	s_and_b32 s16, s16, exec_lo
	s_or_saveexec_b32 s73, s73
	v_mov_b32_e32 v91, 0x7f800001
	s_xor_b32 exec_lo, exec_lo, s73
	s_cbranch_execnz .LBB4_3122
.LBB4_2786:                             ;   in Loop: Header=BB4_2479 Depth=4
	s_or_b32 exec_lo, exec_lo, s73
	s_and_saveexec_b32 s73, s16
	s_cbranch_execz .LBB4_2788
.LBB4_2787:                             ;   in Loop: Header=BB4_2479 Depth=4
	v_and_b32_e32 v91, 7, v89
	v_lshrrev_b16 v93, 3, v89
	v_ffbh_u32_e32 v92, v91
	v_and_b32_e32 v93, 15, v93
	v_min_u32_e32 v92, 32, v92
	v_cmp_eq_u32_e32 vcc_lo, 0, v93
	v_subrev_nc_u32_e32 v94, 28, v92
	v_sub_nc_u32_e32 v92, 29, v92
	v_lshlrev_b32_e32 v94, v94, v89
	v_lshlrev_b32_e32 v89, 24, v89
	v_cndmask_b32_e32 v92, v93, v92, vcc_lo
	v_and_b32_e32 v94, 7, v94
	v_and_b32_e32 v89, 0x80000000, v89
	v_lshl_add_u32 v92, v92, 23, 0x3b800000
	v_cndmask_b32_e32 v91, v91, v94, vcc_lo
	v_lshlrev_b32_e32 v91, 20, v91
	v_or3_b32 v91, v89, v92, v91
.LBB4_2788:                             ;   in Loop: Header=BB4_2479 Depth=4
	s_or_b32 exec_lo, exec_lo, s73
	s_waitcnt vmcnt(7) lgkmcnt(7)
	v_cmp_gt_i16_sdwa s73, v88, v117 src0_sel:BYTE_0 src1_sel:DWORD
	s_mov_b32 s16, 0
	s_and_saveexec_b32 s74, s73
	s_xor_b32 s73, exec_lo, s74
	s_cbranch_execz .LBB4_3123
; %bb.2789:                             ;   in Loop: Header=BB4_2479 Depth=4
	v_cmp_eq_u16_sdwa s75, v88, v118 src0_sel:BYTE_0 src1_sel:DWORD
	s_mov_b32 s16, -1
	s_and_saveexec_b32 s74, s75
; %bb.2790:                             ;   in Loop: Header=BB4_2479 Depth=4
	s_xor_b32 s16, exec_lo, -1
; %bb.2791:                             ;   in Loop: Header=BB4_2479 Depth=4
	s_or_b32 exec_lo, exec_lo, s74
	s_and_b32 s16, s16, exec_lo
	s_or_saveexec_b32 s73, s73
	v_mov_b32_e32 v89, 0x7f800001
	s_xor_b32 exec_lo, exec_lo, s73
	s_cbranch_execnz .LBB4_3124
.LBB4_2792:                             ;   in Loop: Header=BB4_2479 Depth=4
	s_or_b32 exec_lo, exec_lo, s73
	s_and_saveexec_b32 s73, s16
	s_cbranch_execz .LBB4_2794
.LBB4_2793:                             ;   in Loop: Header=BB4_2479 Depth=4
	v_and_b32_e32 v89, 7, v88
	v_lshrrev_b16 v93, 3, v88
	v_ffbh_u32_e32 v92, v89
	v_and_b32_e32 v93, 15, v93
	v_min_u32_e32 v92, 32, v92
	v_cmp_eq_u32_e32 vcc_lo, 0, v93
	v_subrev_nc_u32_e32 v94, 28, v92
	v_sub_nc_u32_e32 v92, 29, v92
	v_lshlrev_b32_e32 v94, v94, v88
	v_lshlrev_b32_e32 v88, 24, v88
	v_cndmask_b32_e32 v92, v93, v92, vcc_lo
	v_and_b32_e32 v94, 7, v94
	v_and_b32_e32 v88, 0x80000000, v88
	v_lshl_add_u32 v92, v92, 23, 0x3b800000
	v_cndmask_b32_e32 v89, v89, v94, vcc_lo
	v_lshlrev_b32_e32 v89, 20, v89
	v_or3_b32 v89, v88, v92, v89
.LBB4_2794:                             ;   in Loop: Header=BB4_2479 Depth=4
	s_or_b32 exec_lo, exec_lo, s73
	v_max_f32_e32 v88, v89, v89
	v_max_f32_e32 v89, v91, v91
	v_min_f32_e32 v91, v89, v88
.LBB4_2795:                             ;   in Loop: Header=BB4_2479 Depth=4
	s_waitcnt vmcnt(7) lgkmcnt(7)
	v_and_b32_e32 v88, 0x7f800000, v91
	v_cmp_ne_u32_e32 vcc_lo, 0x7f800000, v88
	v_mov_b32_e32 v88, 0x80
	s_and_saveexec_b32 s73, vcc_lo
	s_cbranch_execz .LBB4_2803
; %bb.2796:                             ;   in Loop: Header=BB4_2479 Depth=4
	v_mov_b32_e32 v88, 0
	s_mov_b32 s74, exec_lo
	v_cmpx_ne_u32_e32 0, v91
	s_cbranch_execz .LBB4_2802
; %bb.2797:                             ;   in Loop: Header=BB4_2479 Depth=4
	v_bfe_u32 v88, v91, 23, 8
	v_and_b32_e32 v89, 0x7fffff, v91
	v_sub_nc_u32_e32 v92, 0x78, v88
	v_cmp_gt_u32_e32 vcc_lo, 0x79, v88
	v_or_b32_e32 v93, 0x800000, v89
	v_cndmask_b32_e32 v92, 0, v92, vcc_lo
	v_cmp_eq_u32_e32 vcc_lo, 0, v88
	v_add_nc_u32_e32 v88, 0xffffff89, v88
	v_cndmask_b32_e64 v92, v92, 0x77, vcc_lo
	v_cndmask_b32_e32 v89, v93, v89, vcc_lo
	v_cndmask_b32_e64 v88, v88, 0xffffff8a, vcc_lo
	v_lshl_add_u32 v93, 0x100000, v92, -1
	v_lshrrev_b32_e32 v94, v92, v89
	v_lshlrev_b32_e64 v104, v92, 0x80000
	v_add_nc_u32_e32 v92, v92, v88
	v_and_b32_e32 v89, v93, v89
	v_bfe_u32 v95, v94, 20, 1
	v_cmp_eq_u32_e64 s16, v89, v104
	v_add_nc_u32_e32 v93, -1, v95
	v_cndmask_b32_e64 v89, 0, v93, s16
	v_lshrrev_b32_e32 v93, 23, v94
	s_mov_b32 s16, exec_lo
	v_add_nc_u32_e32 v89, v89, v94
	v_xor_b32_e32 v93, 1, v93
	v_and_b32_e32 v88, 0xfffff, v89
	v_add_nc_u32_e32 v89, v88, v94
                                        ; implicit-def: $vgpr88
	v_cmpx_ne_u32_e64 v92, v93
	s_xor_b32 s16, exec_lo, s16
; %bb.2798:                             ;   in Loop: Header=BB4_2479 Depth=4
	v_cmp_lt_u32_e32 vcc_lo, 0xffffff, v89
	v_sub_nc_u32_e32 v88, v92, v93
	v_cndmask_b32_e64 v92, 0, 1, vcc_lo
	v_add_co_ci_u32_e64 v88, null, 0, v88, vcc_lo
	v_lshrrev_b32_e32 v89, v92, v89
; %bb.2799:                             ;   in Loop: Header=BB4_2479 Depth=4
	s_andn2_saveexec_b32 s16, s16
; %bb.2800:                             ;   in Loop: Header=BB4_2479 Depth=4
	v_bfe_u32 v88, v89, 23, 1
; %bb.2801:                             ;   in Loop: Header=BB4_2479 Depth=4
	s_or_b32 exec_lo, exec_lo, s16
	v_lshrrev_b32_e32 v89, 20, v89
	v_cmp_gt_i32_e32 vcc_lo, 16, v88
	v_min_i32_e32 v92, 15, v88
	v_and_b32_sdwa v91, v91, v118 dst_sel:DWORD dst_unused:UNUSED_PAD src0_sel:BYTE_3 src1_sel:DWORD
	v_cndmask_b32_e32 v89, 7, v89, vcc_lo
	v_lshlrev_b32_e32 v92, 3, v92
	v_and_b32_e32 v93, 7, v89
	v_or_b32_e32 v88, v88, v89
	v_or3_b32 v89, v92, v91, v93
	v_cmp_ne_u32_e32 vcc_lo, 0, v88
	v_cndmask_b32_e32 v88, 0, v89, vcc_lo
.LBB4_2802:                             ;   in Loop: Header=BB4_2479 Depth=4
	s_or_b32 exec_lo, exec_lo, s74
.LBB4_2803:                             ;   in Loop: Header=BB4_2479 Depth=4
	s_or_b32 exec_lo, exec_lo, s73
	v_cmp_gt_i16_sdwa s73, v78, v117 src0_sel:BYTE_0 src1_sel:DWORD
	s_andn2_b32 vcc_lo, exec_lo, s63
	s_mov_b32 s16, -1
                                        ; implicit-def: $vgpr89
	s_cbranch_vccnz .LBB4_2817
; %bb.2804:                             ;   in Loop: Header=BB4_2479 Depth=4
	s_mov_b32 s16, 0
	s_and_saveexec_b32 s74, s73
	s_xor_b32 s73, exec_lo, s74
	s_cbranch_execz .LBB4_3125
; %bb.2805:                             ;   in Loop: Header=BB4_2479 Depth=4
	v_cmp_eq_u16_sdwa s75, v78, v118 src0_sel:BYTE_0 src1_sel:DWORD
	s_mov_b32 s16, -1
	s_and_saveexec_b32 s74, s75
; %bb.2806:                             ;   in Loop: Header=BB4_2479 Depth=4
	s_xor_b32 s16, exec_lo, -1
; %bb.2807:                             ;   in Loop: Header=BB4_2479 Depth=4
	s_or_b32 exec_lo, exec_lo, s74
	s_and_b32 s16, s16, exec_lo
	s_or_saveexec_b32 s73, s73
	v_mov_b32_e32 v89, 0x7f800001
	s_xor_b32 exec_lo, exec_lo, s73
	s_cbranch_execnz .LBB4_3126
.LBB4_2808:                             ;   in Loop: Header=BB4_2479 Depth=4
	s_or_b32 exec_lo, exec_lo, s73
	s_and_saveexec_b32 s73, s16
	s_cbranch_execz .LBB4_2810
.LBB4_2809:                             ;   in Loop: Header=BB4_2479 Depth=4
	v_and_b32_e32 v89, 7, v78
	v_lshrrev_b16 v92, 3, v78
	v_lshlrev_b32_e32 v94, 24, v78
	v_ffbh_u32_e32 v91, v89
	v_and_b32_e32 v92, 15, v92
	v_min_u32_e32 v91, 32, v91
	v_cmp_eq_u32_e32 vcc_lo, 0, v92
	v_subrev_nc_u32_e32 v93, 28, v91
	v_sub_nc_u32_e32 v91, 29, v91
	v_lshlrev_b32_e32 v93, v93, v78
	v_cndmask_b32_e32 v91, v92, v91, vcc_lo
	v_and_b32_e32 v92, 0x80000000, v94
	v_and_b32_e32 v93, 7, v93
	v_lshl_add_u32 v91, v91, 23, 0x3b800000
	v_cndmask_b32_e32 v89, v89, v93, vcc_lo
	v_lshlrev_b32_e32 v89, 20, v89
	v_or3_b32 v89, v92, v91, v89
.LBB4_2810:                             ;   in Loop: Header=BB4_2479 Depth=4
	s_or_b32 exec_lo, exec_lo, s73
	s_waitcnt vmcnt(6) lgkmcnt(6)
	v_cmp_gt_i16_sdwa s73, v77, v117 src0_sel:BYTE_0 src1_sel:DWORD
	s_mov_b32 s16, 0
	s_and_saveexec_b32 s74, s73
	s_xor_b32 s73, exec_lo, s74
	s_cbranch_execz .LBB4_3127
; %bb.2811:                             ;   in Loop: Header=BB4_2479 Depth=4
	v_cmp_eq_u16_sdwa s75, v77, v118 src0_sel:BYTE_0 src1_sel:DWORD
	s_mov_b32 s16, -1
	s_and_saveexec_b32 s74, s75
; %bb.2812:                             ;   in Loop: Header=BB4_2479 Depth=4
	s_xor_b32 s16, exec_lo, -1
; %bb.2813:                             ;   in Loop: Header=BB4_2479 Depth=4
	s_or_b32 exec_lo, exec_lo, s74
	s_and_b32 s16, s16, exec_lo
	s_or_saveexec_b32 s73, s73
	v_mov_b32_e32 v91, 0x7f800001
	s_xor_b32 exec_lo, exec_lo, s73
	s_cbranch_execnz .LBB4_3128
.LBB4_2814:                             ;   in Loop: Header=BB4_2479 Depth=4
	s_or_b32 exec_lo, exec_lo, s73
	s_and_saveexec_b32 s73, s16
	s_cbranch_execz .LBB4_2816
.LBB4_2815:                             ;   in Loop: Header=BB4_2479 Depth=4
	v_and_b32_e32 v91, 7, v77
	v_lshrrev_b16 v93, 3, v77
	v_lshlrev_b32_e32 v95, 24, v77
	v_ffbh_u32_e32 v92, v91
	v_and_b32_e32 v93, 15, v93
	v_min_u32_e32 v92, 32, v92
	v_cmp_eq_u32_e32 vcc_lo, 0, v93
	v_subrev_nc_u32_e32 v94, 28, v92
	v_sub_nc_u32_e32 v92, 29, v92
	v_lshlrev_b32_e32 v94, v94, v77
	v_cndmask_b32_e32 v92, v93, v92, vcc_lo
	v_and_b32_e32 v93, 0x80000000, v95
	v_and_b32_e32 v94, 7, v94
	v_lshl_add_u32 v92, v92, 23, 0x3b800000
	v_cndmask_b32_e32 v91, v91, v94, vcc_lo
	v_lshlrev_b32_e32 v91, 20, v91
	v_or3_b32 v91, v93, v92, v91
.LBB4_2816:                             ;   in Loop: Header=BB4_2479 Depth=4
	s_or_b32 exec_lo, exec_lo, s73
	v_max_f32_e32 v91, v91, v91
	v_max_f32_e32 v89, v89, v89
	s_mov_b32 s16, 0
	v_max_f32_e32 v89, v89, v91
.LBB4_2817:                             ;   in Loop: Header=BB4_2479 Depth=4
	s_and_b32 vcc_lo, exec_lo, s16
	s_cbranch_vccz .LBB4_2831
; %bb.2818:                             ;   in Loop: Header=BB4_2479 Depth=4
	v_cmp_gt_i16_sdwa s73, v78, v117 src0_sel:BYTE_0 src1_sel:DWORD
	s_mov_b32 s16, 0
	s_and_saveexec_b32 s74, s73
	s_xor_b32 s73, exec_lo, s74
	s_cbranch_execz .LBB4_3129
; %bb.2819:                             ;   in Loop: Header=BB4_2479 Depth=4
	v_cmp_eq_u16_sdwa s75, v78, v118 src0_sel:BYTE_0 src1_sel:DWORD
	s_mov_b32 s16, -1
	s_and_saveexec_b32 s74, s75
; %bb.2820:                             ;   in Loop: Header=BB4_2479 Depth=4
	s_xor_b32 s16, exec_lo, -1
; %bb.2821:                             ;   in Loop: Header=BB4_2479 Depth=4
	s_or_b32 exec_lo, exec_lo, s74
	s_and_b32 s16, s16, exec_lo
	s_or_saveexec_b32 s73, s73
	v_mov_b32_e32 v89, 0x7f800001
	s_xor_b32 exec_lo, exec_lo, s73
	s_cbranch_execnz .LBB4_3130
.LBB4_2822:                             ;   in Loop: Header=BB4_2479 Depth=4
	s_or_b32 exec_lo, exec_lo, s73
	s_and_saveexec_b32 s73, s16
	s_cbranch_execz .LBB4_2824
.LBB4_2823:                             ;   in Loop: Header=BB4_2479 Depth=4
	v_and_b32_e32 v89, 7, v78
	v_lshrrev_b16 v92, 3, v78
	v_ffbh_u32_e32 v91, v89
	v_and_b32_e32 v92, 15, v92
	v_min_u32_e32 v91, 32, v91
	v_cmp_eq_u32_e32 vcc_lo, 0, v92
	v_subrev_nc_u32_e32 v93, 28, v91
	v_sub_nc_u32_e32 v91, 29, v91
	v_lshlrev_b32_e32 v93, v93, v78
	v_lshlrev_b32_e32 v78, 24, v78
	v_cndmask_b32_e32 v91, v92, v91, vcc_lo
	v_and_b32_e32 v93, 7, v93
	v_and_b32_e32 v78, 0x80000000, v78
	v_lshl_add_u32 v91, v91, 23, 0x3b800000
	v_cndmask_b32_e32 v89, v89, v93, vcc_lo
	v_lshlrev_b32_e32 v89, 20, v89
	v_or3_b32 v89, v78, v91, v89
.LBB4_2824:                             ;   in Loop: Header=BB4_2479 Depth=4
	s_or_b32 exec_lo, exec_lo, s73
	s_waitcnt vmcnt(6) lgkmcnt(6)
	v_cmp_gt_i16_sdwa s73, v77, v117 src0_sel:BYTE_0 src1_sel:DWORD
	s_mov_b32 s16, 0
	s_and_saveexec_b32 s74, s73
	s_xor_b32 s73, exec_lo, s74
	s_cbranch_execz .LBB4_3131
; %bb.2825:                             ;   in Loop: Header=BB4_2479 Depth=4
	v_cmp_eq_u16_sdwa s75, v77, v118 src0_sel:BYTE_0 src1_sel:DWORD
	s_mov_b32 s16, -1
	s_and_saveexec_b32 s74, s75
; %bb.2826:                             ;   in Loop: Header=BB4_2479 Depth=4
	s_xor_b32 s16, exec_lo, -1
; %bb.2827:                             ;   in Loop: Header=BB4_2479 Depth=4
	s_or_b32 exec_lo, exec_lo, s74
	s_and_b32 s16, s16, exec_lo
	s_or_saveexec_b32 s73, s73
	v_mov_b32_e32 v78, 0x7f800001
	s_xor_b32 exec_lo, exec_lo, s73
	s_cbranch_execnz .LBB4_3132
.LBB4_2828:                             ;   in Loop: Header=BB4_2479 Depth=4
	s_or_b32 exec_lo, exec_lo, s73
	s_and_saveexec_b32 s73, s16
	s_cbranch_execz .LBB4_2830
.LBB4_2829:                             ;   in Loop: Header=BB4_2479 Depth=4
	v_and_b32_e32 v78, 7, v77
	v_lshrrev_b16 v92, 3, v77
	v_ffbh_u32_e32 v91, v78
	v_and_b32_e32 v92, 15, v92
	v_min_u32_e32 v91, 32, v91
	v_cmp_eq_u32_e32 vcc_lo, 0, v92
	v_subrev_nc_u32_e32 v93, 28, v91
	v_sub_nc_u32_e32 v91, 29, v91
	v_lshlrev_b32_e32 v93, v93, v77
	v_lshlrev_b32_e32 v77, 24, v77
	v_cndmask_b32_e32 v91, v92, v91, vcc_lo
	v_and_b32_e32 v93, 7, v93
	v_and_b32_e32 v77, 0x80000000, v77
	v_lshl_add_u32 v91, v91, 23, 0x3b800000
	v_cndmask_b32_e32 v78, v78, v93, vcc_lo
	v_lshlrev_b32_e32 v78, 20, v78
	v_or3_b32 v78, v77, v91, v78
.LBB4_2830:                             ;   in Loop: Header=BB4_2479 Depth=4
	s_or_b32 exec_lo, exec_lo, s73
	v_max_f32_e32 v77, v78, v78
	v_max_f32_e32 v78, v89, v89
	v_min_f32_e32 v89, v78, v77
.LBB4_2831:                             ;   in Loop: Header=BB4_2479 Depth=4
	s_waitcnt vmcnt(6) lgkmcnt(6)
	v_and_b32_e32 v77, 0x7f800000, v89
	v_cmp_ne_u32_e32 vcc_lo, 0x7f800000, v77
	v_mov_b32_e32 v77, 0x80
	s_and_saveexec_b32 s73, vcc_lo
	s_cbranch_execz .LBB4_2839
; %bb.2832:                             ;   in Loop: Header=BB4_2479 Depth=4
	v_mov_b32_e32 v77, 0
	s_mov_b32 s74, exec_lo
	v_cmpx_ne_u32_e32 0, v89
	s_cbranch_execz .LBB4_2838
; %bb.2833:                             ;   in Loop: Header=BB4_2479 Depth=4
	v_bfe_u32 v77, v89, 23, 8
	v_and_b32_e32 v78, 0x7fffff, v89
	v_sub_nc_u32_e32 v91, 0x78, v77
	v_cmp_gt_u32_e32 vcc_lo, 0x79, v77
	v_or_b32_e32 v92, 0x800000, v78
	v_cndmask_b32_e32 v91, 0, v91, vcc_lo
	v_cmp_eq_u32_e32 vcc_lo, 0, v77
	v_add_nc_u32_e32 v77, 0xffffff89, v77
	v_cndmask_b32_e64 v91, v91, 0x77, vcc_lo
	v_cndmask_b32_e32 v78, v92, v78, vcc_lo
	v_cndmask_b32_e64 v77, v77, 0xffffff8a, vcc_lo
	v_lshl_add_u32 v92, 0x100000, v91, -1
	v_lshrrev_b32_e32 v93, v91, v78
	v_lshlrev_b32_e64 v95, v91, 0x80000
	v_add_nc_u32_e32 v91, v91, v77
	v_and_b32_e32 v78, v92, v78
	v_bfe_u32 v94, v93, 20, 1
	v_cmp_eq_u32_e64 s16, v78, v95
	v_add_nc_u32_e32 v92, -1, v94
	v_cndmask_b32_e64 v78, 0, v92, s16
	v_lshrrev_b32_e32 v92, 23, v93
	s_mov_b32 s16, exec_lo
	v_add_nc_u32_e32 v78, v78, v93
	v_xor_b32_e32 v92, 1, v92
	v_and_b32_e32 v77, 0xfffff, v78
	v_add_nc_u32_e32 v78, v77, v93
                                        ; implicit-def: $vgpr77
	v_cmpx_ne_u32_e64 v91, v92
	s_xor_b32 s16, exec_lo, s16
; %bb.2834:                             ;   in Loop: Header=BB4_2479 Depth=4
	v_cmp_lt_u32_e32 vcc_lo, 0xffffff, v78
	v_sub_nc_u32_e32 v77, v91, v92
	v_cndmask_b32_e64 v91, 0, 1, vcc_lo
	v_add_co_ci_u32_e64 v77, null, 0, v77, vcc_lo
	v_lshrrev_b32_e32 v78, v91, v78
; %bb.2835:                             ;   in Loop: Header=BB4_2479 Depth=4
	s_andn2_saveexec_b32 s16, s16
; %bb.2836:                             ;   in Loop: Header=BB4_2479 Depth=4
	v_bfe_u32 v77, v78, 23, 1
; %bb.2837:                             ;   in Loop: Header=BB4_2479 Depth=4
	s_or_b32 exec_lo, exec_lo, s16
	v_lshrrev_b32_e32 v78, 20, v78
	v_cmp_gt_i32_e32 vcc_lo, 16, v77
	v_min_i32_e32 v91, 15, v77
	v_and_b32_sdwa v89, v89, v118 dst_sel:DWORD dst_unused:UNUSED_PAD src0_sel:BYTE_3 src1_sel:DWORD
	v_cndmask_b32_e32 v78, 7, v78, vcc_lo
	v_lshlrev_b32_e32 v91, 3, v91
	v_and_b32_e32 v92, 7, v78
	v_or_b32_e32 v77, v77, v78
	v_or3_b32 v78, v91, v89, v92
	v_cmp_ne_u32_e32 vcc_lo, 0, v77
	v_cndmask_b32_e32 v77, 0, v78, vcc_lo
.LBB4_2838:                             ;   in Loop: Header=BB4_2479 Depth=4
	s_or_b32 exec_lo, exec_lo, s74
.LBB4_2839:                             ;   in Loop: Header=BB4_2479 Depth=4
	s_or_b32 exec_lo, exec_lo, s73
	v_cmp_gt_i16_sdwa s73, v75, v117 src0_sel:BYTE_0 src1_sel:DWORD
	s_andn2_b32 vcc_lo, exec_lo, s63
	s_mov_b32 s16, -1
                                        ; implicit-def: $vgpr78
	s_cbranch_vccnz .LBB4_2853
; %bb.2840:                             ;   in Loop: Header=BB4_2479 Depth=4
	s_mov_b32 s16, 0
	s_and_saveexec_b32 s74, s73
	s_xor_b32 s73, exec_lo, s74
	s_cbranch_execz .LBB4_3133
; %bb.2841:                             ;   in Loop: Header=BB4_2479 Depth=4
	v_cmp_eq_u16_sdwa s75, v75, v118 src0_sel:BYTE_0 src1_sel:DWORD
	s_mov_b32 s16, -1
	s_and_saveexec_b32 s74, s75
; %bb.2842:                             ;   in Loop: Header=BB4_2479 Depth=4
	s_xor_b32 s16, exec_lo, -1
; %bb.2843:                             ;   in Loop: Header=BB4_2479 Depth=4
	s_or_b32 exec_lo, exec_lo, s74
	s_and_b32 s16, s16, exec_lo
	s_or_saveexec_b32 s73, s73
	v_mov_b32_e32 v78, 0x7f800001
	s_xor_b32 exec_lo, exec_lo, s73
	s_cbranch_execnz .LBB4_3134
.LBB4_2844:                             ;   in Loop: Header=BB4_2479 Depth=4
	s_or_b32 exec_lo, exec_lo, s73
	s_and_saveexec_b32 s73, s16
	s_cbranch_execz .LBB4_2846
.LBB4_2845:                             ;   in Loop: Header=BB4_2479 Depth=4
	v_and_b32_e32 v78, 7, v75
	v_lshrrev_b16 v91, 3, v75
	v_lshlrev_b32_e32 v93, 24, v75
	v_ffbh_u32_e32 v89, v78
	v_and_b32_e32 v91, 15, v91
	v_min_u32_e32 v89, 32, v89
	v_cmp_eq_u32_e32 vcc_lo, 0, v91
	v_subrev_nc_u32_e32 v92, 28, v89
	v_sub_nc_u32_e32 v89, 29, v89
	v_lshlrev_b32_e32 v92, v92, v75
	v_cndmask_b32_e32 v89, v91, v89, vcc_lo
	v_and_b32_e32 v91, 0x80000000, v93
	v_and_b32_e32 v92, 7, v92
	v_lshl_add_u32 v89, v89, 23, 0x3b800000
	v_cndmask_b32_e32 v78, v78, v92, vcc_lo
	v_lshlrev_b32_e32 v78, 20, v78
	v_or3_b32 v78, v91, v89, v78
.LBB4_2846:                             ;   in Loop: Header=BB4_2479 Depth=4
	s_or_b32 exec_lo, exec_lo, s73
	s_waitcnt vmcnt(5) lgkmcnt(5)
	v_cmp_gt_i16_sdwa s73, v74, v117 src0_sel:BYTE_0 src1_sel:DWORD
	s_mov_b32 s16, 0
	s_and_saveexec_b32 s74, s73
	s_xor_b32 s73, exec_lo, s74
	s_cbranch_execz .LBB4_3135
; %bb.2847:                             ;   in Loop: Header=BB4_2479 Depth=4
	v_cmp_eq_u16_sdwa s75, v74, v118 src0_sel:BYTE_0 src1_sel:DWORD
	s_mov_b32 s16, -1
	s_and_saveexec_b32 s74, s75
; %bb.2848:                             ;   in Loop: Header=BB4_2479 Depth=4
	s_xor_b32 s16, exec_lo, -1
; %bb.2849:                             ;   in Loop: Header=BB4_2479 Depth=4
	s_or_b32 exec_lo, exec_lo, s74
	s_and_b32 s16, s16, exec_lo
	s_or_saveexec_b32 s73, s73
	v_mov_b32_e32 v89, 0x7f800001
	s_xor_b32 exec_lo, exec_lo, s73
	s_cbranch_execnz .LBB4_3136
.LBB4_2850:                             ;   in Loop: Header=BB4_2479 Depth=4
	s_or_b32 exec_lo, exec_lo, s73
	s_and_saveexec_b32 s73, s16
	s_cbranch_execz .LBB4_2852
.LBB4_2851:                             ;   in Loop: Header=BB4_2479 Depth=4
	v_and_b32_e32 v89, 7, v74
	v_lshrrev_b16 v92, 3, v74
	v_lshlrev_b32_e32 v94, 24, v74
	v_ffbh_u32_e32 v91, v89
	v_and_b32_e32 v92, 15, v92
	v_min_u32_e32 v91, 32, v91
	v_cmp_eq_u32_e32 vcc_lo, 0, v92
	v_subrev_nc_u32_e32 v93, 28, v91
	v_sub_nc_u32_e32 v91, 29, v91
	v_lshlrev_b32_e32 v93, v93, v74
	v_cndmask_b32_e32 v91, v92, v91, vcc_lo
	v_and_b32_e32 v92, 0x80000000, v94
	v_and_b32_e32 v93, 7, v93
	v_lshl_add_u32 v91, v91, 23, 0x3b800000
	v_cndmask_b32_e32 v89, v89, v93, vcc_lo
	v_lshlrev_b32_e32 v89, 20, v89
	v_or3_b32 v89, v92, v91, v89
.LBB4_2852:                             ;   in Loop: Header=BB4_2479 Depth=4
	s_or_b32 exec_lo, exec_lo, s73
	v_max_f32_e32 v89, v89, v89
	v_max_f32_e32 v78, v78, v78
	s_mov_b32 s16, 0
	v_max_f32_e32 v78, v78, v89
.LBB4_2853:                             ;   in Loop: Header=BB4_2479 Depth=4
	s_and_b32 vcc_lo, exec_lo, s16
	s_cbranch_vccz .LBB4_2867
; %bb.2854:                             ;   in Loop: Header=BB4_2479 Depth=4
	v_cmp_gt_i16_sdwa s73, v75, v117 src0_sel:BYTE_0 src1_sel:DWORD
	s_mov_b32 s16, 0
	s_and_saveexec_b32 s74, s73
	s_xor_b32 s73, exec_lo, s74
	s_cbranch_execz .LBB4_3137
; %bb.2855:                             ;   in Loop: Header=BB4_2479 Depth=4
	v_cmp_eq_u16_sdwa s75, v75, v118 src0_sel:BYTE_0 src1_sel:DWORD
	s_mov_b32 s16, -1
	s_and_saveexec_b32 s74, s75
; %bb.2856:                             ;   in Loop: Header=BB4_2479 Depth=4
	s_xor_b32 s16, exec_lo, -1
; %bb.2857:                             ;   in Loop: Header=BB4_2479 Depth=4
	s_or_b32 exec_lo, exec_lo, s74
	s_and_b32 s16, s16, exec_lo
	s_or_saveexec_b32 s73, s73
	v_mov_b32_e32 v78, 0x7f800001
	s_xor_b32 exec_lo, exec_lo, s73
	s_cbranch_execnz .LBB4_3138
.LBB4_2858:                             ;   in Loop: Header=BB4_2479 Depth=4
	s_or_b32 exec_lo, exec_lo, s73
	s_and_saveexec_b32 s73, s16
	s_cbranch_execz .LBB4_2860
.LBB4_2859:                             ;   in Loop: Header=BB4_2479 Depth=4
	v_and_b32_e32 v78, 7, v75
	v_lshrrev_b16 v91, 3, v75
	v_ffbh_u32_e32 v89, v78
	v_and_b32_e32 v91, 15, v91
	v_min_u32_e32 v89, 32, v89
	v_cmp_eq_u32_e32 vcc_lo, 0, v91
	v_subrev_nc_u32_e32 v92, 28, v89
	v_sub_nc_u32_e32 v89, 29, v89
	v_lshlrev_b32_e32 v92, v92, v75
	v_lshlrev_b32_e32 v75, 24, v75
	v_cndmask_b32_e32 v89, v91, v89, vcc_lo
	v_and_b32_e32 v92, 7, v92
	v_and_b32_e32 v75, 0x80000000, v75
	v_lshl_add_u32 v89, v89, 23, 0x3b800000
	v_cndmask_b32_e32 v78, v78, v92, vcc_lo
	v_lshlrev_b32_e32 v78, 20, v78
	v_or3_b32 v78, v75, v89, v78
.LBB4_2860:                             ;   in Loop: Header=BB4_2479 Depth=4
	s_or_b32 exec_lo, exec_lo, s73
	s_waitcnt vmcnt(5) lgkmcnt(5)
	v_cmp_gt_i16_sdwa s73, v74, v117 src0_sel:BYTE_0 src1_sel:DWORD
	s_mov_b32 s16, 0
	s_and_saveexec_b32 s74, s73
	s_xor_b32 s73, exec_lo, s74
	s_cbranch_execz .LBB4_3139
; %bb.2861:                             ;   in Loop: Header=BB4_2479 Depth=4
	v_cmp_eq_u16_sdwa s75, v74, v118 src0_sel:BYTE_0 src1_sel:DWORD
	s_mov_b32 s16, -1
	s_and_saveexec_b32 s74, s75
; %bb.2862:                             ;   in Loop: Header=BB4_2479 Depth=4
	s_xor_b32 s16, exec_lo, -1
; %bb.2863:                             ;   in Loop: Header=BB4_2479 Depth=4
	s_or_b32 exec_lo, exec_lo, s74
	s_and_b32 s16, s16, exec_lo
	s_or_saveexec_b32 s73, s73
	v_mov_b32_e32 v75, 0x7f800001
	s_xor_b32 exec_lo, exec_lo, s73
	s_cbranch_execnz .LBB4_3140
.LBB4_2864:                             ;   in Loop: Header=BB4_2479 Depth=4
	s_or_b32 exec_lo, exec_lo, s73
	s_and_saveexec_b32 s73, s16
	s_cbranch_execz .LBB4_2866
.LBB4_2865:                             ;   in Loop: Header=BB4_2479 Depth=4
	v_and_b32_e32 v75, 7, v74
	v_lshrrev_b16 v91, 3, v74
	v_ffbh_u32_e32 v89, v75
	v_and_b32_e32 v91, 15, v91
	v_min_u32_e32 v89, 32, v89
	v_cmp_eq_u32_e32 vcc_lo, 0, v91
	v_subrev_nc_u32_e32 v92, 28, v89
	v_sub_nc_u32_e32 v89, 29, v89
	v_lshlrev_b32_e32 v92, v92, v74
	v_lshlrev_b32_e32 v74, 24, v74
	v_cndmask_b32_e32 v89, v91, v89, vcc_lo
	v_and_b32_e32 v92, 7, v92
	v_and_b32_e32 v74, 0x80000000, v74
	v_lshl_add_u32 v89, v89, 23, 0x3b800000
	v_cndmask_b32_e32 v75, v75, v92, vcc_lo
	v_lshlrev_b32_e32 v75, 20, v75
	v_or3_b32 v75, v74, v89, v75
.LBB4_2866:                             ;   in Loop: Header=BB4_2479 Depth=4
	s_or_b32 exec_lo, exec_lo, s73
	v_max_f32_e32 v74, v75, v75
	v_max_f32_e32 v75, v78, v78
	v_min_f32_e32 v78, v75, v74
.LBB4_2867:                             ;   in Loop: Header=BB4_2479 Depth=4
	s_waitcnt vmcnt(5) lgkmcnt(5)
	v_and_b32_e32 v74, 0x7f800000, v78
	v_cmp_ne_u32_e32 vcc_lo, 0x7f800000, v74
	v_mov_b32_e32 v74, 0x80
	s_and_saveexec_b32 s73, vcc_lo
	s_cbranch_execz .LBB4_2875
; %bb.2868:                             ;   in Loop: Header=BB4_2479 Depth=4
	v_mov_b32_e32 v74, 0
	s_mov_b32 s74, exec_lo
	v_cmpx_ne_u32_e32 0, v78
	s_cbranch_execz .LBB4_2874
; %bb.2869:                             ;   in Loop: Header=BB4_2479 Depth=4
	v_bfe_u32 v74, v78, 23, 8
	v_and_b32_e32 v75, 0x7fffff, v78
	v_sub_nc_u32_e32 v89, 0x78, v74
	v_cmp_gt_u32_e32 vcc_lo, 0x79, v74
	v_or_b32_e32 v91, 0x800000, v75
	v_cndmask_b32_e32 v89, 0, v89, vcc_lo
	v_cmp_eq_u32_e32 vcc_lo, 0, v74
	v_add_nc_u32_e32 v74, 0xffffff89, v74
	v_cndmask_b32_e64 v89, v89, 0x77, vcc_lo
	v_cndmask_b32_e32 v75, v91, v75, vcc_lo
	v_cndmask_b32_e64 v74, v74, 0xffffff8a, vcc_lo
	v_lshl_add_u32 v91, 0x100000, v89, -1
	v_lshrrev_b32_e32 v92, v89, v75
	v_lshlrev_b32_e64 v94, v89, 0x80000
	v_add_nc_u32_e32 v89, v89, v74
	v_and_b32_e32 v75, v91, v75
	v_bfe_u32 v93, v92, 20, 1
	v_cmp_eq_u32_e64 s16, v75, v94
	v_add_nc_u32_e32 v91, -1, v93
	v_cndmask_b32_e64 v75, 0, v91, s16
	v_lshrrev_b32_e32 v91, 23, v92
	s_mov_b32 s16, exec_lo
	v_add_nc_u32_e32 v75, v75, v92
	v_xor_b32_e32 v91, 1, v91
	v_and_b32_e32 v74, 0xfffff, v75
	v_add_nc_u32_e32 v75, v74, v92
                                        ; implicit-def: $vgpr74
	v_cmpx_ne_u32_e64 v89, v91
	s_xor_b32 s16, exec_lo, s16
; %bb.2870:                             ;   in Loop: Header=BB4_2479 Depth=4
	v_cmp_lt_u32_e32 vcc_lo, 0xffffff, v75
	v_sub_nc_u32_e32 v74, v89, v91
	v_cndmask_b32_e64 v89, 0, 1, vcc_lo
	v_add_co_ci_u32_e64 v74, null, 0, v74, vcc_lo
	v_lshrrev_b32_e32 v75, v89, v75
; %bb.2871:                             ;   in Loop: Header=BB4_2479 Depth=4
	s_andn2_saveexec_b32 s16, s16
; %bb.2872:                             ;   in Loop: Header=BB4_2479 Depth=4
	v_bfe_u32 v74, v75, 23, 1
; %bb.2873:                             ;   in Loop: Header=BB4_2479 Depth=4
	s_or_b32 exec_lo, exec_lo, s16
	v_lshrrev_b32_e32 v75, 20, v75
	v_cmp_gt_i32_e32 vcc_lo, 16, v74
	v_min_i32_e32 v89, 15, v74
	v_and_b32_sdwa v78, v78, v118 dst_sel:DWORD dst_unused:UNUSED_PAD src0_sel:BYTE_3 src1_sel:DWORD
	v_cndmask_b32_e32 v75, 7, v75, vcc_lo
	v_lshlrev_b32_e32 v89, 3, v89
	v_and_b32_e32 v91, 7, v75
	v_or_b32_e32 v74, v74, v75
	v_or3_b32 v75, v89, v78, v91
	v_cmp_ne_u32_e32 vcc_lo, 0, v74
	v_cndmask_b32_e32 v74, 0, v75, vcc_lo
.LBB4_2874:                             ;   in Loop: Header=BB4_2479 Depth=4
	s_or_b32 exec_lo, exec_lo, s74
.LBB4_2875:                             ;   in Loop: Header=BB4_2479 Depth=4
	s_or_b32 exec_lo, exec_lo, s73
	v_cmp_gt_i16_sdwa s73, v96, v117 src0_sel:BYTE_0 src1_sel:DWORD
	s_andn2_b32 vcc_lo, exec_lo, s63
	s_mov_b32 s16, -1
                                        ; implicit-def: $vgpr75
	s_cbranch_vccnz .LBB4_2889
; %bb.2876:                             ;   in Loop: Header=BB4_2479 Depth=4
	s_mov_b32 s16, 0
	s_and_saveexec_b32 s74, s73
	s_xor_b32 s73, exec_lo, s74
	s_cbranch_execz .LBB4_3141
; %bb.2877:                             ;   in Loop: Header=BB4_2479 Depth=4
	v_cmp_eq_u16_sdwa s75, v96, v118 src0_sel:BYTE_0 src1_sel:DWORD
	s_mov_b32 s16, -1
	s_and_saveexec_b32 s74, s75
; %bb.2878:                             ;   in Loop: Header=BB4_2479 Depth=4
	s_xor_b32 s16, exec_lo, -1
; %bb.2879:                             ;   in Loop: Header=BB4_2479 Depth=4
	s_or_b32 exec_lo, exec_lo, s74
	s_and_b32 s16, s16, exec_lo
	s_or_saveexec_b32 s73, s73
	v_mov_b32_e32 v75, 0x7f800001
	s_xor_b32 exec_lo, exec_lo, s73
	s_cbranch_execnz .LBB4_3142
.LBB4_2880:                             ;   in Loop: Header=BB4_2479 Depth=4
	s_or_b32 exec_lo, exec_lo, s73
	s_and_saveexec_b32 s73, s16
	s_cbranch_execz .LBB4_2882
.LBB4_2881:                             ;   in Loop: Header=BB4_2479 Depth=4
	v_and_b32_e32 v75, 7, v96
	v_lshrrev_b16 v89, 3, v96
	v_lshlrev_b32_e32 v92, 24, v96
	v_ffbh_u32_e32 v78, v75
	v_and_b32_e32 v89, 15, v89
	v_min_u32_e32 v78, 32, v78
	v_cmp_eq_u32_e32 vcc_lo, 0, v89
	v_subrev_nc_u32_e32 v91, 28, v78
	v_sub_nc_u32_e32 v78, 29, v78
	v_lshlrev_b32_e32 v91, v91, v96
	v_cndmask_b32_e32 v78, v89, v78, vcc_lo
	v_and_b32_e32 v89, 0x80000000, v92
	v_and_b32_e32 v91, 7, v91
	v_lshl_add_u32 v78, v78, 23, 0x3b800000
	v_cndmask_b32_e32 v75, v75, v91, vcc_lo
	v_lshlrev_b32_e32 v75, 20, v75
	v_or3_b32 v75, v89, v78, v75
.LBB4_2882:                             ;   in Loop: Header=BB4_2479 Depth=4
	s_or_b32 exec_lo, exec_lo, s73
	s_waitcnt vmcnt(4) lgkmcnt(4)
	v_cmp_gt_i16_sdwa s73, v87, v117 src0_sel:BYTE_0 src1_sel:DWORD
	s_mov_b32 s16, 0
	s_and_saveexec_b32 s74, s73
	s_xor_b32 s73, exec_lo, s74
	s_cbranch_execz .LBB4_3143
; %bb.2883:                             ;   in Loop: Header=BB4_2479 Depth=4
	v_cmp_eq_u16_sdwa s75, v87, v118 src0_sel:BYTE_0 src1_sel:DWORD
	s_mov_b32 s16, -1
	s_and_saveexec_b32 s74, s75
; %bb.2884:                             ;   in Loop: Header=BB4_2479 Depth=4
	s_xor_b32 s16, exec_lo, -1
; %bb.2885:                             ;   in Loop: Header=BB4_2479 Depth=4
	s_or_b32 exec_lo, exec_lo, s74
	s_and_b32 s16, s16, exec_lo
	s_or_saveexec_b32 s73, s73
	v_mov_b32_e32 v78, 0x7f800001
	s_xor_b32 exec_lo, exec_lo, s73
	s_cbranch_execnz .LBB4_3144
.LBB4_2886:                             ;   in Loop: Header=BB4_2479 Depth=4
	s_or_b32 exec_lo, exec_lo, s73
	s_and_saveexec_b32 s73, s16
	s_cbranch_execz .LBB4_2888
.LBB4_2887:                             ;   in Loop: Header=BB4_2479 Depth=4
	v_and_b32_e32 v78, 7, v87
	v_lshrrev_b16 v91, 3, v87
	v_lshlrev_b32_e32 v93, 24, v87
	v_ffbh_u32_e32 v89, v78
	v_and_b32_e32 v91, 15, v91
	v_min_u32_e32 v89, 32, v89
	v_cmp_eq_u32_e32 vcc_lo, 0, v91
	v_subrev_nc_u32_e32 v92, 28, v89
	v_sub_nc_u32_e32 v89, 29, v89
	v_lshlrev_b32_e32 v92, v92, v87
	v_cndmask_b32_e32 v89, v91, v89, vcc_lo
	v_and_b32_e32 v91, 0x80000000, v93
	v_and_b32_e32 v92, 7, v92
	v_lshl_add_u32 v89, v89, 23, 0x3b800000
	v_cndmask_b32_e32 v78, v78, v92, vcc_lo
	v_lshlrev_b32_e32 v78, 20, v78
	v_or3_b32 v78, v91, v89, v78
.LBB4_2888:                             ;   in Loop: Header=BB4_2479 Depth=4
	s_or_b32 exec_lo, exec_lo, s73
	v_max_f32_e32 v78, v78, v78
	v_max_f32_e32 v75, v75, v75
	s_mov_b32 s16, 0
	v_max_f32_e32 v75, v75, v78
.LBB4_2889:                             ;   in Loop: Header=BB4_2479 Depth=4
	s_and_b32 vcc_lo, exec_lo, s16
	s_cbranch_vccz .LBB4_2903
; %bb.2890:                             ;   in Loop: Header=BB4_2479 Depth=4
	v_cmp_gt_i16_sdwa s73, v96, v117 src0_sel:BYTE_0 src1_sel:DWORD
	s_mov_b32 s16, 0
	s_and_saveexec_b32 s74, s73
	s_xor_b32 s73, exec_lo, s74
	s_cbranch_execz .LBB4_3145
; %bb.2891:                             ;   in Loop: Header=BB4_2479 Depth=4
	v_cmp_eq_u16_sdwa s75, v96, v118 src0_sel:BYTE_0 src1_sel:DWORD
	s_mov_b32 s16, -1
	s_and_saveexec_b32 s74, s75
; %bb.2892:                             ;   in Loop: Header=BB4_2479 Depth=4
	s_xor_b32 s16, exec_lo, -1
; %bb.2893:                             ;   in Loop: Header=BB4_2479 Depth=4
	s_or_b32 exec_lo, exec_lo, s74
	s_and_b32 s16, s16, exec_lo
	s_or_saveexec_b32 s73, s73
	v_mov_b32_e32 v75, 0x7f800001
	s_xor_b32 exec_lo, exec_lo, s73
	s_cbranch_execnz .LBB4_3146
.LBB4_2894:                             ;   in Loop: Header=BB4_2479 Depth=4
	s_or_b32 exec_lo, exec_lo, s73
	s_and_saveexec_b32 s73, s16
	s_cbranch_execz .LBB4_2896
.LBB4_2895:                             ;   in Loop: Header=BB4_2479 Depth=4
	v_and_b32_e32 v75, 7, v96
	v_lshrrev_b16 v89, 3, v96
	v_ffbh_u32_e32 v78, v75
	v_and_b32_e32 v89, 15, v89
	v_min_u32_e32 v78, 32, v78
	v_cmp_eq_u32_e32 vcc_lo, 0, v89
	v_subrev_nc_u32_e32 v91, 28, v78
	v_sub_nc_u32_e32 v78, 29, v78
	v_lshlrev_b32_e32 v91, v91, v96
	v_lshlrev_b32_e32 v96, 24, v96
	v_cndmask_b32_e32 v78, v89, v78, vcc_lo
	v_and_b32_e32 v91, 7, v91
	v_and_b32_e32 v96, 0x80000000, v96
	v_lshl_add_u32 v78, v78, 23, 0x3b800000
	v_cndmask_b32_e32 v75, v75, v91, vcc_lo
	v_lshlrev_b32_e32 v75, 20, v75
	v_or3_b32 v75, v96, v78, v75
.LBB4_2896:                             ;   in Loop: Header=BB4_2479 Depth=4
	s_or_b32 exec_lo, exec_lo, s73
	s_waitcnt vmcnt(4) lgkmcnt(4)
	v_cmp_gt_i16_sdwa s73, v87, v117 src0_sel:BYTE_0 src1_sel:DWORD
	s_mov_b32 s16, 0
	s_and_saveexec_b32 s74, s73
	s_xor_b32 s73, exec_lo, s74
	s_cbranch_execz .LBB4_3147
; %bb.2897:                             ;   in Loop: Header=BB4_2479 Depth=4
	v_cmp_eq_u16_sdwa s75, v87, v118 src0_sel:BYTE_0 src1_sel:DWORD
	s_mov_b32 s16, -1
	s_and_saveexec_b32 s74, s75
; %bb.2898:                             ;   in Loop: Header=BB4_2479 Depth=4
	s_xor_b32 s16, exec_lo, -1
; %bb.2899:                             ;   in Loop: Header=BB4_2479 Depth=4
	s_or_b32 exec_lo, exec_lo, s74
	s_and_b32 s16, s16, exec_lo
	s_or_saveexec_b32 s73, s73
	v_mov_b32_e32 v96, 0x7f800001
	s_xor_b32 exec_lo, exec_lo, s73
	s_cbranch_execnz .LBB4_3148
.LBB4_2900:                             ;   in Loop: Header=BB4_2479 Depth=4
	s_or_b32 exec_lo, exec_lo, s73
	s_and_saveexec_b32 s73, s16
	s_cbranch_execz .LBB4_2902
.LBB4_2901:                             ;   in Loop: Header=BB4_2479 Depth=4
	v_and_b32_e32 v96, 7, v87
	v_lshrrev_b16 v89, 3, v87
	v_ffbh_u32_e32 v78, v96
	v_and_b32_e32 v89, 15, v89
	v_min_u32_e32 v78, 32, v78
	v_cmp_eq_u32_e32 vcc_lo, 0, v89
	v_subrev_nc_u32_e32 v91, 28, v78
	v_sub_nc_u32_e32 v78, 29, v78
	v_lshlrev_b32_e32 v91, v91, v87
	v_lshlrev_b32_e32 v87, 24, v87
	v_cndmask_b32_e32 v78, v89, v78, vcc_lo
	v_and_b32_e32 v91, 7, v91
	v_and_b32_e32 v87, 0x80000000, v87
	v_lshl_add_u32 v78, v78, 23, 0x3b800000
	v_cndmask_b32_e32 v96, v96, v91, vcc_lo
	v_lshlrev_b32_e32 v96, 20, v96
	v_or3_b32 v96, v87, v78, v96
.LBB4_2902:                             ;   in Loop: Header=BB4_2479 Depth=4
	s_or_b32 exec_lo, exec_lo, s73
	v_max_f32_e32 v87, v96, v96
	v_max_f32_e32 v96, v75, v75
	v_min_f32_e32 v75, v96, v87
.LBB4_2903:                             ;   in Loop: Header=BB4_2479 Depth=4
	s_waitcnt vmcnt(4) lgkmcnt(4)
	v_and_b32_e32 v87, 0x7f800000, v75
	v_cmp_ne_u32_e32 vcc_lo, 0x7f800000, v87
	v_mov_b32_e32 v87, 0x80
	s_and_saveexec_b32 s73, vcc_lo
	s_cbranch_execz .LBB4_2911
; %bb.2904:                             ;   in Loop: Header=BB4_2479 Depth=4
	v_mov_b32_e32 v87, 0
	s_mov_b32 s74, exec_lo
	v_cmpx_ne_u32_e32 0, v75
	s_cbranch_execz .LBB4_2910
; %bb.2905:                             ;   in Loop: Header=BB4_2479 Depth=4
	v_bfe_u32 v87, v75, 23, 8
	v_and_b32_e32 v96, 0x7fffff, v75
	v_sub_nc_u32_e32 v78, 0x78, v87
	v_cmp_gt_u32_e32 vcc_lo, 0x79, v87
	v_or_b32_e32 v89, 0x800000, v96
	v_cndmask_b32_e32 v78, 0, v78, vcc_lo
	v_cmp_eq_u32_e32 vcc_lo, 0, v87
	v_add_nc_u32_e32 v87, 0xffffff89, v87
	v_cndmask_b32_e64 v78, v78, 0x77, vcc_lo
	v_cndmask_b32_e32 v96, v89, v96, vcc_lo
	v_cndmask_b32_e64 v87, v87, 0xffffff8a, vcc_lo
	v_lshl_add_u32 v89, 0x100000, v78, -1
	v_lshrrev_b32_e32 v91, v78, v96
	v_lshlrev_b32_e64 v93, v78, 0x80000
	v_add_nc_u32_e32 v78, v78, v87
	v_and_b32_e32 v96, v89, v96
	v_bfe_u32 v92, v91, 20, 1
	v_cmp_eq_u32_e64 s16, v96, v93
	v_add_nc_u32_e32 v89, -1, v92
	v_cndmask_b32_e64 v96, 0, v89, s16
	v_lshrrev_b32_e32 v89, 23, v91
	s_mov_b32 s16, exec_lo
	v_add_nc_u32_e32 v96, v96, v91
	v_xor_b32_e32 v89, 1, v89
	v_and_b32_e32 v87, 0xfffff, v96
	v_add_nc_u32_e32 v96, v87, v91
                                        ; implicit-def: $vgpr87
	v_cmpx_ne_u32_e64 v78, v89
	s_xor_b32 s16, exec_lo, s16
; %bb.2906:                             ;   in Loop: Header=BB4_2479 Depth=4
	v_cmp_lt_u32_e32 vcc_lo, 0xffffff, v96
	v_sub_nc_u32_e32 v87, v78, v89
	v_cndmask_b32_e64 v78, 0, 1, vcc_lo
	v_add_co_ci_u32_e64 v87, null, 0, v87, vcc_lo
	v_lshrrev_b32_e32 v96, v78, v96
; %bb.2907:                             ;   in Loop: Header=BB4_2479 Depth=4
	s_andn2_saveexec_b32 s16, s16
; %bb.2908:                             ;   in Loop: Header=BB4_2479 Depth=4
	v_bfe_u32 v87, v96, 23, 1
; %bb.2909:                             ;   in Loop: Header=BB4_2479 Depth=4
	s_or_b32 exec_lo, exec_lo, s16
	v_lshrrev_b32_e32 v96, 20, v96
	v_cmp_gt_i32_e32 vcc_lo, 16, v87
	v_min_i32_e32 v78, 15, v87
	v_and_b32_sdwa v75, v75, v118 dst_sel:DWORD dst_unused:UNUSED_PAD src0_sel:BYTE_3 src1_sel:DWORD
	v_cndmask_b32_e32 v96, 7, v96, vcc_lo
	v_lshlrev_b32_e32 v78, 3, v78
	v_and_b32_e32 v89, 7, v96
	v_or_b32_e32 v87, v87, v96
	v_or3_b32 v96, v78, v75, v89
	v_cmp_ne_u32_e32 vcc_lo, 0, v87
	v_cndmask_b32_e32 v87, 0, v96, vcc_lo
.LBB4_2910:                             ;   in Loop: Header=BB4_2479 Depth=4
	s_or_b32 exec_lo, exec_lo, s74
.LBB4_2911:                             ;   in Loop: Header=BB4_2479 Depth=4
	s_or_b32 exec_lo, exec_lo, s73
	v_cmp_gt_i16_sdwa s73, v85, v117 src0_sel:BYTE_0 src1_sel:DWORD
	s_andn2_b32 vcc_lo, exec_lo, s63
	s_mov_b32 s16, -1
                                        ; implicit-def: $vgpr96
	s_cbranch_vccnz .LBB4_2925
; %bb.2912:                             ;   in Loop: Header=BB4_2479 Depth=4
	s_mov_b32 s16, 0
	s_and_saveexec_b32 s74, s73
	s_xor_b32 s73, exec_lo, s74
	s_cbranch_execz .LBB4_3149
; %bb.2913:                             ;   in Loop: Header=BB4_2479 Depth=4
	v_cmp_eq_u16_sdwa s75, v85, v118 src0_sel:BYTE_0 src1_sel:DWORD
	s_mov_b32 s16, -1
	s_and_saveexec_b32 s74, s75
; %bb.2914:                             ;   in Loop: Header=BB4_2479 Depth=4
	s_xor_b32 s16, exec_lo, -1
; %bb.2915:                             ;   in Loop: Header=BB4_2479 Depth=4
	s_or_b32 exec_lo, exec_lo, s74
	s_and_b32 s16, s16, exec_lo
	s_or_saveexec_b32 s73, s73
	v_mov_b32_e32 v96, 0x7f800001
	s_xor_b32 exec_lo, exec_lo, s73
	s_cbranch_execnz .LBB4_3150
.LBB4_2916:                             ;   in Loop: Header=BB4_2479 Depth=4
	s_or_b32 exec_lo, exec_lo, s73
	s_and_saveexec_b32 s73, s16
	s_cbranch_execz .LBB4_2918
.LBB4_2917:                             ;   in Loop: Header=BB4_2479 Depth=4
	v_and_b32_e32 v96, 7, v85
	v_lshrrev_b16 v78, 3, v85
	v_lshlrev_b32_e32 v91, 24, v85
	v_ffbh_u32_e32 v75, v96
	v_and_b32_e32 v78, 15, v78
	v_min_u32_e32 v75, 32, v75
	v_cmp_eq_u32_e32 vcc_lo, 0, v78
	v_subrev_nc_u32_e32 v89, 28, v75
	v_sub_nc_u32_e32 v75, 29, v75
	v_lshlrev_b32_e32 v89, v89, v85
	v_cndmask_b32_e32 v75, v78, v75, vcc_lo
	v_and_b32_e32 v78, 0x80000000, v91
	v_and_b32_e32 v89, 7, v89
	v_lshl_add_u32 v75, v75, 23, 0x3b800000
	v_cndmask_b32_e32 v96, v96, v89, vcc_lo
	v_lshlrev_b32_e32 v96, 20, v96
	v_or3_b32 v96, v78, v75, v96
.LBB4_2918:                             ;   in Loop: Header=BB4_2479 Depth=4
	s_or_b32 exec_lo, exec_lo, s73
	s_waitcnt vmcnt(3) lgkmcnt(3)
	v_cmp_gt_i16_sdwa s73, v84, v117 src0_sel:BYTE_0 src1_sel:DWORD
	s_mov_b32 s16, 0
	s_and_saveexec_b32 s74, s73
	s_xor_b32 s73, exec_lo, s74
	s_cbranch_execz .LBB4_3151
; %bb.2919:                             ;   in Loop: Header=BB4_2479 Depth=4
	v_cmp_eq_u16_sdwa s75, v84, v118 src0_sel:BYTE_0 src1_sel:DWORD
	s_mov_b32 s16, -1
	s_and_saveexec_b32 s74, s75
; %bb.2920:                             ;   in Loop: Header=BB4_2479 Depth=4
	s_xor_b32 s16, exec_lo, -1
; %bb.2921:                             ;   in Loop: Header=BB4_2479 Depth=4
	s_or_b32 exec_lo, exec_lo, s74
	s_and_b32 s16, s16, exec_lo
	s_or_saveexec_b32 s73, s73
	v_mov_b32_e32 v75, 0x7f800001
	s_xor_b32 exec_lo, exec_lo, s73
	s_cbranch_execnz .LBB4_3152
.LBB4_2922:                             ;   in Loop: Header=BB4_2479 Depth=4
	s_or_b32 exec_lo, exec_lo, s73
	s_and_saveexec_b32 s73, s16
	s_cbranch_execz .LBB4_2924
.LBB4_2923:                             ;   in Loop: Header=BB4_2479 Depth=4
	v_and_b32_e32 v75, 7, v84
	v_lshrrev_b16 v89, 3, v84
	v_lshlrev_b32_e32 v92, 24, v84
	v_ffbh_u32_e32 v78, v75
	v_and_b32_e32 v89, 15, v89
	v_min_u32_e32 v78, 32, v78
	v_cmp_eq_u32_e32 vcc_lo, 0, v89
	v_subrev_nc_u32_e32 v91, 28, v78
	v_sub_nc_u32_e32 v78, 29, v78
	v_lshlrev_b32_e32 v91, v91, v84
	v_cndmask_b32_e32 v78, v89, v78, vcc_lo
	v_and_b32_e32 v89, 0x80000000, v92
	v_and_b32_e32 v91, 7, v91
	v_lshl_add_u32 v78, v78, 23, 0x3b800000
	v_cndmask_b32_e32 v75, v75, v91, vcc_lo
	v_lshlrev_b32_e32 v75, 20, v75
	v_or3_b32 v75, v89, v78, v75
.LBB4_2924:                             ;   in Loop: Header=BB4_2479 Depth=4
	s_or_b32 exec_lo, exec_lo, s73
	v_max_f32_e32 v75, v75, v75
	v_max_f32_e32 v96, v96, v96
	s_mov_b32 s16, 0
	v_max_f32_e32 v96, v96, v75
.LBB4_2925:                             ;   in Loop: Header=BB4_2479 Depth=4
	s_and_b32 vcc_lo, exec_lo, s16
	s_cbranch_vccz .LBB4_2939
; %bb.2926:                             ;   in Loop: Header=BB4_2479 Depth=4
	v_cmp_gt_i16_sdwa s73, v85, v117 src0_sel:BYTE_0 src1_sel:DWORD
	s_mov_b32 s16, 0
	s_and_saveexec_b32 s74, s73
	s_xor_b32 s73, exec_lo, s74
	s_cbranch_execz .LBB4_3153
; %bb.2927:                             ;   in Loop: Header=BB4_2479 Depth=4
	v_cmp_eq_u16_sdwa s75, v85, v118 src0_sel:BYTE_0 src1_sel:DWORD
	s_mov_b32 s16, -1
	s_and_saveexec_b32 s74, s75
; %bb.2928:                             ;   in Loop: Header=BB4_2479 Depth=4
	s_xor_b32 s16, exec_lo, -1
; %bb.2929:                             ;   in Loop: Header=BB4_2479 Depth=4
	s_or_b32 exec_lo, exec_lo, s74
	s_and_b32 s16, s16, exec_lo
	s_or_saveexec_b32 s73, s73
	v_mov_b32_e32 v96, 0x7f800001
	s_xor_b32 exec_lo, exec_lo, s73
	s_cbranch_execnz .LBB4_3154
.LBB4_2930:                             ;   in Loop: Header=BB4_2479 Depth=4
	s_or_b32 exec_lo, exec_lo, s73
	s_and_saveexec_b32 s73, s16
	s_cbranch_execz .LBB4_2932
.LBB4_2931:                             ;   in Loop: Header=BB4_2479 Depth=4
	v_and_b32_e32 v96, 7, v85
	v_lshrrev_b16 v78, 3, v85
	v_ffbh_u32_e32 v75, v96
	v_and_b32_e32 v78, 15, v78
	v_min_u32_e32 v75, 32, v75
	v_cmp_eq_u32_e32 vcc_lo, 0, v78
	v_subrev_nc_u32_e32 v89, 28, v75
	v_sub_nc_u32_e32 v75, 29, v75
	v_lshlrev_b32_e32 v89, v89, v85
	v_lshlrev_b32_e32 v85, 24, v85
	v_cndmask_b32_e32 v75, v78, v75, vcc_lo
	v_and_b32_e32 v89, 7, v89
	v_and_b32_e32 v85, 0x80000000, v85
	v_lshl_add_u32 v75, v75, 23, 0x3b800000
	v_cndmask_b32_e32 v96, v96, v89, vcc_lo
	v_lshlrev_b32_e32 v96, 20, v96
	v_or3_b32 v96, v85, v75, v96
.LBB4_2932:                             ;   in Loop: Header=BB4_2479 Depth=4
	s_or_b32 exec_lo, exec_lo, s73
	s_waitcnt vmcnt(3) lgkmcnt(3)
	v_cmp_gt_i16_sdwa s73, v84, v117 src0_sel:BYTE_0 src1_sel:DWORD
	s_mov_b32 s16, 0
	s_and_saveexec_b32 s74, s73
	s_xor_b32 s73, exec_lo, s74
	s_cbranch_execz .LBB4_3155
; %bb.2933:                             ;   in Loop: Header=BB4_2479 Depth=4
	v_cmp_eq_u16_sdwa s75, v84, v118 src0_sel:BYTE_0 src1_sel:DWORD
	s_mov_b32 s16, -1
	s_and_saveexec_b32 s74, s75
; %bb.2934:                             ;   in Loop: Header=BB4_2479 Depth=4
	s_xor_b32 s16, exec_lo, -1
; %bb.2935:                             ;   in Loop: Header=BB4_2479 Depth=4
	s_or_b32 exec_lo, exec_lo, s74
	s_and_b32 s16, s16, exec_lo
	s_or_saveexec_b32 s73, s73
	v_mov_b32_e32 v85, 0x7f800001
	s_xor_b32 exec_lo, exec_lo, s73
	s_cbranch_execnz .LBB4_3156
.LBB4_2936:                             ;   in Loop: Header=BB4_2479 Depth=4
	s_or_b32 exec_lo, exec_lo, s73
	s_and_saveexec_b32 s73, s16
	s_cbranch_execz .LBB4_2938
.LBB4_2937:                             ;   in Loop: Header=BB4_2479 Depth=4
	v_and_b32_e32 v85, 7, v84
	v_lshrrev_b16 v78, 3, v84
	v_ffbh_u32_e32 v75, v85
	v_and_b32_e32 v78, 15, v78
	v_min_u32_e32 v75, 32, v75
	v_cmp_eq_u32_e32 vcc_lo, 0, v78
	v_subrev_nc_u32_e32 v89, 28, v75
	v_sub_nc_u32_e32 v75, 29, v75
	v_lshlrev_b32_e32 v89, v89, v84
	v_lshlrev_b32_e32 v84, 24, v84
	v_cndmask_b32_e32 v75, v78, v75, vcc_lo
	v_and_b32_e32 v89, 7, v89
	v_and_b32_e32 v84, 0x80000000, v84
	v_lshl_add_u32 v75, v75, 23, 0x3b800000
	v_cndmask_b32_e32 v85, v85, v89, vcc_lo
	v_lshlrev_b32_e32 v85, 20, v85
	v_or3_b32 v85, v84, v75, v85
.LBB4_2938:                             ;   in Loop: Header=BB4_2479 Depth=4
	s_or_b32 exec_lo, exec_lo, s73
	v_max_f32_e32 v84, v85, v85
	v_max_f32_e32 v85, v96, v96
	v_min_f32_e32 v96, v85, v84
.LBB4_2939:                             ;   in Loop: Header=BB4_2479 Depth=4
	s_waitcnt vmcnt(3) lgkmcnt(3)
	v_and_b32_e32 v84, 0x7f800000, v96
	v_cmp_ne_u32_e32 vcc_lo, 0x7f800000, v84
	v_mov_b32_e32 v84, 0x80
	s_and_saveexec_b32 s73, vcc_lo
	s_cbranch_execz .LBB4_2947
; %bb.2940:                             ;   in Loop: Header=BB4_2479 Depth=4
	v_mov_b32_e32 v84, 0
	s_mov_b32 s74, exec_lo
	v_cmpx_ne_u32_e32 0, v96
	s_cbranch_execz .LBB4_2946
; %bb.2941:                             ;   in Loop: Header=BB4_2479 Depth=4
	v_bfe_u32 v84, v96, 23, 8
	v_and_b32_e32 v85, 0x7fffff, v96
	v_sub_nc_u32_e32 v75, 0x78, v84
	v_cmp_gt_u32_e32 vcc_lo, 0x79, v84
	v_or_b32_e32 v78, 0x800000, v85
	v_cndmask_b32_e32 v75, 0, v75, vcc_lo
	v_cmp_eq_u32_e32 vcc_lo, 0, v84
	v_add_nc_u32_e32 v84, 0xffffff89, v84
	v_cndmask_b32_e64 v75, v75, 0x77, vcc_lo
	v_cndmask_b32_e32 v85, v78, v85, vcc_lo
	v_cndmask_b32_e64 v84, v84, 0xffffff8a, vcc_lo
	v_lshl_add_u32 v78, 0x100000, v75, -1
	v_lshrrev_b32_e32 v89, v75, v85
	v_lshlrev_b32_e64 v92, v75, 0x80000
	v_add_nc_u32_e32 v75, v75, v84
	v_and_b32_e32 v85, v78, v85
	v_bfe_u32 v91, v89, 20, 1
	v_cmp_eq_u32_e64 s16, v85, v92
	v_add_nc_u32_e32 v78, -1, v91
	v_cndmask_b32_e64 v85, 0, v78, s16
	v_lshrrev_b32_e32 v78, 23, v89
	s_mov_b32 s16, exec_lo
	v_add_nc_u32_e32 v85, v85, v89
	v_xor_b32_e32 v78, 1, v78
	v_and_b32_e32 v84, 0xfffff, v85
	v_add_nc_u32_e32 v85, v84, v89
                                        ; implicit-def: $vgpr84
	v_cmpx_ne_u32_e64 v75, v78
	s_xor_b32 s16, exec_lo, s16
; %bb.2942:                             ;   in Loop: Header=BB4_2479 Depth=4
	v_cmp_lt_u32_e32 vcc_lo, 0xffffff, v85
	v_sub_nc_u32_e32 v84, v75, v78
	v_cndmask_b32_e64 v75, 0, 1, vcc_lo
	v_add_co_ci_u32_e64 v84, null, 0, v84, vcc_lo
	v_lshrrev_b32_e32 v85, v75, v85
; %bb.2943:                             ;   in Loop: Header=BB4_2479 Depth=4
	s_andn2_saveexec_b32 s16, s16
; %bb.2944:                             ;   in Loop: Header=BB4_2479 Depth=4
	v_bfe_u32 v84, v85, 23, 1
; %bb.2945:                             ;   in Loop: Header=BB4_2479 Depth=4
	s_or_b32 exec_lo, exec_lo, s16
	v_lshrrev_b32_e32 v85, 20, v85
	v_cmp_gt_i32_e32 vcc_lo, 16, v84
	v_min_i32_e32 v75, 15, v84
	v_and_b32_sdwa v96, v96, v118 dst_sel:DWORD dst_unused:UNUSED_PAD src0_sel:BYTE_3 src1_sel:DWORD
	v_cndmask_b32_e32 v85, 7, v85, vcc_lo
	v_lshlrev_b32_e32 v75, 3, v75
	v_and_b32_e32 v78, 7, v85
	v_or_b32_e32 v84, v84, v85
	v_or3_b32 v85, v75, v96, v78
	v_cmp_ne_u32_e32 vcc_lo, 0, v84
	v_cndmask_b32_e32 v84, 0, v85, vcc_lo
.LBB4_2946:                             ;   in Loop: Header=BB4_2479 Depth=4
	s_or_b32 exec_lo, exec_lo, s74
.LBB4_2947:                             ;   in Loop: Header=BB4_2479 Depth=4
	s_or_b32 exec_lo, exec_lo, s73
	v_cmp_gt_i16_sdwa s73, v82, v117 src0_sel:BYTE_0 src1_sel:DWORD
	s_andn2_b32 vcc_lo, exec_lo, s63
	s_mov_b32 s16, -1
                                        ; implicit-def: $vgpr85
	s_cbranch_vccnz .LBB4_2961
; %bb.2948:                             ;   in Loop: Header=BB4_2479 Depth=4
	s_mov_b32 s16, 0
	s_and_saveexec_b32 s74, s73
	s_xor_b32 s73, exec_lo, s74
	s_cbranch_execz .LBB4_3157
; %bb.2949:                             ;   in Loop: Header=BB4_2479 Depth=4
	v_cmp_eq_u16_sdwa s75, v82, v118 src0_sel:BYTE_0 src1_sel:DWORD
	s_mov_b32 s16, -1
	s_and_saveexec_b32 s74, s75
; %bb.2950:                             ;   in Loop: Header=BB4_2479 Depth=4
	s_xor_b32 s16, exec_lo, -1
; %bb.2951:                             ;   in Loop: Header=BB4_2479 Depth=4
	s_or_b32 exec_lo, exec_lo, s74
	s_and_b32 s16, s16, exec_lo
	s_or_saveexec_b32 s73, s73
	v_mov_b32_e32 v85, 0x7f800001
	s_xor_b32 exec_lo, exec_lo, s73
	s_cbranch_execnz .LBB4_3158
.LBB4_2952:                             ;   in Loop: Header=BB4_2479 Depth=4
	s_or_b32 exec_lo, exec_lo, s73
	s_and_saveexec_b32 s73, s16
	s_cbranch_execz .LBB4_2954
.LBB4_2953:                             ;   in Loop: Header=BB4_2479 Depth=4
	v_and_b32_e32 v85, 7, v82
	v_lshrrev_b16 v75, 3, v82
	v_lshlrev_b32_e32 v89, 24, v82
	v_ffbh_u32_e32 v96, v85
	v_and_b32_e32 v75, 15, v75
	v_min_u32_e32 v96, 32, v96
	v_cmp_eq_u32_e32 vcc_lo, 0, v75
	v_subrev_nc_u32_e32 v78, 28, v96
	v_sub_nc_u32_e32 v96, 29, v96
	v_lshlrev_b32_e32 v78, v78, v82
	v_cndmask_b32_e32 v96, v75, v96, vcc_lo
	v_and_b32_e32 v75, 0x80000000, v89
	v_and_b32_e32 v78, 7, v78
	v_lshl_add_u32 v96, v96, 23, 0x3b800000
	v_cndmask_b32_e32 v85, v85, v78, vcc_lo
	v_lshlrev_b32_e32 v85, 20, v85
	v_or3_b32 v85, v75, v96, v85
.LBB4_2954:                             ;   in Loop: Header=BB4_2479 Depth=4
	s_or_b32 exec_lo, exec_lo, s73
	s_waitcnt vmcnt(2) lgkmcnt(2)
	v_cmp_gt_i16_sdwa s73, v81, v117 src0_sel:BYTE_0 src1_sel:DWORD
	s_mov_b32 s16, 0
	s_and_saveexec_b32 s74, s73
	s_xor_b32 s73, exec_lo, s74
	s_cbranch_execz .LBB4_3159
; %bb.2955:                             ;   in Loop: Header=BB4_2479 Depth=4
	v_cmp_eq_u16_sdwa s75, v81, v118 src0_sel:BYTE_0 src1_sel:DWORD
	s_mov_b32 s16, -1
	s_and_saveexec_b32 s74, s75
; %bb.2956:                             ;   in Loop: Header=BB4_2479 Depth=4
	s_xor_b32 s16, exec_lo, -1
; %bb.2957:                             ;   in Loop: Header=BB4_2479 Depth=4
	s_or_b32 exec_lo, exec_lo, s74
	s_and_b32 s16, s16, exec_lo
	s_or_saveexec_b32 s73, s73
	v_mov_b32_e32 v96, 0x7f800001
	s_xor_b32 exec_lo, exec_lo, s73
	s_cbranch_execnz .LBB4_3160
.LBB4_2958:                             ;   in Loop: Header=BB4_2479 Depth=4
	s_or_b32 exec_lo, exec_lo, s73
	s_and_saveexec_b32 s73, s16
	s_cbranch_execz .LBB4_2960
.LBB4_2959:                             ;   in Loop: Header=BB4_2479 Depth=4
	v_and_b32_e32 v96, 7, v81
	v_lshrrev_b16 v78, 3, v81
	v_lshlrev_b32_e32 v91, 24, v81
	v_ffbh_u32_e32 v75, v96
	v_and_b32_e32 v78, 15, v78
	v_min_u32_e32 v75, 32, v75
	v_cmp_eq_u32_e32 vcc_lo, 0, v78
	v_subrev_nc_u32_e32 v89, 28, v75
	v_sub_nc_u32_e32 v75, 29, v75
	v_lshlrev_b32_e32 v89, v89, v81
	v_cndmask_b32_e32 v75, v78, v75, vcc_lo
	v_and_b32_e32 v78, 0x80000000, v91
	v_and_b32_e32 v89, 7, v89
	v_lshl_add_u32 v75, v75, 23, 0x3b800000
	v_cndmask_b32_e32 v96, v96, v89, vcc_lo
	v_lshlrev_b32_e32 v96, 20, v96
	v_or3_b32 v96, v78, v75, v96
.LBB4_2960:                             ;   in Loop: Header=BB4_2479 Depth=4
	s_or_b32 exec_lo, exec_lo, s73
	v_max_f32_e32 v96, v96, v96
	v_max_f32_e32 v85, v85, v85
	s_mov_b32 s16, 0
	v_max_f32_e32 v85, v85, v96
.LBB4_2961:                             ;   in Loop: Header=BB4_2479 Depth=4
	s_and_b32 vcc_lo, exec_lo, s16
	s_cbranch_vccz .LBB4_2975
; %bb.2962:                             ;   in Loop: Header=BB4_2479 Depth=4
	v_cmp_gt_i16_sdwa s73, v82, v117 src0_sel:BYTE_0 src1_sel:DWORD
	s_mov_b32 s16, 0
	s_and_saveexec_b32 s74, s73
	s_xor_b32 s73, exec_lo, s74
	s_cbranch_execz .LBB4_3161
; %bb.2963:                             ;   in Loop: Header=BB4_2479 Depth=4
	v_cmp_eq_u16_sdwa s75, v82, v118 src0_sel:BYTE_0 src1_sel:DWORD
	s_mov_b32 s16, -1
	s_and_saveexec_b32 s74, s75
; %bb.2964:                             ;   in Loop: Header=BB4_2479 Depth=4
	s_xor_b32 s16, exec_lo, -1
; %bb.2965:                             ;   in Loop: Header=BB4_2479 Depth=4
	s_or_b32 exec_lo, exec_lo, s74
	s_and_b32 s16, s16, exec_lo
	s_or_saveexec_b32 s73, s73
	v_mov_b32_e32 v85, 0x7f800001
	s_xor_b32 exec_lo, exec_lo, s73
	s_cbranch_execnz .LBB4_3162
.LBB4_2966:                             ;   in Loop: Header=BB4_2479 Depth=4
	s_or_b32 exec_lo, exec_lo, s73
	s_and_saveexec_b32 s73, s16
	s_cbranch_execz .LBB4_2968
.LBB4_2967:                             ;   in Loop: Header=BB4_2479 Depth=4
	v_and_b32_e32 v85, 7, v82
	v_lshrrev_b16 v75, 3, v82
	v_ffbh_u32_e32 v96, v85
	v_and_b32_e32 v75, 15, v75
	v_min_u32_e32 v96, 32, v96
	v_cmp_eq_u32_e32 vcc_lo, 0, v75
	v_subrev_nc_u32_e32 v78, 28, v96
	v_sub_nc_u32_e32 v96, 29, v96
	v_lshlrev_b32_e32 v78, v78, v82
	v_lshlrev_b32_e32 v82, 24, v82
	v_cndmask_b32_e32 v96, v75, v96, vcc_lo
	v_and_b32_e32 v78, 7, v78
	v_and_b32_e32 v82, 0x80000000, v82
	v_lshl_add_u32 v96, v96, 23, 0x3b800000
	v_cndmask_b32_e32 v85, v85, v78, vcc_lo
	v_lshlrev_b32_e32 v85, 20, v85
	v_or3_b32 v85, v82, v96, v85
.LBB4_2968:                             ;   in Loop: Header=BB4_2479 Depth=4
	s_or_b32 exec_lo, exec_lo, s73
	s_waitcnt vmcnt(2) lgkmcnt(2)
	v_cmp_gt_i16_sdwa s73, v81, v117 src0_sel:BYTE_0 src1_sel:DWORD
	s_mov_b32 s16, 0
	s_and_saveexec_b32 s74, s73
	s_xor_b32 s73, exec_lo, s74
	s_cbranch_execz .LBB4_3163
; %bb.2969:                             ;   in Loop: Header=BB4_2479 Depth=4
	v_cmp_eq_u16_sdwa s75, v81, v118 src0_sel:BYTE_0 src1_sel:DWORD
	s_mov_b32 s16, -1
	s_and_saveexec_b32 s74, s75
; %bb.2970:                             ;   in Loop: Header=BB4_2479 Depth=4
	s_xor_b32 s16, exec_lo, -1
; %bb.2971:                             ;   in Loop: Header=BB4_2479 Depth=4
	s_or_b32 exec_lo, exec_lo, s74
	s_and_b32 s16, s16, exec_lo
	s_or_saveexec_b32 s73, s73
	v_mov_b32_e32 v82, 0x7f800001
	s_xor_b32 exec_lo, exec_lo, s73
	s_cbranch_execnz .LBB4_3164
.LBB4_2972:                             ;   in Loop: Header=BB4_2479 Depth=4
	s_or_b32 exec_lo, exec_lo, s73
	s_and_saveexec_b32 s73, s16
	s_cbranch_execz .LBB4_2974
.LBB4_2973:                             ;   in Loop: Header=BB4_2479 Depth=4
	v_and_b32_e32 v82, 7, v81
	v_lshrrev_b16 v75, 3, v81
	v_ffbh_u32_e32 v96, v82
	v_and_b32_e32 v75, 15, v75
	v_min_u32_e32 v96, 32, v96
	v_cmp_eq_u32_e32 vcc_lo, 0, v75
	v_subrev_nc_u32_e32 v78, 28, v96
	v_sub_nc_u32_e32 v96, 29, v96
	v_lshlrev_b32_e32 v78, v78, v81
	v_lshlrev_b32_e32 v81, 24, v81
	v_cndmask_b32_e32 v96, v75, v96, vcc_lo
	v_and_b32_e32 v78, 7, v78
	v_and_b32_e32 v81, 0x80000000, v81
	v_lshl_add_u32 v96, v96, 23, 0x3b800000
	v_cndmask_b32_e32 v82, v82, v78, vcc_lo
	v_lshlrev_b32_e32 v82, 20, v82
	v_or3_b32 v82, v81, v96, v82
.LBB4_2974:                             ;   in Loop: Header=BB4_2479 Depth=4
	s_or_b32 exec_lo, exec_lo, s73
	v_max_f32_e32 v81, v82, v82
	v_max_f32_e32 v82, v85, v85
	v_min_f32_e32 v85, v82, v81
.LBB4_2975:                             ;   in Loop: Header=BB4_2479 Depth=4
	s_waitcnt vmcnt(2) lgkmcnt(2)
	v_and_b32_e32 v81, 0x7f800000, v85
	v_cmp_ne_u32_e32 vcc_lo, 0x7f800000, v81
	v_mov_b32_e32 v81, 0x80
	s_and_saveexec_b32 s73, vcc_lo
	s_cbranch_execz .LBB4_2983
; %bb.2976:                             ;   in Loop: Header=BB4_2479 Depth=4
	v_mov_b32_e32 v81, 0
	s_mov_b32 s74, exec_lo
	v_cmpx_ne_u32_e32 0, v85
	s_cbranch_execz .LBB4_2982
; %bb.2977:                             ;   in Loop: Header=BB4_2479 Depth=4
	v_bfe_u32 v81, v85, 23, 8
	v_and_b32_e32 v82, 0x7fffff, v85
	v_sub_nc_u32_e32 v96, 0x78, v81
	v_cmp_gt_u32_e32 vcc_lo, 0x79, v81
	v_or_b32_e32 v75, 0x800000, v82
	v_cndmask_b32_e32 v96, 0, v96, vcc_lo
	v_cmp_eq_u32_e32 vcc_lo, 0, v81
	v_add_nc_u32_e32 v81, 0xffffff89, v81
	v_cndmask_b32_e64 v96, v96, 0x77, vcc_lo
	v_cndmask_b32_e32 v82, v75, v82, vcc_lo
	v_cndmask_b32_e64 v81, v81, 0xffffff8a, vcc_lo
	v_lshl_add_u32 v75, 0x100000, v96, -1
	v_lshrrev_b32_e32 v78, v96, v82
	v_lshlrev_b32_e64 v91, v96, 0x80000
	v_add_nc_u32_e32 v96, v96, v81
	v_and_b32_e32 v82, v75, v82
	v_bfe_u32 v89, v78, 20, 1
	v_cmp_eq_u32_e64 s16, v82, v91
	v_add_nc_u32_e32 v75, -1, v89
	v_cndmask_b32_e64 v82, 0, v75, s16
	v_lshrrev_b32_e32 v75, 23, v78
	s_mov_b32 s16, exec_lo
	v_add_nc_u32_e32 v82, v82, v78
	v_xor_b32_e32 v75, 1, v75
	v_and_b32_e32 v81, 0xfffff, v82
	v_add_nc_u32_e32 v82, v81, v78
                                        ; implicit-def: $vgpr81
	v_cmpx_ne_u32_e64 v96, v75
	s_xor_b32 s16, exec_lo, s16
; %bb.2978:                             ;   in Loop: Header=BB4_2479 Depth=4
	v_cmp_lt_u32_e32 vcc_lo, 0xffffff, v82
	v_sub_nc_u32_e32 v81, v96, v75
	v_cndmask_b32_e64 v96, 0, 1, vcc_lo
	v_add_co_ci_u32_e64 v81, null, 0, v81, vcc_lo
	v_lshrrev_b32_e32 v82, v96, v82
; %bb.2979:                             ;   in Loop: Header=BB4_2479 Depth=4
	s_andn2_saveexec_b32 s16, s16
; %bb.2980:                             ;   in Loop: Header=BB4_2479 Depth=4
	v_bfe_u32 v81, v82, 23, 1
; %bb.2981:                             ;   in Loop: Header=BB4_2479 Depth=4
	s_or_b32 exec_lo, exec_lo, s16
	v_lshrrev_b32_e32 v82, 20, v82
	v_cmp_gt_i32_e32 vcc_lo, 16, v81
	v_min_i32_e32 v96, 15, v81
	v_and_b32_sdwa v85, v85, v118 dst_sel:DWORD dst_unused:UNUSED_PAD src0_sel:BYTE_3 src1_sel:DWORD
	v_cndmask_b32_e32 v82, 7, v82, vcc_lo
	v_lshlrev_b32_e32 v96, 3, v96
	v_and_b32_e32 v75, 7, v82
	v_or_b32_e32 v81, v81, v82
	v_or3_b32 v82, v96, v85, v75
	v_cmp_ne_u32_e32 vcc_lo, 0, v81
	v_cndmask_b32_e32 v81, 0, v82, vcc_lo
.LBB4_2982:                             ;   in Loop: Header=BB4_2479 Depth=4
	s_or_b32 exec_lo, exec_lo, s74
.LBB4_2983:                             ;   in Loop: Header=BB4_2479 Depth=4
	s_or_b32 exec_lo, exec_lo, s73
	v_cmp_gt_i16_sdwa s73, v69, v117 src0_sel:BYTE_0 src1_sel:DWORD
	s_andn2_b32 vcc_lo, exec_lo, s63
	s_mov_b32 s16, -1
                                        ; implicit-def: $vgpr82
	s_cbranch_vccnz .LBB4_2997
; %bb.2984:                             ;   in Loop: Header=BB4_2479 Depth=4
	s_mov_b32 s16, 0
	s_and_saveexec_b32 s74, s73
	s_xor_b32 s73, exec_lo, s74
	s_cbranch_execz .LBB4_3165
; %bb.2985:                             ;   in Loop: Header=BB4_2479 Depth=4
	v_cmp_eq_u16_sdwa s75, v69, v118 src0_sel:BYTE_0 src1_sel:DWORD
	s_mov_b32 s16, -1
	s_and_saveexec_b32 s74, s75
; %bb.2986:                             ;   in Loop: Header=BB4_2479 Depth=4
	s_xor_b32 s16, exec_lo, -1
; %bb.2987:                             ;   in Loop: Header=BB4_2479 Depth=4
	s_or_b32 exec_lo, exec_lo, s74
	s_and_b32 s16, s16, exec_lo
	s_or_saveexec_b32 s73, s73
	v_mov_b32_e32 v82, 0x7f800001
	s_xor_b32 exec_lo, exec_lo, s73
	s_cbranch_execnz .LBB4_3166
.LBB4_2988:                             ;   in Loop: Header=BB4_2479 Depth=4
	s_or_b32 exec_lo, exec_lo, s73
	s_and_saveexec_b32 s73, s16
	s_cbranch_execz .LBB4_2990
.LBB4_2989:                             ;   in Loop: Header=BB4_2479 Depth=4
	v_and_b32_e32 v82, 7, v69
	v_lshrrev_b16 v96, 3, v69
	v_lshlrev_b32_e32 v78, 24, v69
	v_ffbh_u32_e32 v85, v82
	v_and_b32_e32 v96, 15, v96
	v_min_u32_e32 v85, 32, v85
	v_cmp_eq_u32_e32 vcc_lo, 0, v96
	v_subrev_nc_u32_e32 v75, 28, v85
	v_sub_nc_u32_e32 v85, 29, v85
	v_lshlrev_b32_e32 v75, v75, v69
	v_cndmask_b32_e32 v85, v96, v85, vcc_lo
	v_and_b32_e32 v96, 0x80000000, v78
	v_and_b32_e32 v75, 7, v75
	v_lshl_add_u32 v85, v85, 23, 0x3b800000
	v_cndmask_b32_e32 v82, v82, v75, vcc_lo
	v_lshlrev_b32_e32 v82, 20, v82
	v_or3_b32 v82, v96, v85, v82
.LBB4_2990:                             ;   in Loop: Header=BB4_2479 Depth=4
	s_or_b32 exec_lo, exec_lo, s73
	s_waitcnt vmcnt(1) lgkmcnt(1)
	v_cmp_gt_i16_sdwa s73, v23, v117 src0_sel:BYTE_0 src1_sel:DWORD
	s_mov_b32 s16, 0
	s_and_saveexec_b32 s74, s73
	s_xor_b32 s73, exec_lo, s74
	s_cbranch_execz .LBB4_3167
; %bb.2991:                             ;   in Loop: Header=BB4_2479 Depth=4
	v_cmp_eq_u16_sdwa s75, v23, v118 src0_sel:BYTE_0 src1_sel:DWORD
	s_mov_b32 s16, -1
	s_and_saveexec_b32 s74, s75
; %bb.2992:                             ;   in Loop: Header=BB4_2479 Depth=4
	s_xor_b32 s16, exec_lo, -1
; %bb.2993:                             ;   in Loop: Header=BB4_2479 Depth=4
	s_or_b32 exec_lo, exec_lo, s74
	s_and_b32 s16, s16, exec_lo
	s_or_saveexec_b32 s73, s73
	v_mov_b32_e32 v85, 0x7f800001
	s_xor_b32 exec_lo, exec_lo, s73
	s_cbranch_execnz .LBB4_3168
.LBB4_2994:                             ;   in Loop: Header=BB4_2479 Depth=4
	s_or_b32 exec_lo, exec_lo, s73
	s_and_saveexec_b32 s73, s16
	s_cbranch_execz .LBB4_2996
.LBB4_2995:                             ;   in Loop: Header=BB4_2479 Depth=4
	v_and_b32_e32 v85, 7, v23
	v_lshrrev_b16 v75, 3, v23
	v_lshlrev_b32_e32 v89, 24, v23
	v_ffbh_u32_e32 v96, v85
	v_and_b32_e32 v75, 15, v75
	v_min_u32_e32 v96, 32, v96
	v_cmp_eq_u32_e32 vcc_lo, 0, v75
	v_subrev_nc_u32_e32 v78, 28, v96
	v_sub_nc_u32_e32 v96, 29, v96
	v_lshlrev_b32_e32 v78, v78, v23
	v_cndmask_b32_e32 v96, v75, v96, vcc_lo
	v_and_b32_e32 v75, 0x80000000, v89
	v_and_b32_e32 v78, 7, v78
	v_lshl_add_u32 v96, v96, 23, 0x3b800000
	v_cndmask_b32_e32 v85, v85, v78, vcc_lo
	v_lshlrev_b32_e32 v85, 20, v85
	v_or3_b32 v85, v75, v96, v85
.LBB4_2996:                             ;   in Loop: Header=BB4_2479 Depth=4
	s_or_b32 exec_lo, exec_lo, s73
	v_max_f32_e32 v85, v85, v85
	v_max_f32_e32 v82, v82, v82
	s_mov_b32 s16, 0
	v_max_f32_e32 v82, v82, v85
.LBB4_2997:                             ;   in Loop: Header=BB4_2479 Depth=4
	s_and_b32 vcc_lo, exec_lo, s16
	s_cbranch_vccz .LBB4_3011
; %bb.2998:                             ;   in Loop: Header=BB4_2479 Depth=4
	v_cmp_gt_i16_sdwa s73, v69, v117 src0_sel:BYTE_0 src1_sel:DWORD
	s_mov_b32 s16, 0
	s_and_saveexec_b32 s74, s73
	s_xor_b32 s73, exec_lo, s74
	s_cbranch_execz .LBB4_3169
; %bb.2999:                             ;   in Loop: Header=BB4_2479 Depth=4
	v_cmp_eq_u16_sdwa s75, v69, v118 src0_sel:BYTE_0 src1_sel:DWORD
	s_mov_b32 s16, -1
	s_and_saveexec_b32 s74, s75
; %bb.3000:                             ;   in Loop: Header=BB4_2479 Depth=4
	s_xor_b32 s16, exec_lo, -1
; %bb.3001:                             ;   in Loop: Header=BB4_2479 Depth=4
	s_or_b32 exec_lo, exec_lo, s74
	s_and_b32 s16, s16, exec_lo
	s_or_saveexec_b32 s73, s73
	v_mov_b32_e32 v82, 0x7f800001
	s_xor_b32 exec_lo, exec_lo, s73
	s_cbranch_execnz .LBB4_3170
.LBB4_3002:                             ;   in Loop: Header=BB4_2479 Depth=4
	s_or_b32 exec_lo, exec_lo, s73
	s_and_saveexec_b32 s73, s16
	s_cbranch_execz .LBB4_3004
.LBB4_3003:                             ;   in Loop: Header=BB4_2479 Depth=4
	v_and_b32_e32 v82, 7, v69
	v_lshrrev_b16 v96, 3, v69
	v_ffbh_u32_e32 v85, v82
	v_and_b32_e32 v96, 15, v96
	v_min_u32_e32 v85, 32, v85
	v_cmp_eq_u32_e32 vcc_lo, 0, v96
	v_subrev_nc_u32_e32 v75, 28, v85
	v_sub_nc_u32_e32 v85, 29, v85
	v_lshlrev_b32_e32 v75, v75, v69
	v_lshlrev_b32_e32 v69, 24, v69
	v_cndmask_b32_e32 v85, v96, v85, vcc_lo
	v_and_b32_e32 v75, 7, v75
	v_and_b32_e32 v69, 0x80000000, v69
	v_lshl_add_u32 v85, v85, 23, 0x3b800000
	v_cndmask_b32_e32 v82, v82, v75, vcc_lo
	v_lshlrev_b32_e32 v82, 20, v82
	v_or3_b32 v82, v69, v85, v82
.LBB4_3004:                             ;   in Loop: Header=BB4_2479 Depth=4
	s_or_b32 exec_lo, exec_lo, s73
	s_waitcnt vmcnt(1) lgkmcnt(1)
	v_cmp_gt_i16_sdwa s73, v23, v117 src0_sel:BYTE_0 src1_sel:DWORD
	s_mov_b32 s16, 0
	s_and_saveexec_b32 s74, s73
	s_xor_b32 s73, exec_lo, s74
	s_cbranch_execz .LBB4_3171
; %bb.3005:                             ;   in Loop: Header=BB4_2479 Depth=4
	v_cmp_eq_u16_sdwa s75, v23, v118 src0_sel:BYTE_0 src1_sel:DWORD
	s_mov_b32 s16, -1
	s_and_saveexec_b32 s74, s75
; %bb.3006:                             ;   in Loop: Header=BB4_2479 Depth=4
	s_xor_b32 s16, exec_lo, -1
; %bb.3007:                             ;   in Loop: Header=BB4_2479 Depth=4
	s_or_b32 exec_lo, exec_lo, s74
	s_and_b32 s16, s16, exec_lo
	s_or_saveexec_b32 s73, s73
	v_mov_b32_e32 v69, 0x7f800001
	s_xor_b32 exec_lo, exec_lo, s73
	s_cbranch_execnz .LBB4_3172
.LBB4_3008:                             ;   in Loop: Header=BB4_2479 Depth=4
	s_or_b32 exec_lo, exec_lo, s73
	s_and_saveexec_b32 s73, s16
	s_cbranch_execz .LBB4_3010
.LBB4_3009:                             ;   in Loop: Header=BB4_2479 Depth=4
	v_and_b32_e32 v69, 7, v23
	v_lshrrev_b16 v96, 3, v23
	v_ffbh_u32_e32 v85, v69
	v_and_b32_e32 v96, 15, v96
	v_min_u32_e32 v85, 32, v85
	v_cmp_eq_u32_e32 vcc_lo, 0, v96
	v_subrev_nc_u32_e32 v75, 28, v85
	v_sub_nc_u32_e32 v85, 29, v85
	v_lshlrev_b32_e32 v75, v75, v23
	v_lshlrev_b32_e32 v23, 24, v23
	v_cndmask_b32_e32 v85, v96, v85, vcc_lo
	v_and_b32_e32 v75, 7, v75
	v_and_b32_e32 v23, 0x80000000, v23
	v_lshl_add_u32 v85, v85, 23, 0x3b800000
	v_cndmask_b32_e32 v69, v69, v75, vcc_lo
	v_lshlrev_b32_e32 v69, 20, v69
	v_or3_b32 v69, v23, v85, v69
.LBB4_3010:                             ;   in Loop: Header=BB4_2479 Depth=4
	s_or_b32 exec_lo, exec_lo, s73
	v_max_f32_e32 v23, v69, v69
	v_max_f32_e32 v69, v82, v82
	v_min_f32_e32 v82, v69, v23
.LBB4_3011:                             ;   in Loop: Header=BB4_2479 Depth=4
	s_waitcnt vmcnt(1) lgkmcnt(1)
	v_and_b32_e32 v23, 0x7f800000, v82
	v_cmp_ne_u32_e32 vcc_lo, 0x7f800000, v23
	v_mov_b32_e32 v23, 0x80
	s_and_saveexec_b32 s73, vcc_lo
	s_cbranch_execz .LBB4_3019
; %bb.3012:                             ;   in Loop: Header=BB4_2479 Depth=4
	v_mov_b32_e32 v23, 0
	s_mov_b32 s74, exec_lo
	v_cmpx_ne_u32_e32 0, v82
	s_cbranch_execz .LBB4_3018
; %bb.3013:                             ;   in Loop: Header=BB4_2479 Depth=4
	v_bfe_u32 v23, v82, 23, 8
	v_and_b32_e32 v69, 0x7fffff, v82
	v_sub_nc_u32_e32 v85, 0x78, v23
	v_cmp_gt_u32_e32 vcc_lo, 0x79, v23
	v_or_b32_e32 v96, 0x800000, v69
	v_cndmask_b32_e32 v85, 0, v85, vcc_lo
	v_cmp_eq_u32_e32 vcc_lo, 0, v23
	v_add_nc_u32_e32 v23, 0xffffff89, v23
	v_cndmask_b32_e64 v85, v85, 0x77, vcc_lo
	v_cndmask_b32_e32 v69, v96, v69, vcc_lo
	v_cndmask_b32_e64 v23, v23, 0xffffff8a, vcc_lo
	v_lshl_add_u32 v96, 0x100000, v85, -1
	v_lshrrev_b32_e32 v75, v85, v69
	v_lshlrev_b32_e64 v89, v85, 0x80000
	v_add_nc_u32_e32 v85, v85, v23
	v_and_b32_e32 v69, v96, v69
	v_bfe_u32 v78, v75, 20, 1
	v_cmp_eq_u32_e64 s16, v69, v89
	v_add_nc_u32_e32 v96, -1, v78
	v_cndmask_b32_e64 v69, 0, v96, s16
	v_lshrrev_b32_e32 v96, 23, v75
	s_mov_b32 s16, exec_lo
	v_add_nc_u32_e32 v69, v69, v75
	v_xor_b32_e32 v96, 1, v96
	v_and_b32_e32 v23, 0xfffff, v69
	v_add_nc_u32_e32 v69, v23, v75
                                        ; implicit-def: $vgpr23
	v_cmpx_ne_u32_e64 v85, v96
	s_xor_b32 s16, exec_lo, s16
; %bb.3014:                             ;   in Loop: Header=BB4_2479 Depth=4
	v_cmp_lt_u32_e32 vcc_lo, 0xffffff, v69
	v_sub_nc_u32_e32 v23, v85, v96
	v_cndmask_b32_e64 v85, 0, 1, vcc_lo
	v_add_co_ci_u32_e64 v23, null, 0, v23, vcc_lo
	v_lshrrev_b32_e32 v69, v85, v69
; %bb.3015:                             ;   in Loop: Header=BB4_2479 Depth=4
	s_andn2_saveexec_b32 s16, s16
; %bb.3016:                             ;   in Loop: Header=BB4_2479 Depth=4
	v_bfe_u32 v23, v69, 23, 1
; %bb.3017:                             ;   in Loop: Header=BB4_2479 Depth=4
	s_or_b32 exec_lo, exec_lo, s16
	v_lshrrev_b32_e32 v69, 20, v69
	v_cmp_gt_i32_e32 vcc_lo, 16, v23
	v_min_i32_e32 v85, 15, v23
	v_and_b32_sdwa v82, v82, v118 dst_sel:DWORD dst_unused:UNUSED_PAD src0_sel:BYTE_3 src1_sel:DWORD
	v_cndmask_b32_e32 v69, 7, v69, vcc_lo
	v_lshlrev_b32_e32 v85, 3, v85
	v_and_b32_e32 v96, 7, v69
	v_or_b32_e32 v23, v23, v69
	v_or3_b32 v69, v85, v82, v96
	v_cmp_ne_u32_e32 vcc_lo, 0, v23
	v_cndmask_b32_e32 v23, 0, v69, vcc_lo
.LBB4_3018:                             ;   in Loop: Header=BB4_2479 Depth=4
	s_or_b32 exec_lo, exec_lo, s74
.LBB4_3019:                             ;   in Loop: Header=BB4_2479 Depth=4
	s_or_b32 exec_lo, exec_lo, s73
	v_cmp_gt_i16_sdwa s73, v21, v117 src0_sel:BYTE_0 src1_sel:DWORD
	s_andn2_b32 vcc_lo, exec_lo, s63
	s_mov_b32 s16, -1
                                        ; implicit-def: $vgpr69
	s_cbranch_vccnz .LBB4_3033
; %bb.3020:                             ;   in Loop: Header=BB4_2479 Depth=4
	s_mov_b32 s16, 0
	s_and_saveexec_b32 s74, s73
	s_xor_b32 s73, exec_lo, s74
	s_cbranch_execz .LBB4_3173
; %bb.3021:                             ;   in Loop: Header=BB4_2479 Depth=4
	v_cmp_eq_u16_sdwa s75, v21, v118 src0_sel:BYTE_0 src1_sel:DWORD
	s_mov_b32 s16, -1
	s_and_saveexec_b32 s74, s75
; %bb.3022:                             ;   in Loop: Header=BB4_2479 Depth=4
	s_xor_b32 s16, exec_lo, -1
; %bb.3023:                             ;   in Loop: Header=BB4_2479 Depth=4
	s_or_b32 exec_lo, exec_lo, s74
	s_and_b32 s16, s16, exec_lo
	s_or_saveexec_b32 s73, s73
	v_mov_b32_e32 v69, 0x7f800001
	s_xor_b32 exec_lo, exec_lo, s73
	s_cbranch_execnz .LBB4_3174
.LBB4_3024:                             ;   in Loop: Header=BB4_2479 Depth=4
	s_or_b32 exec_lo, exec_lo, s73
	s_and_saveexec_b32 s73, s16
	s_cbranch_execz .LBB4_3026
.LBB4_3025:                             ;   in Loop: Header=BB4_2479 Depth=4
	v_and_b32_e32 v69, 7, v21
	v_lshrrev_b16 v85, 3, v21
	v_lshlrev_b32_e32 v75, 24, v21
	v_ffbh_u32_e32 v82, v69
	v_and_b32_e32 v85, 15, v85
	v_min_u32_e32 v82, 32, v82
	v_cmp_eq_u32_e32 vcc_lo, 0, v85
	v_subrev_nc_u32_e32 v96, 28, v82
	v_sub_nc_u32_e32 v82, 29, v82
	v_lshlrev_b32_e32 v96, v96, v21
	v_cndmask_b32_e32 v82, v85, v82, vcc_lo
	v_and_b32_e32 v85, 0x80000000, v75
	v_and_b32_e32 v96, 7, v96
	v_lshl_add_u32 v82, v82, 23, 0x3b800000
	v_cndmask_b32_e32 v69, v69, v96, vcc_lo
	v_lshlrev_b32_e32 v69, 20, v69
	v_or3_b32 v69, v85, v82, v69
.LBB4_3026:                             ;   in Loop: Header=BB4_2479 Depth=4
	s_or_b32 exec_lo, exec_lo, s73
	s_waitcnt vmcnt(0) lgkmcnt(0)
	v_cmp_gt_i16_sdwa s73, v20, v117 src0_sel:BYTE_0 src1_sel:DWORD
	s_mov_b32 s16, 0
	s_and_saveexec_b32 s74, s73
	s_xor_b32 s73, exec_lo, s74
	s_cbranch_execz .LBB4_3175
; %bb.3027:                             ;   in Loop: Header=BB4_2479 Depth=4
	v_cmp_eq_u16_sdwa s75, v20, v118 src0_sel:BYTE_0 src1_sel:DWORD
	s_mov_b32 s16, -1
	s_and_saveexec_b32 s74, s75
; %bb.3028:                             ;   in Loop: Header=BB4_2479 Depth=4
	s_xor_b32 s16, exec_lo, -1
; %bb.3029:                             ;   in Loop: Header=BB4_2479 Depth=4
	s_or_b32 exec_lo, exec_lo, s74
	s_and_b32 s16, s16, exec_lo
	s_or_saveexec_b32 s73, s73
	v_mov_b32_e32 v82, 0x7f800001
	s_xor_b32 exec_lo, exec_lo, s73
	s_cbranch_execnz .LBB4_3176
.LBB4_3030:                             ;   in Loop: Header=BB4_2479 Depth=4
	s_or_b32 exec_lo, exec_lo, s73
	s_and_saveexec_b32 s73, s16
	s_cbranch_execz .LBB4_3032
.LBB4_3031:                             ;   in Loop: Header=BB4_2479 Depth=4
	v_and_b32_e32 v82, 7, v20
	v_lshrrev_b16 v96, 3, v20
	v_lshlrev_b32_e32 v78, 24, v20
	v_ffbh_u32_e32 v85, v82
	v_and_b32_e32 v96, 15, v96
	v_min_u32_e32 v85, 32, v85
	v_cmp_eq_u32_e32 vcc_lo, 0, v96
	v_subrev_nc_u32_e32 v75, 28, v85
	v_sub_nc_u32_e32 v85, 29, v85
	v_lshlrev_b32_e32 v75, v75, v20
	v_cndmask_b32_e32 v85, v96, v85, vcc_lo
	v_and_b32_e32 v96, 0x80000000, v78
	v_and_b32_e32 v75, 7, v75
	v_lshl_add_u32 v85, v85, 23, 0x3b800000
	v_cndmask_b32_e32 v82, v82, v75, vcc_lo
	v_lshlrev_b32_e32 v82, 20, v82
	v_or3_b32 v82, v96, v85, v82
.LBB4_3032:                             ;   in Loop: Header=BB4_2479 Depth=4
	s_or_b32 exec_lo, exec_lo, s73
	v_max_f32_e32 v82, v82, v82
	v_max_f32_e32 v69, v69, v69
	s_mov_b32 s16, 0
	v_max_f32_e32 v69, v69, v82
.LBB4_3033:                             ;   in Loop: Header=BB4_2479 Depth=4
	s_and_b32 vcc_lo, exec_lo, s16
	s_cbranch_vccz .LBB4_3047
; %bb.3034:                             ;   in Loop: Header=BB4_2479 Depth=4
	v_cmp_gt_i16_sdwa s73, v21, v117 src0_sel:BYTE_0 src1_sel:DWORD
	s_mov_b32 s16, 0
	s_and_saveexec_b32 s74, s73
	s_xor_b32 s73, exec_lo, s74
	s_cbranch_execz .LBB4_3177
; %bb.3035:                             ;   in Loop: Header=BB4_2479 Depth=4
	v_cmp_eq_u16_sdwa s75, v21, v118 src0_sel:BYTE_0 src1_sel:DWORD
	s_mov_b32 s16, -1
	s_and_saveexec_b32 s74, s75
; %bb.3036:                             ;   in Loop: Header=BB4_2479 Depth=4
	s_xor_b32 s16, exec_lo, -1
; %bb.3037:                             ;   in Loop: Header=BB4_2479 Depth=4
	s_or_b32 exec_lo, exec_lo, s74
	s_and_b32 s16, s16, exec_lo
	s_or_saveexec_b32 s73, s73
	v_mov_b32_e32 v69, 0x7f800001
	s_xor_b32 exec_lo, exec_lo, s73
	s_cbranch_execnz .LBB4_3178
.LBB4_3038:                             ;   in Loop: Header=BB4_2479 Depth=4
	s_or_b32 exec_lo, exec_lo, s73
	s_and_saveexec_b32 s73, s16
	s_cbranch_execz .LBB4_3040
.LBB4_3039:                             ;   in Loop: Header=BB4_2479 Depth=4
	v_and_b32_e32 v69, 7, v21
	v_lshrrev_b16 v85, 3, v21
	v_ffbh_u32_e32 v82, v69
	v_and_b32_e32 v85, 15, v85
	v_min_u32_e32 v82, 32, v82
	v_cmp_eq_u32_e32 vcc_lo, 0, v85
	v_subrev_nc_u32_e32 v96, 28, v82
	v_sub_nc_u32_e32 v82, 29, v82
	v_lshlrev_b32_e32 v96, v96, v21
	v_lshlrev_b32_e32 v21, 24, v21
	v_cndmask_b32_e32 v82, v85, v82, vcc_lo
	v_and_b32_e32 v96, 7, v96
	v_and_b32_e32 v21, 0x80000000, v21
	v_lshl_add_u32 v82, v82, 23, 0x3b800000
	v_cndmask_b32_e32 v69, v69, v96, vcc_lo
	v_lshlrev_b32_e32 v69, 20, v69
	v_or3_b32 v69, v21, v82, v69
.LBB4_3040:                             ;   in Loop: Header=BB4_2479 Depth=4
	s_or_b32 exec_lo, exec_lo, s73
	s_waitcnt vmcnt(0) lgkmcnt(0)
	v_cmp_gt_i16_sdwa s73, v20, v117 src0_sel:BYTE_0 src1_sel:DWORD
	s_mov_b32 s16, 0
	s_and_saveexec_b32 s74, s73
	s_xor_b32 s73, exec_lo, s74
	s_cbranch_execz .LBB4_3179
; %bb.3041:                             ;   in Loop: Header=BB4_2479 Depth=4
	v_cmp_eq_u16_sdwa s75, v20, v118 src0_sel:BYTE_0 src1_sel:DWORD
	s_mov_b32 s16, -1
	s_and_saveexec_b32 s74, s75
; %bb.3042:                             ;   in Loop: Header=BB4_2479 Depth=4
	s_xor_b32 s16, exec_lo, -1
; %bb.3043:                             ;   in Loop: Header=BB4_2479 Depth=4
	s_or_b32 exec_lo, exec_lo, s74
	s_and_b32 s16, s16, exec_lo
	s_or_saveexec_b32 s73, s73
	v_mov_b32_e32 v21, 0x7f800001
	s_xor_b32 exec_lo, exec_lo, s73
	s_cbranch_execnz .LBB4_3180
.LBB4_3044:                             ;   in Loop: Header=BB4_2479 Depth=4
	s_or_b32 exec_lo, exec_lo, s73
	s_and_saveexec_b32 s73, s16
	s_cbranch_execz .LBB4_3046
.LBB4_3045:                             ;   in Loop: Header=BB4_2479 Depth=4
	v_and_b32_e32 v21, 7, v20
	v_lshrrev_b16 v85, 3, v20
	v_ffbh_u32_e32 v82, v21
	v_and_b32_e32 v85, 15, v85
	v_min_u32_e32 v82, 32, v82
	v_cmp_eq_u32_e32 vcc_lo, 0, v85
	v_subrev_nc_u32_e32 v96, 28, v82
	v_sub_nc_u32_e32 v82, 29, v82
	v_lshlrev_b32_e32 v96, v96, v20
	v_lshlrev_b32_e32 v20, 24, v20
	v_cndmask_b32_e32 v82, v85, v82, vcc_lo
	v_and_b32_e32 v96, 7, v96
	v_and_b32_e32 v20, 0x80000000, v20
	v_lshl_add_u32 v82, v82, 23, 0x3b800000
	v_cndmask_b32_e32 v21, v21, v96, vcc_lo
	v_lshlrev_b32_e32 v21, 20, v21
	v_or3_b32 v21, v20, v82, v21
.LBB4_3046:                             ;   in Loop: Header=BB4_2479 Depth=4
	s_or_b32 exec_lo, exec_lo, s73
	v_max_f32_e32 v20, v21, v21
	v_max_f32_e32 v21, v69, v69
	v_min_f32_e32 v69, v21, v20
.LBB4_3047:                             ;   in Loop: Header=BB4_2479 Depth=4
	s_waitcnt vmcnt(0) lgkmcnt(0)
	v_and_b32_e32 v20, 0x7f800000, v69
	v_cmp_ne_u32_e32 vcc_lo, 0x7f800000, v20
	v_mov_b32_e32 v20, 0x80
	s_and_saveexec_b32 s73, vcc_lo
	s_cbranch_execz .LBB4_2478
; %bb.3048:                             ;   in Loop: Header=BB4_2479 Depth=4
	v_mov_b32_e32 v20, 0
	s_mov_b32 s74, exec_lo
	v_cmpx_ne_u32_e32 0, v69
	s_cbranch_execz .LBB4_2477
; %bb.3049:                             ;   in Loop: Header=BB4_2479 Depth=4
	v_bfe_u32 v20, v69, 23, 8
	v_and_b32_e32 v21, 0x7fffff, v69
	v_sub_nc_u32_e32 v82, 0x78, v20
	v_cmp_gt_u32_e32 vcc_lo, 0x79, v20
	v_or_b32_e32 v85, 0x800000, v21
	v_cndmask_b32_e32 v82, 0, v82, vcc_lo
	v_cmp_eq_u32_e32 vcc_lo, 0, v20
	v_add_nc_u32_e32 v20, 0xffffff89, v20
	v_cndmask_b32_e64 v82, v82, 0x77, vcc_lo
	v_cndmask_b32_e32 v21, v85, v21, vcc_lo
	v_cndmask_b32_e64 v20, v20, 0xffffff8a, vcc_lo
	v_lshl_add_u32 v85, 0x100000, v82, -1
	v_lshrrev_b32_e32 v96, v82, v21
	v_lshlrev_b32_e64 v78, v82, 0x80000
	v_add_nc_u32_e32 v82, v82, v20
	v_and_b32_e32 v21, v85, v21
	v_bfe_u32 v75, v96, 20, 1
	v_cmp_eq_u32_e64 s16, v21, v78
	v_add_nc_u32_e32 v85, -1, v75
	v_cndmask_b32_e64 v21, 0, v85, s16
	v_lshrrev_b32_e32 v85, 23, v96
	s_mov_b32 s16, exec_lo
	v_add_nc_u32_e32 v21, v21, v96
	v_xor_b32_e32 v85, 1, v85
	v_and_b32_e32 v20, 0xfffff, v21
	v_add_nc_u32_e32 v21, v20, v96
                                        ; implicit-def: $vgpr20
	v_cmpx_ne_u32_e64 v82, v85
	s_xor_b32 s16, exec_lo, s16
; %bb.3050:                             ;   in Loop: Header=BB4_2479 Depth=4
	v_cmp_lt_u32_e32 vcc_lo, 0xffffff, v21
	v_sub_nc_u32_e32 v20, v82, v85
	v_cndmask_b32_e64 v82, 0, 1, vcc_lo
	v_add_co_ci_u32_e64 v20, null, 0, v20, vcc_lo
	v_lshrrev_b32_e32 v21, v82, v21
; %bb.3051:                             ;   in Loop: Header=BB4_2479 Depth=4
	s_andn2_saveexec_b32 s16, s16
	s_cbranch_execz .LBB4_2476
; %bb.3052:                             ;   in Loop: Header=BB4_2479 Depth=4
	v_bfe_u32 v20, v21, 23, 1
	s_branch .LBB4_2476
.LBB4_3053:                             ;   in Loop: Header=BB4_2479 Depth=4
	s_or_saveexec_b32 s73, s73
	v_mov_b32_e32 v107, 0x7f800001
	s_xor_b32 exec_lo, exec_lo, s73
	s_cbranch_execz .LBB4_2484
.LBB4_3054:                             ;   in Loop: Header=BB4_2479 Depth=4
	v_cmp_ne_u16_sdwa s74, v106, v2 src0_sel:BYTE_0 src1_sel:DWORD
	v_mov_b32_e32 v107, 0
	s_andn2_b32 s16, s16, exec_lo
	s_and_b32 s74, s74, exec_lo
	s_or_b32 s16, s16, s74
	s_or_b32 exec_lo, exec_lo, s73
	s_and_saveexec_b32 s73, s16
	s_cbranch_execnz .LBB4_2485
	s_branch .LBB4_2486
.LBB4_3055:                             ;   in Loop: Header=BB4_2479 Depth=4
	s_or_saveexec_b32 s73, s73
	v_mov_b32_e32 v108, 0x7f800001
	s_xor_b32 exec_lo, exec_lo, s73
	s_cbranch_execz .LBB4_2490
.LBB4_3056:                             ;   in Loop: Header=BB4_2479 Depth=4
	v_cmp_ne_u16_sdwa s74, v22, v2 src0_sel:BYTE_0 src1_sel:DWORD
	v_mov_b32_e32 v108, 0
	s_andn2_b32 s16, s16, exec_lo
	s_and_b32 s74, s74, exec_lo
	s_or_b32 s16, s16, s74
	s_or_b32 exec_lo, exec_lo, s73
	s_and_saveexec_b32 s73, s16
	s_cbranch_execnz .LBB4_2491
	s_branch .LBB4_2492
.LBB4_3057:                             ;   in Loop: Header=BB4_2479 Depth=4
	s_or_saveexec_b32 s73, s73
	v_mov_b32_e32 v107, 0x7f800001
	s_xor_b32 exec_lo, exec_lo, s73
	s_cbranch_execz .LBB4_2498
.LBB4_3058:                             ;   in Loop: Header=BB4_2479 Depth=4
	v_cmp_ne_u16_sdwa s74, v106, v2 src0_sel:BYTE_0 src1_sel:DWORD
	v_mov_b32_e32 v107, 0
	s_andn2_b32 s16, s16, exec_lo
	s_and_b32 s74, s74, exec_lo
	s_or_b32 s16, s16, s74
	s_or_b32 exec_lo, exec_lo, s73
	s_and_saveexec_b32 s73, s16
	s_cbranch_execnz .LBB4_2499
	s_branch .LBB4_2500
.LBB4_3059:                             ;   in Loop: Header=BB4_2479 Depth=4
	s_or_saveexec_b32 s73, s73
	v_mov_b32_e32 v106, 0x7f800001
	s_xor_b32 exec_lo, exec_lo, s73
	s_cbranch_execz .LBB4_2504
.LBB4_3060:                             ;   in Loop: Header=BB4_2479 Depth=4
	v_cmp_ne_u16_sdwa s74, v22, v2 src0_sel:BYTE_0 src1_sel:DWORD
	v_mov_b32_e32 v106, 0
	s_andn2_b32 s16, s16, exec_lo
	s_and_b32 s74, s74, exec_lo
	s_or_b32 s16, s16, s74
	s_or_b32 exec_lo, exec_lo, s73
	s_and_saveexec_b32 s73, s16
	s_cbranch_execnz .LBB4_2505
	s_branch .LBB4_2506
.LBB4_3061:                             ;   in Loop: Header=BB4_2479 Depth=4
	s_or_saveexec_b32 s73, s73
	v_mov_b32_e32 v106, 0x7f800001
	s_xor_b32 exec_lo, exec_lo, s73
	s_cbranch_execz .LBB4_2520
.LBB4_3062:                             ;   in Loop: Header=BB4_2479 Depth=4
	v_cmp_ne_u16_sdwa s74, v105, v2 src0_sel:BYTE_0 src1_sel:DWORD
	v_mov_b32_e32 v106, 0
	s_andn2_b32 s16, s16, exec_lo
	s_and_b32 s74, s74, exec_lo
	s_or_b32 s16, s16, s74
	s_or_b32 exec_lo, exec_lo, s73
	s_and_saveexec_b32 s73, s16
	s_cbranch_execnz .LBB4_2521
	s_branch .LBB4_2522
.LBB4_3063:                             ;   in Loop: Header=BB4_2479 Depth=4
	s_or_saveexec_b32 s73, s73
	v_mov_b32_e32 v107, 0x7f800001
	s_xor_b32 exec_lo, exec_lo, s73
	s_cbranch_execz .LBB4_2526
.LBB4_3064:                             ;   in Loop: Header=BB4_2479 Depth=4
	v_cmp_ne_u16_sdwa s74, v80, v2 src0_sel:BYTE_0 src1_sel:DWORD
	v_mov_b32_e32 v107, 0
	s_andn2_b32 s16, s16, exec_lo
	s_and_b32 s74, s74, exec_lo
	s_or_b32 s16, s16, s74
	s_or_b32 exec_lo, exec_lo, s73
	s_and_saveexec_b32 s73, s16
	s_cbranch_execnz .LBB4_2527
	s_branch .LBB4_2528
.LBB4_3065:                             ;   in Loop: Header=BB4_2479 Depth=4
	s_or_saveexec_b32 s73, s73
	v_mov_b32_e32 v106, 0x7f800001
	s_xor_b32 exec_lo, exec_lo, s73
	s_cbranch_execz .LBB4_2534
.LBB4_3066:                             ;   in Loop: Header=BB4_2479 Depth=4
	v_cmp_ne_u16_sdwa s74, v105, v2 src0_sel:BYTE_0 src1_sel:DWORD
	v_mov_b32_e32 v106, 0
	s_andn2_b32 s16, s16, exec_lo
	s_and_b32 s74, s74, exec_lo
	s_or_b32 s16, s16, s74
	s_or_b32 exec_lo, exec_lo, s73
	s_and_saveexec_b32 s73, s16
	s_cbranch_execnz .LBB4_2535
	s_branch .LBB4_2536
.LBB4_3067:                             ;   in Loop: Header=BB4_2479 Depth=4
	s_or_saveexec_b32 s73, s73
	v_mov_b32_e32 v105, 0x7f800001
	s_xor_b32 exec_lo, exec_lo, s73
	s_cbranch_execz .LBB4_2540
.LBB4_3068:                             ;   in Loop: Header=BB4_2479 Depth=4
	v_cmp_ne_u16_sdwa s74, v80, v2 src0_sel:BYTE_0 src1_sel:DWORD
	v_mov_b32_e32 v105, 0
	s_andn2_b32 s16, s16, exec_lo
	s_and_b32 s74, s74, exec_lo
	s_or_b32 s16, s16, s74
	s_or_b32 exec_lo, exec_lo, s73
	s_and_saveexec_b32 s73, s16
	s_cbranch_execnz .LBB4_2541
	s_branch .LBB4_2542
.LBB4_3069:                             ;   in Loop: Header=BB4_2479 Depth=4
	s_or_saveexec_b32 s73, s73
	v_mov_b32_e32 v105, 0x7f800001
	s_xor_b32 exec_lo, exec_lo, s73
	s_cbranch_execz .LBB4_2556
.LBB4_3070:                             ;   in Loop: Header=BB4_2479 Depth=4
	v_cmp_ne_u16_sdwa s74, v104, v2 src0_sel:BYTE_0 src1_sel:DWORD
	v_mov_b32_e32 v105, 0
	s_andn2_b32 s16, s16, exec_lo
	s_and_b32 s74, s74, exec_lo
	s_or_b32 s16, s16, s74
	s_or_b32 exec_lo, exec_lo, s73
	s_and_saveexec_b32 s73, s16
	s_cbranch_execnz .LBB4_2557
	s_branch .LBB4_2558
.LBB4_3071:                             ;   in Loop: Header=BB4_2479 Depth=4
	s_or_saveexec_b32 s73, s73
	v_mov_b32_e32 v106, 0x7f800001
	s_xor_b32 exec_lo, exec_lo, s73
	s_cbranch_execz .LBB4_2562
.LBB4_3072:                             ;   in Loop: Header=BB4_2479 Depth=4
	v_cmp_ne_u16_sdwa s74, v83, v2 src0_sel:BYTE_0 src1_sel:DWORD
	v_mov_b32_e32 v106, 0
	s_andn2_b32 s16, s16, exec_lo
	s_and_b32 s74, s74, exec_lo
	s_or_b32 s16, s16, s74
	s_or_b32 exec_lo, exec_lo, s73
	s_and_saveexec_b32 s73, s16
	s_cbranch_execnz .LBB4_2563
	s_branch .LBB4_2564
.LBB4_3073:                             ;   in Loop: Header=BB4_2479 Depth=4
	s_or_saveexec_b32 s73, s73
	v_mov_b32_e32 v105, 0x7f800001
	s_xor_b32 exec_lo, exec_lo, s73
	s_cbranch_execz .LBB4_2570
.LBB4_3074:                             ;   in Loop: Header=BB4_2479 Depth=4
	v_cmp_ne_u16_sdwa s74, v104, v2 src0_sel:BYTE_0 src1_sel:DWORD
	v_mov_b32_e32 v105, 0
	s_andn2_b32 s16, s16, exec_lo
	s_and_b32 s74, s74, exec_lo
	s_or_b32 s16, s16, s74
	s_or_b32 exec_lo, exec_lo, s73
	s_and_saveexec_b32 s73, s16
	s_cbranch_execnz .LBB4_2571
	s_branch .LBB4_2572
.LBB4_3075:                             ;   in Loop: Header=BB4_2479 Depth=4
	s_or_saveexec_b32 s73, s73
	v_mov_b32_e32 v104, 0x7f800001
	s_xor_b32 exec_lo, exec_lo, s73
	s_cbranch_execz .LBB4_2576
.LBB4_3076:                             ;   in Loop: Header=BB4_2479 Depth=4
	v_cmp_ne_u16_sdwa s74, v83, v2 src0_sel:BYTE_0 src1_sel:DWORD
	v_mov_b32_e32 v104, 0
	s_andn2_b32 s16, s16, exec_lo
	s_and_b32 s74, s74, exec_lo
	s_or_b32 s16, s16, s74
	s_or_b32 exec_lo, exec_lo, s73
	s_and_saveexec_b32 s73, s16
	s_cbranch_execnz .LBB4_2577
	s_branch .LBB4_2578
.LBB4_3077:                             ;   in Loop: Header=BB4_2479 Depth=4
	s_or_saveexec_b32 s73, s73
	v_mov_b32_e32 v104, 0x7f800001
	s_xor_b32 exec_lo, exec_lo, s73
	s_cbranch_execz .LBB4_2592
.LBB4_3078:                             ;   in Loop: Header=BB4_2479 Depth=4
	v_cmp_ne_u16_sdwa s74, v95, v2 src0_sel:BYTE_0 src1_sel:DWORD
	v_mov_b32_e32 v104, 0
	s_andn2_b32 s16, s16, exec_lo
	s_and_b32 s74, s74, exec_lo
	s_or_b32 s16, s16, s74
	s_or_b32 exec_lo, exec_lo, s73
	s_and_saveexec_b32 s73, s16
	s_cbranch_execnz .LBB4_2593
	s_branch .LBB4_2594
.LBB4_3079:                             ;   in Loop: Header=BB4_2479 Depth=4
	s_or_saveexec_b32 s73, s73
	v_mov_b32_e32 v105, 0x7f800001
	s_xor_b32 exec_lo, exec_lo, s73
	s_cbranch_execz .LBB4_2598
.LBB4_3080:                             ;   in Loop: Header=BB4_2479 Depth=4
	v_cmp_ne_u16_sdwa s74, v86, v2 src0_sel:BYTE_0 src1_sel:DWORD
	v_mov_b32_e32 v105, 0
	s_andn2_b32 s16, s16, exec_lo
	s_and_b32 s74, s74, exec_lo
	s_or_b32 s16, s16, s74
	s_or_b32 exec_lo, exec_lo, s73
	s_and_saveexec_b32 s73, s16
	s_cbranch_execnz .LBB4_2599
	s_branch .LBB4_2600
.LBB4_3081:                             ;   in Loop: Header=BB4_2479 Depth=4
	s_or_saveexec_b32 s73, s73
	v_mov_b32_e32 v104, 0x7f800001
	s_xor_b32 exec_lo, exec_lo, s73
	s_cbranch_execz .LBB4_2606
.LBB4_3082:                             ;   in Loop: Header=BB4_2479 Depth=4
	v_cmp_ne_u16_sdwa s74, v95, v2 src0_sel:BYTE_0 src1_sel:DWORD
	v_mov_b32_e32 v104, 0
	s_andn2_b32 s16, s16, exec_lo
	s_and_b32 s74, s74, exec_lo
	s_or_b32 s16, s16, s74
	s_or_b32 exec_lo, exec_lo, s73
	s_and_saveexec_b32 s73, s16
	s_cbranch_execnz .LBB4_2607
	s_branch .LBB4_2608
.LBB4_3083:                             ;   in Loop: Header=BB4_2479 Depth=4
	s_or_saveexec_b32 s73, s73
	v_mov_b32_e32 v95, 0x7f800001
	s_xor_b32 exec_lo, exec_lo, s73
	s_cbranch_execz .LBB4_2612
.LBB4_3084:                             ;   in Loop: Header=BB4_2479 Depth=4
	v_cmp_ne_u16_sdwa s74, v86, v2 src0_sel:BYTE_0 src1_sel:DWORD
	v_mov_b32_e32 v95, 0
	s_andn2_b32 s16, s16, exec_lo
	s_and_b32 s74, s74, exec_lo
	s_or_b32 s16, s16, s74
	s_or_b32 exec_lo, exec_lo, s73
	s_and_saveexec_b32 s73, s16
	s_cbranch_execnz .LBB4_2613
	s_branch .LBB4_2614
.LBB4_3085:                             ;   in Loop: Header=BB4_2479 Depth=4
	s_or_saveexec_b32 s73, s73
	v_mov_b32_e32 v95, 0x7f800001
	s_xor_b32 exec_lo, exec_lo, s73
	s_cbranch_execz .LBB4_2628
.LBB4_3086:                             ;   in Loop: Header=BB4_2479 Depth=4
	v_cmp_ne_u16_sdwa s74, v94, v2 src0_sel:BYTE_0 src1_sel:DWORD
	v_mov_b32_e32 v95, 0
	s_andn2_b32 s16, s16, exec_lo
	s_and_b32 s74, s74, exec_lo
	s_or_b32 s16, s16, s74
	s_or_b32 exec_lo, exec_lo, s73
	s_and_saveexec_b32 s73, s16
	s_cbranch_execnz .LBB4_2629
	s_branch .LBB4_2630
.LBB4_3087:                             ;   in Loop: Header=BB4_2479 Depth=4
	s_or_saveexec_b32 s73, s73
	v_mov_b32_e32 v104, 0x7f800001
	s_xor_b32 exec_lo, exec_lo, s73
	s_cbranch_execz .LBB4_2634
.LBB4_3088:                             ;   in Loop: Header=BB4_2479 Depth=4
	v_cmp_ne_u16_sdwa s74, v97, v2 src0_sel:BYTE_0 src1_sel:DWORD
	v_mov_b32_e32 v104, 0
	s_andn2_b32 s16, s16, exec_lo
	s_and_b32 s74, s74, exec_lo
	s_or_b32 s16, s16, s74
	s_or_b32 exec_lo, exec_lo, s73
	s_and_saveexec_b32 s73, s16
	s_cbranch_execnz .LBB4_2635
	s_branch .LBB4_2636
.LBB4_3089:                             ;   in Loop: Header=BB4_2479 Depth=4
	s_or_saveexec_b32 s73, s73
	v_mov_b32_e32 v95, 0x7f800001
	s_xor_b32 exec_lo, exec_lo, s73
	s_cbranch_execz .LBB4_2642
.LBB4_3090:                             ;   in Loop: Header=BB4_2479 Depth=4
	v_cmp_ne_u16_sdwa s74, v94, v2 src0_sel:BYTE_0 src1_sel:DWORD
	v_mov_b32_e32 v95, 0
	s_andn2_b32 s16, s16, exec_lo
	s_and_b32 s74, s74, exec_lo
	s_or_b32 s16, s16, s74
	s_or_b32 exec_lo, exec_lo, s73
	s_and_saveexec_b32 s73, s16
	s_cbranch_execnz .LBB4_2643
	s_branch .LBB4_2644
.LBB4_3091:                             ;   in Loop: Header=BB4_2479 Depth=4
	s_or_saveexec_b32 s73, s73
	v_mov_b32_e32 v94, 0x7f800001
	s_xor_b32 exec_lo, exec_lo, s73
	s_cbranch_execz .LBB4_2648
.LBB4_3092:                             ;   in Loop: Header=BB4_2479 Depth=4
	v_cmp_ne_u16_sdwa s74, v97, v2 src0_sel:BYTE_0 src1_sel:DWORD
	v_mov_b32_e32 v94, 0
	s_andn2_b32 s16, s16, exec_lo
	s_and_b32 s74, s74, exec_lo
	s_or_b32 s16, s16, s74
	s_or_b32 exec_lo, exec_lo, s73
	s_and_saveexec_b32 s73, s16
	s_cbranch_execnz .LBB4_2649
	s_branch .LBB4_2650
.LBB4_3093:                             ;   in Loop: Header=BB4_2479 Depth=4
	s_or_saveexec_b32 s73, s73
	v_mov_b32_e32 v94, 0x7f800001
	s_xor_b32 exec_lo, exec_lo, s73
	s_cbranch_execz .LBB4_2664
.LBB4_3094:                             ;   in Loop: Header=BB4_2479 Depth=4
	v_cmp_ne_u16_sdwa s74, v93, v2 src0_sel:BYTE_0 src1_sel:DWORD
	v_mov_b32_e32 v94, 0
	s_andn2_b32 s16, s16, exec_lo
	s_and_b32 s74, s74, exec_lo
	s_or_b32 s16, s16, s74
	s_or_b32 exec_lo, exec_lo, s73
	s_and_saveexec_b32 s73, s16
	s_cbranch_execnz .LBB4_2665
	s_branch .LBB4_2666
.LBB4_3095:                             ;   in Loop: Header=BB4_2479 Depth=4
	s_or_saveexec_b32 s73, s73
	v_mov_b32_e32 v95, 0x7f800001
	s_xor_b32 exec_lo, exec_lo, s73
	s_cbranch_execz .LBB4_2670
.LBB4_3096:                             ;   in Loop: Header=BB4_2479 Depth=4
	v_cmp_ne_u16_sdwa s74, v76, v2 src0_sel:BYTE_0 src1_sel:DWORD
	v_mov_b32_e32 v95, 0
	s_andn2_b32 s16, s16, exec_lo
	s_and_b32 s74, s74, exec_lo
	s_or_b32 s16, s16, s74
	s_or_b32 exec_lo, exec_lo, s73
	s_and_saveexec_b32 s73, s16
	s_cbranch_execnz .LBB4_2671
	s_branch .LBB4_2672
.LBB4_3097:                             ;   in Loop: Header=BB4_2479 Depth=4
	s_or_saveexec_b32 s73, s73
	v_mov_b32_e32 v94, 0x7f800001
	s_xor_b32 exec_lo, exec_lo, s73
	s_cbranch_execz .LBB4_2678
.LBB4_3098:                             ;   in Loop: Header=BB4_2479 Depth=4
	v_cmp_ne_u16_sdwa s74, v93, v2 src0_sel:BYTE_0 src1_sel:DWORD
	v_mov_b32_e32 v94, 0
	s_andn2_b32 s16, s16, exec_lo
	s_and_b32 s74, s74, exec_lo
	s_or_b32 s16, s16, s74
	s_or_b32 exec_lo, exec_lo, s73
	s_and_saveexec_b32 s73, s16
	s_cbranch_execnz .LBB4_2679
	s_branch .LBB4_2680
.LBB4_3099:                             ;   in Loop: Header=BB4_2479 Depth=4
	s_or_saveexec_b32 s73, s73
	v_mov_b32_e32 v93, 0x7f800001
	s_xor_b32 exec_lo, exec_lo, s73
	s_cbranch_execz .LBB4_2684
.LBB4_3100:                             ;   in Loop: Header=BB4_2479 Depth=4
	v_cmp_ne_u16_sdwa s74, v76, v2 src0_sel:BYTE_0 src1_sel:DWORD
	v_mov_b32_e32 v93, 0
	s_andn2_b32 s16, s16, exec_lo
	s_and_b32 s74, s74, exec_lo
	s_or_b32 s16, s16, s74
	s_or_b32 exec_lo, exec_lo, s73
	s_and_saveexec_b32 s73, s16
	s_cbranch_execnz .LBB4_2685
	s_branch .LBB4_2686
.LBB4_3101:                             ;   in Loop: Header=BB4_2479 Depth=4
	s_or_saveexec_b32 s73, s73
	v_mov_b32_e32 v93, 0x7f800001
	s_xor_b32 exec_lo, exec_lo, s73
	s_cbranch_execz .LBB4_2700
.LBB4_3102:                             ;   in Loop: Header=BB4_2479 Depth=4
	v_cmp_ne_u16_sdwa s74, v92, v2 src0_sel:BYTE_0 src1_sel:DWORD
	v_mov_b32_e32 v93, 0
	s_andn2_b32 s16, s16, exec_lo
	s_and_b32 s74, s74, exec_lo
	s_or_b32 s16, s16, s74
	s_or_b32 exec_lo, exec_lo, s73
	s_and_saveexec_b32 s73, s16
	s_cbranch_execnz .LBB4_2701
	s_branch .LBB4_2702
.LBB4_3103:                             ;   in Loop: Header=BB4_2479 Depth=4
	s_or_saveexec_b32 s73, s73
	v_mov_b32_e32 v94, 0x7f800001
	s_xor_b32 exec_lo, exec_lo, s73
	s_cbranch_execz .LBB4_2706
.LBB4_3104:                             ;   in Loop: Header=BB4_2479 Depth=4
	v_cmp_ne_u16_sdwa s74, v79, v2 src0_sel:BYTE_0 src1_sel:DWORD
	v_mov_b32_e32 v94, 0
	s_andn2_b32 s16, s16, exec_lo
	s_and_b32 s74, s74, exec_lo
	s_or_b32 s16, s16, s74
	s_or_b32 exec_lo, exec_lo, s73
	s_and_saveexec_b32 s73, s16
	s_cbranch_execnz .LBB4_2707
	s_branch .LBB4_2708
.LBB4_3105:                             ;   in Loop: Header=BB4_2479 Depth=4
	s_or_saveexec_b32 s73, s73
	v_mov_b32_e32 v93, 0x7f800001
	s_xor_b32 exec_lo, exec_lo, s73
	s_cbranch_execz .LBB4_2714
.LBB4_3106:                             ;   in Loop: Header=BB4_2479 Depth=4
	v_cmp_ne_u16_sdwa s74, v92, v2 src0_sel:BYTE_0 src1_sel:DWORD
	v_mov_b32_e32 v93, 0
	s_andn2_b32 s16, s16, exec_lo
	s_and_b32 s74, s74, exec_lo
	s_or_b32 s16, s16, s74
	s_or_b32 exec_lo, exec_lo, s73
	s_and_saveexec_b32 s73, s16
	s_cbranch_execnz .LBB4_2715
	s_branch .LBB4_2716
.LBB4_3107:                             ;   in Loop: Header=BB4_2479 Depth=4
	s_or_saveexec_b32 s73, s73
	v_mov_b32_e32 v92, 0x7f800001
	s_xor_b32 exec_lo, exec_lo, s73
	s_cbranch_execz .LBB4_2720
.LBB4_3108:                             ;   in Loop: Header=BB4_2479 Depth=4
	v_cmp_ne_u16_sdwa s74, v79, v2 src0_sel:BYTE_0 src1_sel:DWORD
	v_mov_b32_e32 v92, 0
	s_andn2_b32 s16, s16, exec_lo
	s_and_b32 s74, s74, exec_lo
	s_or_b32 s16, s16, s74
	s_or_b32 exec_lo, exec_lo, s73
	s_and_saveexec_b32 s73, s16
	s_cbranch_execnz .LBB4_2721
	s_branch .LBB4_2722
.LBB4_3109:                             ;   in Loop: Header=BB4_2479 Depth=4
	s_or_saveexec_b32 s73, s73
	v_mov_b32_e32 v92, 0x7f800001
	s_xor_b32 exec_lo, exec_lo, s73
	s_cbranch_execz .LBB4_2736
.LBB4_3110:                             ;   in Loop: Header=BB4_2479 Depth=4
	v_cmp_ne_u16_sdwa s74, v91, v2 src0_sel:BYTE_0 src1_sel:DWORD
	v_mov_b32_e32 v92, 0
	s_andn2_b32 s16, s16, exec_lo
	s_and_b32 s74, s74, exec_lo
	s_or_b32 s16, s16, s74
	s_or_b32 exec_lo, exec_lo, s73
	s_and_saveexec_b32 s73, s16
	s_cbranch_execnz .LBB4_2737
	s_branch .LBB4_2738
.LBB4_3111:                             ;   in Loop: Header=BB4_2479 Depth=4
	s_or_saveexec_b32 s73, s73
	v_mov_b32_e32 v93, 0x7f800001
	s_xor_b32 exec_lo, exec_lo, s73
	s_cbranch_execz .LBB4_2742
.LBB4_3112:                             ;   in Loop: Header=BB4_2479 Depth=4
	v_cmp_ne_u16_sdwa s74, v90, v2 src0_sel:BYTE_0 src1_sel:DWORD
	v_mov_b32_e32 v93, 0
	s_andn2_b32 s16, s16, exec_lo
	s_and_b32 s74, s74, exec_lo
	s_or_b32 s16, s16, s74
	s_or_b32 exec_lo, exec_lo, s73
	s_and_saveexec_b32 s73, s16
	s_cbranch_execnz .LBB4_2743
	s_branch .LBB4_2744
.LBB4_3113:                             ;   in Loop: Header=BB4_2479 Depth=4
	s_or_saveexec_b32 s73, s73
	v_mov_b32_e32 v92, 0x7f800001
	s_xor_b32 exec_lo, exec_lo, s73
	s_cbranch_execz .LBB4_2750
.LBB4_3114:                             ;   in Loop: Header=BB4_2479 Depth=4
	v_cmp_ne_u16_sdwa s74, v91, v2 src0_sel:BYTE_0 src1_sel:DWORD
	v_mov_b32_e32 v92, 0
	s_andn2_b32 s16, s16, exec_lo
	s_and_b32 s74, s74, exec_lo
	s_or_b32 s16, s16, s74
	s_or_b32 exec_lo, exec_lo, s73
	s_and_saveexec_b32 s73, s16
	s_cbranch_execnz .LBB4_2751
	s_branch .LBB4_2752
.LBB4_3115:                             ;   in Loop: Header=BB4_2479 Depth=4
	s_or_saveexec_b32 s73, s73
	v_mov_b32_e32 v91, 0x7f800001
	s_xor_b32 exec_lo, exec_lo, s73
	s_cbranch_execz .LBB4_2756
.LBB4_3116:                             ;   in Loop: Header=BB4_2479 Depth=4
	v_cmp_ne_u16_sdwa s74, v90, v2 src0_sel:BYTE_0 src1_sel:DWORD
	v_mov_b32_e32 v91, 0
	s_andn2_b32 s16, s16, exec_lo
	s_and_b32 s74, s74, exec_lo
	s_or_b32 s16, s16, s74
	s_or_b32 exec_lo, exec_lo, s73
	s_and_saveexec_b32 s73, s16
	s_cbranch_execnz .LBB4_2757
	s_branch .LBB4_2758
.LBB4_3117:                             ;   in Loop: Header=BB4_2479 Depth=4
	s_or_saveexec_b32 s73, s73
	v_mov_b32_e32 v91, 0x7f800001
	s_xor_b32 exec_lo, exec_lo, s73
	s_cbranch_execz .LBB4_2772
.LBB4_3118:                             ;   in Loop: Header=BB4_2479 Depth=4
	v_cmp_ne_u16_sdwa s74, v89, v2 src0_sel:BYTE_0 src1_sel:DWORD
	v_mov_b32_e32 v91, 0
	s_andn2_b32 s16, s16, exec_lo
	s_and_b32 s74, s74, exec_lo
	s_or_b32 s16, s16, s74
	s_or_b32 exec_lo, exec_lo, s73
	s_and_saveexec_b32 s73, s16
	s_cbranch_execnz .LBB4_2773
	s_branch .LBB4_2774
.LBB4_3119:                             ;   in Loop: Header=BB4_2479 Depth=4
	s_or_saveexec_b32 s73, s73
	v_mov_b32_e32 v92, 0x7f800001
	s_xor_b32 exec_lo, exec_lo, s73
	s_cbranch_execz .LBB4_2778
.LBB4_3120:                             ;   in Loop: Header=BB4_2479 Depth=4
	v_cmp_ne_u16_sdwa s74, v88, v2 src0_sel:BYTE_0 src1_sel:DWORD
	v_mov_b32_e32 v92, 0
	s_andn2_b32 s16, s16, exec_lo
	s_and_b32 s74, s74, exec_lo
	s_or_b32 s16, s16, s74
	s_or_b32 exec_lo, exec_lo, s73
	s_and_saveexec_b32 s73, s16
	s_cbranch_execnz .LBB4_2779
	s_branch .LBB4_2780
.LBB4_3121:                             ;   in Loop: Header=BB4_2479 Depth=4
	s_or_saveexec_b32 s73, s73
	v_mov_b32_e32 v91, 0x7f800001
	s_xor_b32 exec_lo, exec_lo, s73
	s_cbranch_execz .LBB4_2786
.LBB4_3122:                             ;   in Loop: Header=BB4_2479 Depth=4
	v_cmp_ne_u16_sdwa s74, v89, v2 src0_sel:BYTE_0 src1_sel:DWORD
	v_mov_b32_e32 v91, 0
	s_andn2_b32 s16, s16, exec_lo
	s_and_b32 s74, s74, exec_lo
	s_or_b32 s16, s16, s74
	s_or_b32 exec_lo, exec_lo, s73
	s_and_saveexec_b32 s73, s16
	s_cbranch_execnz .LBB4_2787
	s_branch .LBB4_2788
.LBB4_3123:                             ;   in Loop: Header=BB4_2479 Depth=4
	s_or_saveexec_b32 s73, s73
	v_mov_b32_e32 v89, 0x7f800001
	s_xor_b32 exec_lo, exec_lo, s73
	s_cbranch_execz .LBB4_2792
.LBB4_3124:                             ;   in Loop: Header=BB4_2479 Depth=4
	v_cmp_ne_u16_sdwa s74, v88, v2 src0_sel:BYTE_0 src1_sel:DWORD
	v_mov_b32_e32 v89, 0
	s_andn2_b32 s16, s16, exec_lo
	s_and_b32 s74, s74, exec_lo
	s_or_b32 s16, s16, s74
	s_or_b32 exec_lo, exec_lo, s73
	s_and_saveexec_b32 s73, s16
	s_cbranch_execnz .LBB4_2793
	s_branch .LBB4_2794
.LBB4_3125:                             ;   in Loop: Header=BB4_2479 Depth=4
	s_or_saveexec_b32 s73, s73
	v_mov_b32_e32 v89, 0x7f800001
	s_xor_b32 exec_lo, exec_lo, s73
	s_cbranch_execz .LBB4_2808
.LBB4_3126:                             ;   in Loop: Header=BB4_2479 Depth=4
	v_cmp_ne_u16_sdwa s74, v78, v2 src0_sel:BYTE_0 src1_sel:DWORD
	v_mov_b32_e32 v89, 0
	s_andn2_b32 s16, s16, exec_lo
	s_and_b32 s74, s74, exec_lo
	s_or_b32 s16, s16, s74
	s_or_b32 exec_lo, exec_lo, s73
	s_and_saveexec_b32 s73, s16
	s_cbranch_execnz .LBB4_2809
	s_branch .LBB4_2810
.LBB4_3127:                             ;   in Loop: Header=BB4_2479 Depth=4
	s_or_saveexec_b32 s73, s73
	v_mov_b32_e32 v91, 0x7f800001
	s_xor_b32 exec_lo, exec_lo, s73
	s_cbranch_execz .LBB4_2814
.LBB4_3128:                             ;   in Loop: Header=BB4_2479 Depth=4
	v_cmp_ne_u16_sdwa s74, v77, v2 src0_sel:BYTE_0 src1_sel:DWORD
	v_mov_b32_e32 v91, 0
	s_andn2_b32 s16, s16, exec_lo
	s_and_b32 s74, s74, exec_lo
	s_or_b32 s16, s16, s74
	s_or_b32 exec_lo, exec_lo, s73
	s_and_saveexec_b32 s73, s16
	s_cbranch_execnz .LBB4_2815
	s_branch .LBB4_2816
.LBB4_3129:                             ;   in Loop: Header=BB4_2479 Depth=4
	s_or_saveexec_b32 s73, s73
	v_mov_b32_e32 v89, 0x7f800001
	s_xor_b32 exec_lo, exec_lo, s73
	s_cbranch_execz .LBB4_2822
.LBB4_3130:                             ;   in Loop: Header=BB4_2479 Depth=4
	v_cmp_ne_u16_sdwa s74, v78, v2 src0_sel:BYTE_0 src1_sel:DWORD
	v_mov_b32_e32 v89, 0
	s_andn2_b32 s16, s16, exec_lo
	s_and_b32 s74, s74, exec_lo
	s_or_b32 s16, s16, s74
	s_or_b32 exec_lo, exec_lo, s73
	s_and_saveexec_b32 s73, s16
	s_cbranch_execnz .LBB4_2823
	s_branch .LBB4_2824
.LBB4_3131:                             ;   in Loop: Header=BB4_2479 Depth=4
	s_or_saveexec_b32 s73, s73
	v_mov_b32_e32 v78, 0x7f800001
	s_xor_b32 exec_lo, exec_lo, s73
	s_cbranch_execz .LBB4_2828
.LBB4_3132:                             ;   in Loop: Header=BB4_2479 Depth=4
	v_cmp_ne_u16_sdwa s74, v77, v2 src0_sel:BYTE_0 src1_sel:DWORD
	v_mov_b32_e32 v78, 0
	s_andn2_b32 s16, s16, exec_lo
	s_and_b32 s74, s74, exec_lo
	s_or_b32 s16, s16, s74
	s_or_b32 exec_lo, exec_lo, s73
	s_and_saveexec_b32 s73, s16
	s_cbranch_execnz .LBB4_2829
	s_branch .LBB4_2830
.LBB4_3133:                             ;   in Loop: Header=BB4_2479 Depth=4
	s_or_saveexec_b32 s73, s73
	v_mov_b32_e32 v78, 0x7f800001
	s_xor_b32 exec_lo, exec_lo, s73
	s_cbranch_execz .LBB4_2844
.LBB4_3134:                             ;   in Loop: Header=BB4_2479 Depth=4
	v_cmp_ne_u16_sdwa s74, v75, v2 src0_sel:BYTE_0 src1_sel:DWORD
	v_mov_b32_e32 v78, 0
	s_andn2_b32 s16, s16, exec_lo
	s_and_b32 s74, s74, exec_lo
	s_or_b32 s16, s16, s74
	s_or_b32 exec_lo, exec_lo, s73
	s_and_saveexec_b32 s73, s16
	s_cbranch_execnz .LBB4_2845
	s_branch .LBB4_2846
.LBB4_3135:                             ;   in Loop: Header=BB4_2479 Depth=4
	s_or_saveexec_b32 s73, s73
	v_mov_b32_e32 v89, 0x7f800001
	s_xor_b32 exec_lo, exec_lo, s73
	s_cbranch_execz .LBB4_2850
.LBB4_3136:                             ;   in Loop: Header=BB4_2479 Depth=4
	v_cmp_ne_u16_sdwa s74, v74, v2 src0_sel:BYTE_0 src1_sel:DWORD
	v_mov_b32_e32 v89, 0
	s_andn2_b32 s16, s16, exec_lo
	s_and_b32 s74, s74, exec_lo
	s_or_b32 s16, s16, s74
	s_or_b32 exec_lo, exec_lo, s73
	s_and_saveexec_b32 s73, s16
	s_cbranch_execnz .LBB4_2851
	s_branch .LBB4_2852
.LBB4_3137:                             ;   in Loop: Header=BB4_2479 Depth=4
	s_or_saveexec_b32 s73, s73
	v_mov_b32_e32 v78, 0x7f800001
	s_xor_b32 exec_lo, exec_lo, s73
	s_cbranch_execz .LBB4_2858
.LBB4_3138:                             ;   in Loop: Header=BB4_2479 Depth=4
	v_cmp_ne_u16_sdwa s74, v75, v2 src0_sel:BYTE_0 src1_sel:DWORD
	v_mov_b32_e32 v78, 0
	s_andn2_b32 s16, s16, exec_lo
	s_and_b32 s74, s74, exec_lo
	s_or_b32 s16, s16, s74
	s_or_b32 exec_lo, exec_lo, s73
	s_and_saveexec_b32 s73, s16
	s_cbranch_execnz .LBB4_2859
	s_branch .LBB4_2860
.LBB4_3139:                             ;   in Loop: Header=BB4_2479 Depth=4
	s_or_saveexec_b32 s73, s73
	v_mov_b32_e32 v75, 0x7f800001
	s_xor_b32 exec_lo, exec_lo, s73
	s_cbranch_execz .LBB4_2864
.LBB4_3140:                             ;   in Loop: Header=BB4_2479 Depth=4
	v_cmp_ne_u16_sdwa s74, v74, v2 src0_sel:BYTE_0 src1_sel:DWORD
	v_mov_b32_e32 v75, 0
	s_andn2_b32 s16, s16, exec_lo
	s_and_b32 s74, s74, exec_lo
	s_or_b32 s16, s16, s74
	s_or_b32 exec_lo, exec_lo, s73
	s_and_saveexec_b32 s73, s16
	s_cbranch_execnz .LBB4_2865
	s_branch .LBB4_2866
.LBB4_3141:                             ;   in Loop: Header=BB4_2479 Depth=4
	s_or_saveexec_b32 s73, s73
	v_mov_b32_e32 v75, 0x7f800001
	s_xor_b32 exec_lo, exec_lo, s73
	s_cbranch_execz .LBB4_2880
.LBB4_3142:                             ;   in Loop: Header=BB4_2479 Depth=4
	v_cmp_ne_u16_sdwa s74, v96, v2 src0_sel:BYTE_0 src1_sel:DWORD
	v_mov_b32_e32 v75, 0
	s_andn2_b32 s16, s16, exec_lo
	s_and_b32 s74, s74, exec_lo
	s_or_b32 s16, s16, s74
	s_or_b32 exec_lo, exec_lo, s73
	s_and_saveexec_b32 s73, s16
	s_cbranch_execnz .LBB4_2881
	s_branch .LBB4_2882
.LBB4_3143:                             ;   in Loop: Header=BB4_2479 Depth=4
	s_or_saveexec_b32 s73, s73
	v_mov_b32_e32 v78, 0x7f800001
	s_xor_b32 exec_lo, exec_lo, s73
	s_cbranch_execz .LBB4_2886
.LBB4_3144:                             ;   in Loop: Header=BB4_2479 Depth=4
	v_cmp_ne_u16_sdwa s74, v87, v2 src0_sel:BYTE_0 src1_sel:DWORD
	v_mov_b32_e32 v78, 0
	s_andn2_b32 s16, s16, exec_lo
	s_and_b32 s74, s74, exec_lo
	s_or_b32 s16, s16, s74
	s_or_b32 exec_lo, exec_lo, s73
	s_and_saveexec_b32 s73, s16
	s_cbranch_execnz .LBB4_2887
	s_branch .LBB4_2888
.LBB4_3145:                             ;   in Loop: Header=BB4_2479 Depth=4
	s_or_saveexec_b32 s73, s73
	v_mov_b32_e32 v75, 0x7f800001
	s_xor_b32 exec_lo, exec_lo, s73
	s_cbranch_execz .LBB4_2894
.LBB4_3146:                             ;   in Loop: Header=BB4_2479 Depth=4
	v_cmp_ne_u16_sdwa s74, v96, v2 src0_sel:BYTE_0 src1_sel:DWORD
	v_mov_b32_e32 v75, 0
	s_andn2_b32 s16, s16, exec_lo
	s_and_b32 s74, s74, exec_lo
	s_or_b32 s16, s16, s74
	s_or_b32 exec_lo, exec_lo, s73
	s_and_saveexec_b32 s73, s16
	s_cbranch_execnz .LBB4_2895
	s_branch .LBB4_2896
.LBB4_3147:                             ;   in Loop: Header=BB4_2479 Depth=4
	s_or_saveexec_b32 s73, s73
	v_mov_b32_e32 v96, 0x7f800001
	s_xor_b32 exec_lo, exec_lo, s73
	s_cbranch_execz .LBB4_2900
.LBB4_3148:                             ;   in Loop: Header=BB4_2479 Depth=4
	v_cmp_ne_u16_sdwa s74, v87, v2 src0_sel:BYTE_0 src1_sel:DWORD
	v_mov_b32_e32 v96, 0
	s_andn2_b32 s16, s16, exec_lo
	s_and_b32 s74, s74, exec_lo
	s_or_b32 s16, s16, s74
	s_or_b32 exec_lo, exec_lo, s73
	s_and_saveexec_b32 s73, s16
	s_cbranch_execnz .LBB4_2901
	s_branch .LBB4_2902
.LBB4_3149:                             ;   in Loop: Header=BB4_2479 Depth=4
	s_or_saveexec_b32 s73, s73
	v_mov_b32_e32 v96, 0x7f800001
	s_xor_b32 exec_lo, exec_lo, s73
	s_cbranch_execz .LBB4_2916
.LBB4_3150:                             ;   in Loop: Header=BB4_2479 Depth=4
	v_cmp_ne_u16_sdwa s74, v85, v2 src0_sel:BYTE_0 src1_sel:DWORD
	v_mov_b32_e32 v96, 0
	s_andn2_b32 s16, s16, exec_lo
	s_and_b32 s74, s74, exec_lo
	s_or_b32 s16, s16, s74
	s_or_b32 exec_lo, exec_lo, s73
	s_and_saveexec_b32 s73, s16
	s_cbranch_execnz .LBB4_2917
	s_branch .LBB4_2918
.LBB4_3151:                             ;   in Loop: Header=BB4_2479 Depth=4
	s_or_saveexec_b32 s73, s73
	v_mov_b32_e32 v75, 0x7f800001
	s_xor_b32 exec_lo, exec_lo, s73
	s_cbranch_execz .LBB4_2922
.LBB4_3152:                             ;   in Loop: Header=BB4_2479 Depth=4
	v_cmp_ne_u16_sdwa s74, v84, v2 src0_sel:BYTE_0 src1_sel:DWORD
	v_mov_b32_e32 v75, 0
	s_andn2_b32 s16, s16, exec_lo
	s_and_b32 s74, s74, exec_lo
	s_or_b32 s16, s16, s74
	s_or_b32 exec_lo, exec_lo, s73
	s_and_saveexec_b32 s73, s16
	s_cbranch_execnz .LBB4_2923
	s_branch .LBB4_2924
.LBB4_3153:                             ;   in Loop: Header=BB4_2479 Depth=4
	s_or_saveexec_b32 s73, s73
	v_mov_b32_e32 v96, 0x7f800001
	s_xor_b32 exec_lo, exec_lo, s73
	s_cbranch_execz .LBB4_2930
.LBB4_3154:                             ;   in Loop: Header=BB4_2479 Depth=4
	v_cmp_ne_u16_sdwa s74, v85, v2 src0_sel:BYTE_0 src1_sel:DWORD
	v_mov_b32_e32 v96, 0
	s_andn2_b32 s16, s16, exec_lo
	s_and_b32 s74, s74, exec_lo
	s_or_b32 s16, s16, s74
	s_or_b32 exec_lo, exec_lo, s73
	s_and_saveexec_b32 s73, s16
	s_cbranch_execnz .LBB4_2931
	s_branch .LBB4_2932
.LBB4_3155:                             ;   in Loop: Header=BB4_2479 Depth=4
	s_or_saveexec_b32 s73, s73
	v_mov_b32_e32 v85, 0x7f800001
	s_xor_b32 exec_lo, exec_lo, s73
	s_cbranch_execz .LBB4_2936
.LBB4_3156:                             ;   in Loop: Header=BB4_2479 Depth=4
	v_cmp_ne_u16_sdwa s74, v84, v2 src0_sel:BYTE_0 src1_sel:DWORD
	v_mov_b32_e32 v85, 0
	s_andn2_b32 s16, s16, exec_lo
	s_and_b32 s74, s74, exec_lo
	s_or_b32 s16, s16, s74
	s_or_b32 exec_lo, exec_lo, s73
	s_and_saveexec_b32 s73, s16
	s_cbranch_execnz .LBB4_2937
	s_branch .LBB4_2938
.LBB4_3157:                             ;   in Loop: Header=BB4_2479 Depth=4
	s_or_saveexec_b32 s73, s73
	v_mov_b32_e32 v85, 0x7f800001
	s_xor_b32 exec_lo, exec_lo, s73
	s_cbranch_execz .LBB4_2952
.LBB4_3158:                             ;   in Loop: Header=BB4_2479 Depth=4
	v_cmp_ne_u16_sdwa s74, v82, v2 src0_sel:BYTE_0 src1_sel:DWORD
	v_mov_b32_e32 v85, 0
	s_andn2_b32 s16, s16, exec_lo
	s_and_b32 s74, s74, exec_lo
	s_or_b32 s16, s16, s74
	s_or_b32 exec_lo, exec_lo, s73
	s_and_saveexec_b32 s73, s16
	s_cbranch_execnz .LBB4_2953
	s_branch .LBB4_2954
.LBB4_3159:                             ;   in Loop: Header=BB4_2479 Depth=4
	s_or_saveexec_b32 s73, s73
	v_mov_b32_e32 v96, 0x7f800001
	s_xor_b32 exec_lo, exec_lo, s73
	s_cbranch_execz .LBB4_2958
.LBB4_3160:                             ;   in Loop: Header=BB4_2479 Depth=4
	v_cmp_ne_u16_sdwa s74, v81, v2 src0_sel:BYTE_0 src1_sel:DWORD
	v_mov_b32_e32 v96, 0
	s_andn2_b32 s16, s16, exec_lo
	s_and_b32 s74, s74, exec_lo
	s_or_b32 s16, s16, s74
	s_or_b32 exec_lo, exec_lo, s73
	s_and_saveexec_b32 s73, s16
	s_cbranch_execnz .LBB4_2959
	s_branch .LBB4_2960
.LBB4_3161:                             ;   in Loop: Header=BB4_2479 Depth=4
	s_or_saveexec_b32 s73, s73
	v_mov_b32_e32 v85, 0x7f800001
	s_xor_b32 exec_lo, exec_lo, s73
	s_cbranch_execz .LBB4_2966
.LBB4_3162:                             ;   in Loop: Header=BB4_2479 Depth=4
	v_cmp_ne_u16_sdwa s74, v82, v2 src0_sel:BYTE_0 src1_sel:DWORD
	v_mov_b32_e32 v85, 0
	s_andn2_b32 s16, s16, exec_lo
	s_and_b32 s74, s74, exec_lo
	s_or_b32 s16, s16, s74
	s_or_b32 exec_lo, exec_lo, s73
	s_and_saveexec_b32 s73, s16
	s_cbranch_execnz .LBB4_2967
	s_branch .LBB4_2968
.LBB4_3163:                             ;   in Loop: Header=BB4_2479 Depth=4
	s_or_saveexec_b32 s73, s73
	v_mov_b32_e32 v82, 0x7f800001
	s_xor_b32 exec_lo, exec_lo, s73
	s_cbranch_execz .LBB4_2972
.LBB4_3164:                             ;   in Loop: Header=BB4_2479 Depth=4
	v_cmp_ne_u16_sdwa s74, v81, v2 src0_sel:BYTE_0 src1_sel:DWORD
	v_mov_b32_e32 v82, 0
	s_andn2_b32 s16, s16, exec_lo
	s_and_b32 s74, s74, exec_lo
	s_or_b32 s16, s16, s74
	s_or_b32 exec_lo, exec_lo, s73
	s_and_saveexec_b32 s73, s16
	s_cbranch_execnz .LBB4_2973
	s_branch .LBB4_2974
.LBB4_3165:                             ;   in Loop: Header=BB4_2479 Depth=4
	s_or_saveexec_b32 s73, s73
	v_mov_b32_e32 v82, 0x7f800001
	s_xor_b32 exec_lo, exec_lo, s73
	s_cbranch_execz .LBB4_2988
.LBB4_3166:                             ;   in Loop: Header=BB4_2479 Depth=4
	v_cmp_ne_u16_sdwa s74, v69, v2 src0_sel:BYTE_0 src1_sel:DWORD
	v_mov_b32_e32 v82, 0
	s_andn2_b32 s16, s16, exec_lo
	s_and_b32 s74, s74, exec_lo
	s_or_b32 s16, s16, s74
	s_or_b32 exec_lo, exec_lo, s73
	s_and_saveexec_b32 s73, s16
	s_cbranch_execnz .LBB4_2989
	s_branch .LBB4_2990
.LBB4_3167:                             ;   in Loop: Header=BB4_2479 Depth=4
	s_or_saveexec_b32 s73, s73
	v_mov_b32_e32 v85, 0x7f800001
	s_xor_b32 exec_lo, exec_lo, s73
	s_cbranch_execz .LBB4_2994
.LBB4_3168:                             ;   in Loop: Header=BB4_2479 Depth=4
	v_cmp_ne_u16_sdwa s74, v23, v2 src0_sel:BYTE_0 src1_sel:DWORD
	v_mov_b32_e32 v85, 0
	s_andn2_b32 s16, s16, exec_lo
	s_and_b32 s74, s74, exec_lo
	s_or_b32 s16, s16, s74
	s_or_b32 exec_lo, exec_lo, s73
	s_and_saveexec_b32 s73, s16
	s_cbranch_execnz .LBB4_2995
	s_branch .LBB4_2996
.LBB4_3169:                             ;   in Loop: Header=BB4_2479 Depth=4
	s_or_saveexec_b32 s73, s73
	v_mov_b32_e32 v82, 0x7f800001
	s_xor_b32 exec_lo, exec_lo, s73
	s_cbranch_execz .LBB4_3002
.LBB4_3170:                             ;   in Loop: Header=BB4_2479 Depth=4
	v_cmp_ne_u16_sdwa s74, v69, v2 src0_sel:BYTE_0 src1_sel:DWORD
	v_mov_b32_e32 v82, 0
	s_andn2_b32 s16, s16, exec_lo
	s_and_b32 s74, s74, exec_lo
	s_or_b32 s16, s16, s74
	s_or_b32 exec_lo, exec_lo, s73
	s_and_saveexec_b32 s73, s16
	s_cbranch_execnz .LBB4_3003
	s_branch .LBB4_3004
.LBB4_3171:                             ;   in Loop: Header=BB4_2479 Depth=4
	s_or_saveexec_b32 s73, s73
	v_mov_b32_e32 v69, 0x7f800001
	s_xor_b32 exec_lo, exec_lo, s73
	s_cbranch_execz .LBB4_3008
.LBB4_3172:                             ;   in Loop: Header=BB4_2479 Depth=4
	v_cmp_ne_u16_sdwa s74, v23, v2 src0_sel:BYTE_0 src1_sel:DWORD
	v_mov_b32_e32 v69, 0
	s_andn2_b32 s16, s16, exec_lo
	s_and_b32 s74, s74, exec_lo
	s_or_b32 s16, s16, s74
	s_or_b32 exec_lo, exec_lo, s73
	s_and_saveexec_b32 s73, s16
	s_cbranch_execnz .LBB4_3009
	s_branch .LBB4_3010
.LBB4_3173:                             ;   in Loop: Header=BB4_2479 Depth=4
	s_or_saveexec_b32 s73, s73
	v_mov_b32_e32 v69, 0x7f800001
	s_xor_b32 exec_lo, exec_lo, s73
	s_cbranch_execz .LBB4_3024
.LBB4_3174:                             ;   in Loop: Header=BB4_2479 Depth=4
	v_cmp_ne_u16_sdwa s74, v21, v2 src0_sel:BYTE_0 src1_sel:DWORD
	v_mov_b32_e32 v69, 0
	s_andn2_b32 s16, s16, exec_lo
	s_and_b32 s74, s74, exec_lo
	s_or_b32 s16, s16, s74
	s_or_b32 exec_lo, exec_lo, s73
	s_and_saveexec_b32 s73, s16
	s_cbranch_execnz .LBB4_3025
	s_branch .LBB4_3026
.LBB4_3175:                             ;   in Loop: Header=BB4_2479 Depth=4
	s_or_saveexec_b32 s73, s73
	v_mov_b32_e32 v82, 0x7f800001
	s_xor_b32 exec_lo, exec_lo, s73
	s_cbranch_execz .LBB4_3030
.LBB4_3176:                             ;   in Loop: Header=BB4_2479 Depth=4
	v_cmp_ne_u16_sdwa s74, v20, v2 src0_sel:BYTE_0 src1_sel:DWORD
	v_mov_b32_e32 v82, 0
	s_andn2_b32 s16, s16, exec_lo
	s_and_b32 s74, s74, exec_lo
	s_or_b32 s16, s16, s74
	s_or_b32 exec_lo, exec_lo, s73
	s_and_saveexec_b32 s73, s16
	s_cbranch_execnz .LBB4_3031
	s_branch .LBB4_3032
.LBB4_3177:                             ;   in Loop: Header=BB4_2479 Depth=4
	s_or_saveexec_b32 s73, s73
	v_mov_b32_e32 v69, 0x7f800001
	s_xor_b32 exec_lo, exec_lo, s73
	s_cbranch_execz .LBB4_3038
.LBB4_3178:                             ;   in Loop: Header=BB4_2479 Depth=4
	v_cmp_ne_u16_sdwa s74, v21, v2 src0_sel:BYTE_0 src1_sel:DWORD
	v_mov_b32_e32 v69, 0
	s_andn2_b32 s16, s16, exec_lo
	s_and_b32 s74, s74, exec_lo
	s_or_b32 s16, s16, s74
	s_or_b32 exec_lo, exec_lo, s73
	s_and_saveexec_b32 s73, s16
	s_cbranch_execnz .LBB4_3039
	s_branch .LBB4_3040
.LBB4_3179:                             ;   in Loop: Header=BB4_2479 Depth=4
	s_or_saveexec_b32 s73, s73
	v_mov_b32_e32 v21, 0x7f800001
	s_xor_b32 exec_lo, exec_lo, s73
	s_cbranch_execz .LBB4_3044
.LBB4_3180:                             ;   in Loop: Header=BB4_2479 Depth=4
	v_cmp_ne_u16_sdwa s74, v20, v2 src0_sel:BYTE_0 src1_sel:DWORD
	v_mov_b32_e32 v21, 0
	s_andn2_b32 s16, s16, exec_lo
	s_and_b32 s74, s74, exec_lo
	s_or_b32 s16, s16, s74
	s_or_b32 exec_lo, exec_lo, s73
	s_and_saveexec_b32 s73, s16
	s_cbranch_execnz .LBB4_3045
	s_branch .LBB4_3046
.LBB4_3181:                             ;   in Loop: Header=BB4_272 Depth=3
	s_or_b32 exec_lo, exec_lo, s72
.LBB4_3182:                             ;   in Loop: Header=BB4_272 Depth=3
	s_or_b32 exec_lo, exec_lo, s62
	v_lshlrev_b32_e32 v8, 9, v19
	v_cmp_ne_u32_e32 vcc_lo, v15, v8
	s_and_b32 exec_lo, exec_lo, vcc_lo
	s_cbranch_execz .LBB4_3230
; %bb.3183:                             ;   in Loop: Header=BB4_272 Depth=3
	v_lshlrev_b32_e32 v9, 5, v17
	v_lshlrev_b32_e32 v10, 5, v18
	v_sub_nc_u32_e32 v9, v16, v9
	v_sub_nc_u32_e32 v9, v9, v10
	v_add_nc_u32_e32 v8, v8, v9
	v_sub_nc_u32_e32 v15, v15, v8
	v_cmp_lt_i32_e32 vcc_lo, 0, v15
	s_and_b32 exec_lo, exec_lo, vcc_lo
	s_cbranch_execz .LBB4_3230
; %bb.3184:                             ;   in Loop: Header=BB4_272 Depth=3
	s_trap 2
	ds_read_b128 v[9:12], v0
	ds_read_b64 v[16:17], v0
	v_add_nc_u32_e32 v13, v8, v14
	s_bitcmp1_b32 s61, 0
	s_mov_b32 s61, 0
	s_cselect_b32 s62, -1, 0
	v_ashrrev_i32_e32 v14, 31, v13
	s_waitcnt lgkmcnt(1)
	v_add_co_u32 v8, vcc_lo, v9, v13
	v_add_co_ci_u32_e64 v9, null, v10, v14, vcc_lo
	v_add_co_u32 v10, vcc_lo, v11, v13
	v_add_co_ci_u32_e64 v11, null, v12, v14, vcc_lo
	s_waitcnt lgkmcnt(0)
	v_add_co_u32 v12, vcc_lo, v16, v13
	v_add_co_ci_u32_e64 v13, null, v17, v14, vcc_lo
	s_branch .LBB4_3188
.LBB4_3185:                             ;   in Loop: Header=BB4_3188 Depth=4
	s_or_b32 exec_lo, exec_lo, s16
	v_lshrrev_b32_e32 v16, 20, v16
	v_cmp_gt_i32_e32 vcc_lo, 16, v14
	v_min_i32_e32 v17, 15, v14
	v_and_b32_sdwa v18, v18, v118 dst_sel:DWORD dst_unused:UNUSED_PAD src0_sel:BYTE_3 src1_sel:DWORD
	v_cndmask_b32_e32 v16, 7, v16, vcc_lo
	v_lshlrev_b32_e32 v17, 3, v17
	v_and_b32_e32 v19, 7, v16
	v_or_b32_e32 v14, v14, v16
	v_or3_b32 v16, v17, v18, v19
	v_cmp_ne_u32_e32 vcc_lo, 0, v14
	v_cndmask_b32_e32 v14, 0, v16, vcc_lo
.LBB4_3186:                             ;   in Loop: Header=BB4_3188 Depth=4
	s_or_b32 exec_lo, exec_lo, s72
.LBB4_3187:                             ;   in Loop: Header=BB4_3188 Depth=4
	s_or_b32 exec_lo, exec_lo, s63
	v_sub_nc_u32_e32 v15, v15, v114
	v_add_co_u32 v8, vcc_lo, v8, v114
	v_add_co_ci_u32_e64 v9, null, 0, v9, vcc_lo
	v_add_co_u32 v10, vcc_lo, v10, v114
	flat_store_byte v[12:13], v14 glc slc
	v_add_co_ci_u32_e64 v11, null, 0, v11, vcc_lo
	v_cmp_gt_i32_e32 vcc_lo, 1, v15
	v_add_co_u32 v12, s16, v12, v114
	v_add_co_ci_u32_e64 v13, null, 0, v13, s16
	s_or_b32 s61, vcc_lo, s61
	s_andn2_b32 exec_lo, exec_lo, s61
	s_cbranch_execz .LBB4_3230
.LBB4_3188:                             ;   Parent Loop BB4_47 Depth=1
                                        ;     Parent Loop BB4_269 Depth=2
                                        ;       Parent Loop BB4_272 Depth=3
                                        ; =>      This Inner Loop Header: Depth=4
	flat_load_ubyte v16, v[10:11] slc
	s_waitcnt vmcnt(1) lgkmcnt(2)
	flat_load_ubyte v17, v[8:9] slc
	s_mov_b32 s16, -1
	s_waitcnt vmcnt(1) lgkmcnt(1)
	v_and_b32_e32 v14, 7, v16
	v_bfe_u32 v20, v16, 3, 4
	v_lshlrev_b32_e32 v21, 24, v16
	v_ffbh_u32_e32 v18, v14
	v_cmp_eq_u32_e32 vcc_lo, 0, v20
	v_min_u32_e32 v18, 32, v18
	v_subrev_nc_u32_e32 v19, 28, v18
	v_sub_nc_u32_e32 v18, 29, v18
	v_lshlrev_b32_e32 v19, v19, v16
	v_cndmask_b32_e32 v18, v20, v18, vcc_lo
	v_and_b32_e32 v19, 7, v19
	v_lshl_add_u32 v18, v18, 23, 0x3b800000
	v_cndmask_b32_e32 v14, v14, v19, vcc_lo
	v_and_b32_e32 v19, 0x80000000, v21
	s_and_b32 vcc_lo, exec_lo, s62
	v_lshlrev_b32_e32 v14, 20, v14
	v_or3_b32 v14, v19, v18, v14
                                        ; implicit-def: $vgpr18
	s_cbranch_vccz .LBB4_3202
; %bb.3189:                             ;   in Loop: Header=BB4_3188 Depth=4
	s_waitcnt vmcnt(0) lgkmcnt(0)
	v_cmp_gt_i16_sdwa s63, v17, v117 src0_sel:BYTE_0 src1_sel:DWORD
	s_mov_b32 s16, 0
	s_and_saveexec_b32 s72, s63
	s_xor_b32 s63, exec_lo, s72
	s_cbranch_execz .LBB4_3222
; %bb.3190:                             ;   in Loop: Header=BB4_3188 Depth=4
	v_cmp_eq_u16_sdwa s73, v17, v118 src0_sel:BYTE_0 src1_sel:DWORD
	s_mov_b32 s16, -1
	s_and_saveexec_b32 s72, s73
; %bb.3191:                             ;   in Loop: Header=BB4_3188 Depth=4
	s_xor_b32 s16, exec_lo, -1
; %bb.3192:                             ;   in Loop: Header=BB4_3188 Depth=4
	s_or_b32 exec_lo, exec_lo, s72
	s_and_b32 s16, s16, exec_lo
	s_or_saveexec_b32 s63, s63
	v_mov_b32_e32 v18, 0x7f800001
	s_xor_b32 exec_lo, exec_lo, s63
	s_cbranch_execnz .LBB4_3223
.LBB4_3193:                             ;   in Loop: Header=BB4_3188 Depth=4
	s_or_b32 exec_lo, exec_lo, s63
	s_and_saveexec_b32 s63, s16
	s_cbranch_execz .LBB4_3195
.LBB4_3194:                             ;   in Loop: Header=BB4_3188 Depth=4
	v_and_b32_e32 v18, 7, v17
	v_lshrrev_b16 v20, 3, v17
	v_lshlrev_b32_e32 v22, 24, v17
	v_ffbh_u32_e32 v19, v18
	v_and_b32_e32 v20, 15, v20
	v_min_u32_e32 v19, 32, v19
	v_cmp_eq_u32_e32 vcc_lo, 0, v20
	v_subrev_nc_u32_e32 v21, 28, v19
	v_sub_nc_u32_e32 v19, 29, v19
	v_lshlrev_b32_e32 v21, v21, v17
	v_cndmask_b32_e32 v19, v20, v19, vcc_lo
	v_and_b32_e32 v20, 0x80000000, v22
	v_and_b32_e32 v21, 7, v21
	v_lshl_add_u32 v19, v19, 23, 0x3b800000
	v_cndmask_b32_e32 v18, v18, v21, vcc_lo
	v_lshlrev_b32_e32 v18, 20, v18
	v_or3_b32 v18, v20, v19, v18
.LBB4_3195:                             ;   in Loop: Header=BB4_3188 Depth=4
	s_or_b32 exec_lo, exec_lo, s63
	v_cmp_gt_i16_sdwa s63, v16, v117 src0_sel:BYTE_0 src1_sel:DWORD
	s_mov_b32 s16, 0
	s_and_saveexec_b32 s72, s63
	s_xor_b32 s63, exec_lo, s72
	s_cbranch_execz .LBB4_3224
; %bb.3196:                             ;   in Loop: Header=BB4_3188 Depth=4
	v_cmp_eq_u16_sdwa s73, v16, v118 src0_sel:BYTE_0 src1_sel:DWORD
	s_mov_b32 s16, -1
	s_and_saveexec_b32 s72, s73
; %bb.3197:                             ;   in Loop: Header=BB4_3188 Depth=4
	s_xor_b32 s16, exec_lo, -1
; %bb.3198:                             ;   in Loop: Header=BB4_3188 Depth=4
	s_or_b32 exec_lo, exec_lo, s72
	s_and_b32 s16, s16, exec_lo
	s_or_saveexec_b32 s63, s63
	v_mov_b32_e32 v19, 0x7f800001
	s_xor_b32 exec_lo, exec_lo, s63
	s_cbranch_execnz .LBB4_3225
.LBB4_3199:                             ;   in Loop: Header=BB4_3188 Depth=4
	s_or_b32 exec_lo, exec_lo, s63
	s_and_saveexec_b32 s63, s16
.LBB4_3200:                             ;   in Loop: Header=BB4_3188 Depth=4
	v_mov_b32_e32 v19, v14
.LBB4_3201:                             ;   in Loop: Header=BB4_3188 Depth=4
	s_or_b32 exec_lo, exec_lo, s63
	v_max_f32_e32 v19, v19, v19
	v_max_f32_e32 v18, v18, v18
	s_mov_b32 s16, 0
	v_max_f32_e32 v18, v18, v19
.LBB4_3202:                             ;   in Loop: Header=BB4_3188 Depth=4
	s_and_b32 vcc_lo, exec_lo, s16
	s_cbranch_vccz .LBB4_3216
; %bb.3203:                             ;   in Loop: Header=BB4_3188 Depth=4
	s_waitcnt vmcnt(0) lgkmcnt(0)
	v_cmp_gt_i16_sdwa s63, v17, v117 src0_sel:BYTE_0 src1_sel:DWORD
	s_mov_b32 s16, 0
	s_and_saveexec_b32 s72, s63
	s_xor_b32 s63, exec_lo, s72
	s_cbranch_execz .LBB4_3226
; %bb.3204:                             ;   in Loop: Header=BB4_3188 Depth=4
	v_cmp_eq_u16_sdwa s73, v17, v118 src0_sel:BYTE_0 src1_sel:DWORD
	s_mov_b32 s16, -1
	s_and_saveexec_b32 s72, s73
; %bb.3205:                             ;   in Loop: Header=BB4_3188 Depth=4
	s_xor_b32 s16, exec_lo, -1
; %bb.3206:                             ;   in Loop: Header=BB4_3188 Depth=4
	s_or_b32 exec_lo, exec_lo, s72
	s_and_b32 s16, s16, exec_lo
	s_or_saveexec_b32 s63, s63
	v_mov_b32_e32 v18, 0x7f800001
	s_xor_b32 exec_lo, exec_lo, s63
	s_cbranch_execnz .LBB4_3227
.LBB4_3207:                             ;   in Loop: Header=BB4_3188 Depth=4
	s_or_b32 exec_lo, exec_lo, s63
	s_and_saveexec_b32 s63, s16
	s_cbranch_execz .LBB4_3209
.LBB4_3208:                             ;   in Loop: Header=BB4_3188 Depth=4
	v_and_b32_e32 v18, 7, v17
	v_lshrrev_b16 v20, 3, v17
	v_ffbh_u32_e32 v19, v18
	v_and_b32_e32 v20, 15, v20
	v_min_u32_e32 v19, 32, v19
	v_cmp_eq_u32_e32 vcc_lo, 0, v20
	v_subrev_nc_u32_e32 v21, 28, v19
	v_sub_nc_u32_e32 v19, 29, v19
	v_lshlrev_b32_e32 v21, v21, v17
	v_lshlrev_b32_e32 v17, 24, v17
	v_cndmask_b32_e32 v19, v20, v19, vcc_lo
	v_and_b32_e32 v21, 7, v21
	v_and_b32_e32 v17, 0x80000000, v17
	v_lshl_add_u32 v19, v19, 23, 0x3b800000
	v_cndmask_b32_e32 v18, v18, v21, vcc_lo
	v_lshlrev_b32_e32 v18, 20, v18
	v_or3_b32 v18, v17, v19, v18
.LBB4_3209:                             ;   in Loop: Header=BB4_3188 Depth=4
	s_or_b32 exec_lo, exec_lo, s63
	v_cmp_gt_i16_sdwa s63, v16, v117 src0_sel:BYTE_0 src1_sel:DWORD
	s_mov_b32 s16, 0
	s_and_saveexec_b32 s72, s63
	s_xor_b32 s63, exec_lo, s72
	s_cbranch_execz .LBB4_3228
; %bb.3210:                             ;   in Loop: Header=BB4_3188 Depth=4
	v_cmp_eq_u16_sdwa s73, v16, v118 src0_sel:BYTE_0 src1_sel:DWORD
	s_mov_b32 s16, -1
	s_and_saveexec_b32 s72, s73
; %bb.3211:                             ;   in Loop: Header=BB4_3188 Depth=4
	s_xor_b32 s16, exec_lo, -1
; %bb.3212:                             ;   in Loop: Header=BB4_3188 Depth=4
	s_or_b32 exec_lo, exec_lo, s72
	s_and_b32 s16, s16, exec_lo
                                        ; implicit-def: $vgpr16
	s_or_saveexec_b32 s63, s63
	v_mov_b32_e32 v17, 0x7f800001
	s_xor_b32 exec_lo, exec_lo, s63
	s_cbranch_execnz .LBB4_3229
.LBB4_3213:                             ;   in Loop: Header=BB4_3188 Depth=4
	s_or_b32 exec_lo, exec_lo, s63
	s_and_saveexec_b32 s63, s16
.LBB4_3214:                             ;   in Loop: Header=BB4_3188 Depth=4
	v_mov_b32_e32 v17, v14
.LBB4_3215:                             ;   in Loop: Header=BB4_3188 Depth=4
	s_or_b32 exec_lo, exec_lo, s63
	v_max_f32_e32 v14, v17, v17
	v_max_f32_e32 v16, v18, v18
	v_min_f32_e32 v18, v16, v14
.LBB4_3216:                             ;   in Loop: Header=BB4_3188 Depth=4
	v_and_b32_e32 v14, 0x7f800000, v18
	v_cmp_ne_u32_e32 vcc_lo, 0x7f800000, v14
	v_mov_b32_e32 v14, 0x80
	s_and_saveexec_b32 s63, vcc_lo
	s_cbranch_execz .LBB4_3187
; %bb.3217:                             ;   in Loop: Header=BB4_3188 Depth=4
	v_mov_b32_e32 v14, 0
	s_mov_b32 s72, exec_lo
	v_cmpx_ne_u32_e32 0, v18
	s_cbranch_execz .LBB4_3186
; %bb.3218:                             ;   in Loop: Header=BB4_3188 Depth=4
	v_bfe_u32 v14, v18, 23, 8
	v_and_b32_e32 v16, 0x7fffff, v18
	s_waitcnt vmcnt(0) lgkmcnt(0)
	v_sub_nc_u32_e32 v17, 0x78, v14
	v_cmp_gt_u32_e32 vcc_lo, 0x79, v14
	v_or_b32_e32 v19, 0x800000, v16
	v_cndmask_b32_e32 v17, 0, v17, vcc_lo
	v_cmp_eq_u32_e32 vcc_lo, 0, v14
	v_add_nc_u32_e32 v14, 0xffffff89, v14
	v_cndmask_b32_e64 v17, v17, 0x77, vcc_lo
	v_cndmask_b32_e32 v16, v19, v16, vcc_lo
	v_cndmask_b32_e64 v14, v14, 0xffffff8a, vcc_lo
	v_lshl_add_u32 v19, 0x100000, v17, -1
	v_lshrrev_b32_e32 v20, v17, v16
	v_lshlrev_b32_e64 v22, v17, 0x80000
	v_add_nc_u32_e32 v17, v17, v14
	v_and_b32_e32 v16, v19, v16
	v_bfe_u32 v21, v20, 20, 1
	v_cmp_eq_u32_e64 s16, v16, v22
	v_add_nc_u32_e32 v19, -1, v21
	v_cndmask_b32_e64 v16, 0, v19, s16
	v_lshrrev_b32_e32 v19, 23, v20
	s_mov_b32 s16, exec_lo
	v_add_nc_u32_e32 v16, v16, v20
	v_xor_b32_e32 v19, 1, v19
	v_and_b32_e32 v14, 0xfffff, v16
	v_add_nc_u32_e32 v16, v14, v20
                                        ; implicit-def: $vgpr14
	v_cmpx_ne_u32_e64 v17, v19
	s_xor_b32 s16, exec_lo, s16
; %bb.3219:                             ;   in Loop: Header=BB4_3188 Depth=4
	v_cmp_lt_u32_e32 vcc_lo, 0xffffff, v16
	v_sub_nc_u32_e32 v14, v17, v19
	v_cndmask_b32_e64 v17, 0, 1, vcc_lo
	v_add_co_ci_u32_e64 v14, null, 0, v14, vcc_lo
	v_lshrrev_b32_e32 v16, v17, v16
; %bb.3220:                             ;   in Loop: Header=BB4_3188 Depth=4
	s_andn2_saveexec_b32 s16, s16
	s_cbranch_execz .LBB4_3185
; %bb.3221:                             ;   in Loop: Header=BB4_3188 Depth=4
	v_bfe_u32 v14, v16, 23, 1
	s_branch .LBB4_3185
.LBB4_3222:                             ;   in Loop: Header=BB4_3188 Depth=4
	s_or_saveexec_b32 s63, s63
	v_mov_b32_e32 v18, 0x7f800001
	s_xor_b32 exec_lo, exec_lo, s63
	s_cbranch_execz .LBB4_3193
.LBB4_3223:                             ;   in Loop: Header=BB4_3188 Depth=4
	v_cmp_ne_u16_sdwa s72, v17, v2 src0_sel:BYTE_0 src1_sel:DWORD
	v_mov_b32_e32 v18, 0
	s_andn2_b32 s16, s16, exec_lo
	s_and_b32 s72, s72, exec_lo
	s_or_b32 s16, s16, s72
	s_or_b32 exec_lo, exec_lo, s63
	s_and_saveexec_b32 s63, s16
	s_cbranch_execnz .LBB4_3194
	s_branch .LBB4_3195
.LBB4_3224:                             ;   in Loop: Header=BB4_3188 Depth=4
	s_or_saveexec_b32 s63, s63
	v_mov_b32_e32 v19, 0x7f800001
	s_xor_b32 exec_lo, exec_lo, s63
	s_cbranch_execz .LBB4_3199
.LBB4_3225:                             ;   in Loop: Header=BB4_3188 Depth=4
	v_cmp_ne_u16_sdwa s72, v16, v2 src0_sel:BYTE_0 src1_sel:DWORD
	v_mov_b32_e32 v19, 0
	s_andn2_b32 s16, s16, exec_lo
	s_and_b32 s72, s72, exec_lo
	s_or_b32 s16, s16, s72
	s_or_b32 exec_lo, exec_lo, s63
	s_and_saveexec_b32 s63, s16
	s_cbranch_execnz .LBB4_3200
	s_branch .LBB4_3201
.LBB4_3226:                             ;   in Loop: Header=BB4_3188 Depth=4
	s_or_saveexec_b32 s63, s63
	v_mov_b32_e32 v18, 0x7f800001
	s_xor_b32 exec_lo, exec_lo, s63
	s_cbranch_execz .LBB4_3207
.LBB4_3227:                             ;   in Loop: Header=BB4_3188 Depth=4
	v_cmp_ne_u16_sdwa s72, v17, v2 src0_sel:BYTE_0 src1_sel:DWORD
	v_mov_b32_e32 v18, 0
	s_andn2_b32 s16, s16, exec_lo
	s_and_b32 s72, s72, exec_lo
	s_or_b32 s16, s16, s72
	s_or_b32 exec_lo, exec_lo, s63
	s_and_saveexec_b32 s63, s16
	s_cbranch_execnz .LBB4_3208
	s_branch .LBB4_3209
.LBB4_3228:                             ;   in Loop: Header=BB4_3188 Depth=4
	s_or_saveexec_b32 s63, s63
	v_mov_b32_e32 v17, 0x7f800001
	s_xor_b32 exec_lo, exec_lo, s63
	s_cbranch_execz .LBB4_3213
.LBB4_3229:                             ;   in Loop: Header=BB4_3188 Depth=4
	v_cmp_ne_u16_sdwa s72, v16, v2 src0_sel:BYTE_0 src1_sel:DWORD
	v_mov_b32_e32 v17, 0
	s_andn2_b32 s16, s16, exec_lo
	s_and_b32 s72, s72, exec_lo
	s_or_b32 s16, s16, s72
	s_or_b32 exec_lo, exec_lo, s63
	s_and_saveexec_b32 s63, s16
	s_cbranch_execnz .LBB4_3214
	s_branch .LBB4_3215
.LBB4_3230:                             ;   in Loop: Header=BB4_272 Depth=3
	s_or_b32 exec_lo, exec_lo, s17
	v_cmp_lt_i32_e64 s16, 0, v3
	s_and_saveexec_b32 s17, s6
	s_cbranch_execz .LBB4_347
.LBB4_3231:                             ;   in Loop: Header=BB4_272 Depth=3
	s_and_saveexec_b32 s61, s29
	s_xor_b32 s61, exec_lo, s61
	s_cbranch_execz .LBB4_3246
; %bb.3232:                             ;   in Loop: Header=BB4_272 Depth=3
	s_and_saveexec_b32 s62, s11
	s_cbranch_execz .LBB4_3245
; %bb.3233:                             ;   in Loop: Header=BB4_272 Depth=3
	s_mov_b32 s72, exec_lo
	s_mov_b32 s63, exec_lo
	v_mbcnt_lo_u32_b32 v3, s72, 0
	s_waitcnt vmcnt(0) lgkmcnt(0)
	s_waitcnt_vscnt null, 0x0
	buffer_gl1_inv
	buffer_gl0_inv
	v_cmpx_eq_u32_e32 0, v3
	s_cbranch_execz .LBB4_3235
; %bb.3234:                             ;   in Loop: Header=BB4_272 Depth=3
	s_bcnt1_i32_b32 s72, s72
	v_mov_b32_e32 v9, v2
	v_mov_b32_e32 v8, s72
	ds_add_u64 v0, v[8:9]
	s_trap 2
.LBB4_3235:                             ;   in Loop: Header=BB4_272 Depth=3
	s_or_b32 exec_lo, exec_lo, s63
	s_trap 2
	ds_read_b64 v[8:9], v0
	s_waitcnt lgkmcnt(0)
	buffer_gl0_inv
	v_add_co_u32 v38, vcc_lo, v38, v103
	v_add_co_ci_u32_e64 v39, null, 0, v39, vcc_lo
	s_mov_b32 s63, exec_lo
	v_cmpx_lt_u64_e64 v[8:9], v[38:39]
	s_cbranch_execz .LBB4_3244
; %bb.3236:                             ;   in Loop: Header=BB4_272 Depth=3
	s_mov_b32 s72, 0
	s_mov_b32 s75, 0
                                        ; implicit-def: $sgpr73
                                        ; implicit-def: $sgpr74
	s_inst_prefetch 0x1
	s_branch .LBB4_3238
	.p2align	6
.LBB4_3237:                             ;   in Loop: Header=BB4_3238 Depth=4
	s_or_b32 exec_lo, exec_lo, s77
	s_and_b32 s76, exec_lo, s78
	s_or_b32 s72, s76, s72
	s_andn2_b32 s73, s73, exec_lo
	s_and_b32 s76, s74, exec_lo
	s_or_b32 s73, s73, s76
	s_andn2_b32 exec_lo, exec_lo, s72
	s_cbranch_execz .LBB4_3242
.LBB4_3238:                             ;   Parent Loop BB4_47 Depth=1
                                        ;     Parent Loop BB4_269 Depth=2
                                        ;       Parent Loop BB4_272 Depth=3
                                        ; =>      This Inner Loop Header: Depth=4
	s_add_i32 s75, s75, 1
	s_cmpk_lg_i32 s75, 0x2710
	s_cselect_b32 s76, -1, 0
	s_and_b32 vcc_lo, exec_lo, s76
	s_cbranch_vccz .LBB4_3240
; %bb.3239:                             ;   in Loop: Header=BB4_3238 Depth=4
	s_mov_b32 s78, -1
	s_or_b32 s74, s74, exec_lo
	s_and_saveexec_b32 s77, s76
	s_cbranch_execz .LBB4_3237
	s_branch .LBB4_3241
	.p2align	6
.LBB4_3240:                             ;   in Loop: Header=BB4_3238 Depth=4
	s_trap 2
	ds_read_b64 v[8:9], v0
	s_andn2_b32 s76, s76, exec_lo
	s_mov_b32 s75, 0
	s_waitcnt lgkmcnt(0)
	flat_load_dword v3, v[8:9] glc dlc
	s_waitcnt vmcnt(0) lgkmcnt(0)
	buffer_gl1_inv
	buffer_gl0_inv
	v_cmp_eq_u32_e32 vcc_lo, 0, v3
	s_and_b32 s77, vcc_lo, exec_lo
	s_or_b32 s76, s76, s77
	s_mov_b32 s78, -1
	s_or_b32 s74, s74, exec_lo
	s_and_saveexec_b32 s77, s76
	s_cbranch_execz .LBB4_3237
.LBB4_3241:                             ;   in Loop: Header=BB4_3238 Depth=4
	s_sleep 1
	s_trap 2
	ds_read_b64 v[8:9], v0
	s_waitcnt lgkmcnt(0)
	buffer_gl0_inv
	s_andn2_b32 s74, s74, exec_lo
	v_cmp_ge_u64_e32 vcc_lo, v[8:9], v[38:39]
	s_orn2_b32 s78, vcc_lo, exec_lo
	s_branch .LBB4_3237
.LBB4_3242:                             ;   in Loop: Header=BB4_272 Depth=3
	s_inst_prefetch 0x2
	s_or_b32 exec_lo, exec_lo, s72
	s_and_saveexec_b32 s72, s73
	s_xor_b32 s72, exec_lo, s72
	s_cbranch_execz .LBB4_3244
; %bb.3243:                             ;   in Loop: Header=BB4_272 Depth=3
	ds_write_b32 v0, v115
	s_trap 2
.LBB4_3244:                             ;   in Loop: Header=BB4_272 Depth=3
	s_or_b32 exec_lo, exec_lo, s63
	;;#ASMSTART
	s_wakeup
	;;#ASMEND
.LBB4_3245:                             ;   in Loop: Header=BB4_272 Depth=3
	s_or_b32 exec_lo, exec_lo, s62
.LBB4_3246:                             ;   in Loop: Header=BB4_272 Depth=3
	s_andn2_saveexec_b32 s61, s61
	s_cbranch_execz .LBB4_3248
; %bb.3247:                             ;   in Loop: Header=BB4_272 Depth=3
	s_waitcnt vmcnt(0) lgkmcnt(0)
	s_waitcnt_vscnt null, 0x0
	buffer_gl1_inv
	buffer_gl0_inv
	s_barrier
.LBB4_3248:                             ;   in Loop: Header=BB4_272 Depth=3
	s_or_b32 exec_lo, exec_lo, s61
	s_or_b32 exec_lo, exec_lo, s17
                                        ; implicit-def: $vgpr3
	s_and_saveexec_b32 s17, s15
	s_xor_b32 s17, exec_lo, s17
	s_cbranch_execnz .LBB4_348
.LBB4_3249:                             ;   in Loop: Header=BB4_272 Depth=3
	s_andn2_saveexec_b32 s16, s17
	s_cbranch_execz .LBB4_3268
.LBB4_3250:                             ;   in Loop: Header=BB4_272 Depth=3
	s_and_saveexec_b32 s17, s29
	s_xor_b32 s17, exec_lo, s17
	s_cbranch_execz .LBB4_3265
; %bb.3251:                             ;   in Loop: Header=BB4_272 Depth=3
	s_and_saveexec_b32 s61, s11
	s_cbranch_execz .LBB4_3264
; %bb.3252:                             ;   in Loop: Header=BB4_272 Depth=3
	s_mov_b32 s63, exec_lo
	s_mov_b32 s62, exec_lo
	v_mbcnt_lo_u32_b32 v3, s63, 0
	;;#ASMSTART
	s_waitcnt lgkmcnt(0) vmcnt(0)
	;;#ASMEND
	v_cmpx_eq_u32_e32 0, v3
	s_cbranch_execz .LBB4_3254
; %bb.3253:                             ;   in Loop: Header=BB4_272 Depth=3
	s_bcnt1_i32_b32 s63, s63
	v_mov_b32_e32 v9, v2
	v_mov_b32_e32 v8, s63
	s_waitcnt vmcnt(0) lgkmcnt(0)
	s_waitcnt_vscnt null, 0x0
	ds_add_u64 v0, v[8:9]
	s_trap 2
.LBB4_3254:                             ;   in Loop: Header=BB4_272 Depth=3
	s_or_b32 exec_lo, exec_lo, s62
	s_trap 2
	ds_read_b64 v[8:9], v0
	s_waitcnt vmcnt(0) lgkmcnt(0)
	buffer_gl0_inv
	v_add_co_u32 v38, vcc_lo, v38, v103
	v_add_co_ci_u32_e64 v39, null, 0, v39, vcc_lo
	s_mov_b32 s62, exec_lo
	v_cmpx_lt_u64_e64 v[8:9], v[38:39]
	s_cbranch_execz .LBB4_3263
; %bb.3255:                             ;   in Loop: Header=BB4_272 Depth=3
	s_mov_b32 s63, 0
	s_mov_b32 s74, 0
                                        ; implicit-def: $sgpr72
                                        ; implicit-def: $sgpr73
	s_inst_prefetch 0x1
	s_branch .LBB4_3257
	.p2align	6
.LBB4_3256:                             ;   in Loop: Header=BB4_3257 Depth=4
	s_or_b32 exec_lo, exec_lo, s76
	s_and_b32 s75, exec_lo, s77
	s_or_b32 s63, s75, s63
	s_andn2_b32 s72, s72, exec_lo
	s_and_b32 s75, s73, exec_lo
	s_or_b32 s72, s72, s75
	s_andn2_b32 exec_lo, exec_lo, s63
	s_cbranch_execz .LBB4_3261
.LBB4_3257:                             ;   Parent Loop BB4_47 Depth=1
                                        ;     Parent Loop BB4_269 Depth=2
                                        ;       Parent Loop BB4_272 Depth=3
                                        ; =>      This Inner Loop Header: Depth=4
	s_add_i32 s74, s74, 1
	s_cmpk_lg_i32 s74, 0x2710
	s_cselect_b32 s75, -1, 0
	s_and_b32 vcc_lo, exec_lo, s75
	s_cbranch_vccz .LBB4_3259
; %bb.3258:                             ;   in Loop: Header=BB4_3257 Depth=4
	s_mov_b32 s77, -1
	s_or_b32 s73, s73, exec_lo
	s_and_saveexec_b32 s76, s75
	s_cbranch_execz .LBB4_3256
	s_branch .LBB4_3260
	.p2align	6
.LBB4_3259:                             ;   in Loop: Header=BB4_3257 Depth=4
	s_trap 2
	ds_read_b64 v[8:9], v0
	s_andn2_b32 s75, s75, exec_lo
	s_mov_b32 s74, 0
	s_waitcnt lgkmcnt(0)
	s_waitcnt_vscnt null, 0x0
	flat_load_dword v3, v[8:9] glc dlc
	s_waitcnt vmcnt(0) lgkmcnt(0)
	buffer_gl1_inv
	buffer_gl0_inv
	v_cmp_eq_u32_e32 vcc_lo, 0, v3
	s_and_b32 s76, vcc_lo, exec_lo
	s_or_b32 s75, s75, s76
	s_mov_b32 s77, -1
	s_or_b32 s73, s73, exec_lo
	s_and_saveexec_b32 s76, s75
	s_cbranch_execz .LBB4_3256
.LBB4_3260:                             ;   in Loop: Header=BB4_3257 Depth=4
	s_sleep 1
	s_trap 2
	ds_read_b64 v[8:9], v0
	s_waitcnt lgkmcnt(0)
	buffer_gl0_inv
	s_andn2_b32 s73, s73, exec_lo
	v_cmp_ge_u64_e32 vcc_lo, v[8:9], v[38:39]
	s_orn2_b32 s77, vcc_lo, exec_lo
	s_branch .LBB4_3256
.LBB4_3261:                             ;   in Loop: Header=BB4_272 Depth=3
	s_inst_prefetch 0x2
	s_or_b32 exec_lo, exec_lo, s63
	s_and_saveexec_b32 s63, s72
	s_xor_b32 s63, exec_lo, s63
	s_cbranch_execz .LBB4_3263
; %bb.3262:                             ;   in Loop: Header=BB4_272 Depth=3
	ds_write_b32 v0, v115
	s_trap 2
.LBB4_3263:                             ;   in Loop: Header=BB4_272 Depth=3
	s_or_b32 exec_lo, exec_lo, s62
	;;#ASMSTART
	s_wakeup
	;;#ASMEND
.LBB4_3264:                             ;   in Loop: Header=BB4_272 Depth=3
	s_or_b32 exec_lo, exec_lo, s61
.LBB4_3265:                             ;   in Loop: Header=BB4_272 Depth=3
	s_andn2_saveexec_b32 s17, s17
	s_cbranch_execz .LBB4_3267
; %bb.3266:                             ;   in Loop: Header=BB4_272 Depth=3
	;;#ASMSTART
	s_waitcnt lgkmcnt(0) vmcnt(0)
	;;#ASMEND
	s_barrier
.LBB4_3267:                             ;   in Loop: Header=BB4_272 Depth=3
	s_or_b32 exec_lo, exec_lo, s17
	v_and_b32_e32 v3, 16, v100
.LBB4_3268:                             ;   in Loop: Header=BB4_272 Depth=3
	s_or_b32 exec_lo, exec_lo, s16
	v_cmp_ne_u32_e32 vcc_lo, 0, v3
	s_xor_b32 s16, s7, -1
	s_and_b32 s17, vcc_lo, s16
	s_and_saveexec_b32 s16, s17
	s_cbranch_execz .LBB4_3270
; %bb.3269:                             ;   in Loop: Header=BB4_272 Depth=3
	s_waitcnt vmcnt(0) lgkmcnt(0)
	s_waitcnt_vscnt null, 0x0
	flat_store_dword v[36:37], v115
.LBB4_3270:                             ;   in Loop: Header=BB4_272 Depth=3
	s_or_b32 exec_lo, exec_lo, s16
	v_and_b32_e32 v3, 48, v100
	s_mov_b32 s16, exec_lo
	v_cmpx_ne_u32_e32 0, v3
	s_cbranch_execz .LBB4_271
; %bb.3271:                             ;   in Loop: Header=BB4_272 Depth=3
	v_add_co_u32 v64, vcc_lo, v64, 2
	v_add_co_ci_u32_e64 v65, null, 0, v65, vcc_lo
	s_waitcnt vmcnt(0) lgkmcnt(0)
	s_waitcnt_vscnt null, 0x0
	flat_store_dwordx2 v[32:33], v[64:65]
	s_branch .LBB4_271
.LBB4_3272:                             ;   in Loop: Header=BB4_269 Depth=2
	s_or_b32 exec_lo, exec_lo, s21
.LBB4_3273:                             ;   in Loop: Header=BB4_269 Depth=2
	s_or_b32 exec_lo, exec_lo, s19
	s_mov_b32 s17, exec_lo
	v_cmpx_gt_i32_e32 2, v3
	s_cbranch_execz .LBB4_268
; %bb.3274:                             ;   in Loop: Header=BB4_269 Depth=2
	v_cmp_eq_u32_e64 s21, 0, v3
	s_mov_b32 s19, 0
	s_branch .LBB4_3276
.LBB4_3275:                             ;   in Loop: Header=BB4_3276 Depth=3
	s_or_b32 exec_lo, exec_lo, s16
	v_add_nc_u32_e32 v99, v68, v99
	s_mov_b32 s21, 0
	s_andn2_b32 exec_lo, exec_lo, s19
	s_cbranch_execz .LBB4_267
.LBB4_3276:                             ;   Parent Loop BB4_47 Depth=1
                                        ;     Parent Loop BB4_269 Depth=2
                                        ; =>    This Loop Header: Depth=3
                                        ;         Child Loop BB4_3282 Depth 4
                                        ;         Child Loop BB4_3310 Depth 4
	;; [unrolled: 1-line block ×3, first 2 shown]
	v_sub_nc_u32_e32 v3, v98, v99
	v_and_b32_e32 v8, 12, v100
	s_mov_b32 s22, exec_lo
	v_min_i32_e32 v68, v68, v3
	v_cmpx_ne_u32_e32 0, v8
	s_cbranch_execz .LBB4_3302
; %bb.3277:                             ;   in Loop: Header=BB4_3276 Depth=3
	v_and_b32_e32 v3, 8, v100
	s_mov_b32 s23, exec_lo
	s_waitcnt vmcnt(0) lgkmcnt(1)
	v_add_co_u32 v10, vcc_lo, v48, v3
	v_add_co_ci_u32_e64 v11, null, 0, v49, vcc_lo
	v_add_co_u32 v8, vcc_lo, v64, 2
	v_add_co_ci_u32_e64 v9, null, 0, v65, vcc_lo
	v_cmpx_lt_u64_e64 v[10:11], v[8:9]
	s_cbranch_execz .LBB4_3289
; %bb.3278:                             ;   in Loop: Header=BB4_3276 Depth=3
	v_and_b32_e32 v10, 64, v100
	s_mov_b32 s61, 0
	s_mov_b32 s73, 0
                                        ; implicit-def: $sgpr62
                                        ; implicit-def: $sgpr63
                                        ; implicit-def: $sgpr72
	v_cmp_eq_u32_e32 vcc_lo, 0, v10
	s_branch .LBB4_3282
.LBB4_3279:                             ;   in Loop: Header=BB4_3282 Depth=4
	s_waitcnt vmcnt(0) lgkmcnt(0)
	v_add_co_u32 v11, s16, v48, v3
	v_add_co_ci_u32_e64 v12, null, 0, v49, s16
	s_or_b32 s76, s76, exec_lo
	v_cmp_ge_u64_e64 s16, v[11:12], v[8:9]
	s_orn2_b32 s75, s16, exec_lo
.LBB4_3280:                             ;   in Loop: Header=BB4_3282 Depth=4
	s_or_b32 exec_lo, exec_lo, s78
	s_andn2_b32 s16, s72, exec_lo
	s_and_b32 s72, s76, exec_lo
	s_andn2_b32 s63, s63, exec_lo
	s_and_b32 s75, s75, exec_lo
	s_or_b32 s72, s16, s72
	s_or_b32 s63, s63, s75
.LBB4_3281:                             ;   in Loop: Header=BB4_3282 Depth=4
	s_or_b32 exec_lo, exec_lo, s74
	s_and_b32 s16, exec_lo, s63
	s_or_b32 s61, s16, s61
	s_andn2_b32 s16, s62, exec_lo
	s_and_b32 s62, s72, exec_lo
	s_or_b32 s62, s16, s62
	s_andn2_b32 exec_lo, exec_lo, s61
	s_cbranch_execz .LBB4_3286
.LBB4_3282:                             ;   Parent Loop BB4_47 Depth=1
                                        ;     Parent Loop BB4_269 Depth=2
                                        ;       Parent Loop BB4_3276 Depth=3
                                        ; =>      This Inner Loop Header: Depth=4
	s_sleep 1
	s_waitcnt vmcnt(0) lgkmcnt(0)
	flat_load_dwordx2 v[48:49], v[32:33] glc dlc
	s_or_b32 s72, s72, exec_lo
	s_or_b32 s63, s63, exec_lo
                                        ; implicit-def: $vgpr10
	s_and_saveexec_b32 s74, vcc_lo
	s_cbranch_execz .LBB4_3281
; %bb.3283:                             ;   in Loop: Header=BB4_3282 Depth=4
	s_cmpk_lt_i32 s73, 0x270f
	s_mov_b32 s75, -1
	s_cselect_b32 s77, -1, 0
	s_cmpk_gt_i32 s73, 0x270e
	s_cbranch_scc0 .LBB4_3285
; %bb.3284:                             ;   in Loop: Header=BB4_3282 Depth=4
	s_trap 2
	ds_read_b64 v[10:11], v0
	s_andn2_b32 s73, s77, exec_lo
	s_mov_b32 s76, 0
	s_waitcnt vmcnt(0) lgkmcnt(0)
	s_waitcnt_vscnt null, 0x0
	flat_load_dword v10, v[10:11] glc dlc
	s_waitcnt vmcnt(0) lgkmcnt(0)
	buffer_gl1_inv
	buffer_gl0_inv
	v_cmp_eq_u32_e64 s16, 0, v10
	s_and_b32 s16, s16, exec_lo
	s_or_b32 s77, s73, s16
	s_mov_b32 s73, 0
	s_and_saveexec_b32 s78, s77
	s_cbranch_execz .LBB4_3280
	s_branch .LBB4_3279
.LBB4_3285:                             ;   in Loop: Header=BB4_3282 Depth=4
	s_add_i32 s73, s73, 1
	s_mov_b32 s76, -1
                                        ; implicit-def: $vgpr10
	s_and_saveexec_b32 s78, s77
	s_cbranch_execz .LBB4_3280
	s_branch .LBB4_3279
.LBB4_3286:                             ;   in Loop: Header=BB4_3276 Depth=3
	s_or_b32 exec_lo, exec_lo, s61
	s_xor_b32 s16, s62, -1
	s_and_saveexec_b32 s61, s16
	s_xor_b32 s16, exec_lo, s61
	s_cbranch_execz .LBB4_3288
; %bb.3287:                             ;   in Loop: Header=BB4_3276 Depth=3
	v_or_b32_e32 v100, 64, v100
	s_waitcnt vmcnt(0) lgkmcnt(0)
	s_waitcnt_vscnt null, 0x0
	ds_write_b32 v0, v10
	s_trap 2
.LBB4_3288:                             ;   in Loop: Header=BB4_3276 Depth=3
	s_or_b32 exec_lo, exec_lo, s16
.LBB4_3289:                             ;   in Loop: Header=BB4_3276 Depth=3
	s_or_b32 exec_lo, exec_lo, s23
	v_and_b32_e32 v10, 0x108, v100
	;;#ASMSTART
	s_wakeup
	;;#ASMEND
	v_cmp_ne_u32_e32 vcc_lo, 0x108, v10
                                        ; implicit-def: $vgpr10_vgpr11
	s_and_saveexec_b32 s16, vcc_lo
	s_xor_b32 s16, exec_lo, s16
; %bb.3290:                             ;   in Loop: Header=BB4_3276 Depth=3
	v_and_b32_e32 v10, 7, v64
	v_mov_b32_e32 v11, v2
                                        ; implicit-def: $vgpr64_vgpr65
; %bb.3291:                             ;   in Loop: Header=BB4_3276 Depth=3
	s_andn2_saveexec_b32 s16, s16
	s_cbranch_execz .LBB4_3293
; %bb.3292:                             ;   in Loop: Header=BB4_3276 Depth=3
	v_and_b32_e32 v10, 7, v64
	v_ashrrev_i32_e32 v69, 31, v68
	v_mov_b32_e32 v11, v2
	v_mad_u64_u32 v[12:13], null, v10, 24, v[6:7]
	flat_store_dwordx2 v[12:13], v[68:69] offset:8
.LBB4_3293:                             ;   in Loop: Header=BB4_3276 Depth=3
	s_or_b32 exec_lo, exec_lo, s16
	v_and_b32_e32 v12, 0x100, v100
	s_mov_b32 s16, -1
	v_cmp_ne_u32_e32 vcc_lo, 0, v12
                                        ; implicit-def: $vgpr12_vgpr13
	s_and_saveexec_b32 s23, vcc_lo
	s_cbranch_execz .LBB4_3297
; %bb.3294:                             ;   in Loop: Header=BB4_3276 Depth=3
	v_mad_u64_u32 v[14:15], null, v10, 24, v[6:7]
	v_mov_b32_e32 v12, v15
	v_mad_u64_u32 v[12:13], null, v11, 24, v[12:13]
	v_mov_b32_e32 v15, v12
	flat_load_dword v12, v[14:15]
	s_waitcnt vmcnt(0) lgkmcnt(0)
	v_cmp_eq_u32_e64 s16, 1, v12
	v_cmp_ne_u32_e32 vcc_lo, 1, v12
                                        ; implicit-def: $vgpr12_vgpr13
	s_and_saveexec_b32 s61, s16
	s_cbranch_execz .LBB4_3296
; %bb.3295:                             ;   in Loop: Header=BB4_3276 Depth=3
	flat_load_dword v12, v[14:15] offset:4 glc dlc
	s_waitcnt vmcnt(0) lgkmcnt(0)
	v_ashrrev_i32_e32 v13, 31, v12
.LBB4_3296:                             ;   in Loop: Header=BB4_3276 Depth=3
	s_or_b32 exec_lo, exec_lo, s61
	s_orn2_b32 s16, vcc_lo, exec_lo
.LBB4_3297:                             ;   in Loop: Header=BB4_3276 Depth=3
	s_or_b32 exec_lo, exec_lo, s23
	s_and_saveexec_b32 s23, s16
; %bb.3298:                             ;   in Loop: Header=BB4_3276 Depth=3
	v_mul_lo_u32 v11, v11, v101
	v_mul_lo_u32 v14, v10, v102
	v_mad_u64_u32 v[12:13], null, v10, v101, 0
	v_add3_u32 v13, v13, v14, v11
; %bb.3299:                             ;   in Loop: Header=BB4_3276 Depth=3
	s_or_b32 exec_lo, exec_lo, s23
	v_cmp_eq_u32_e32 vcc_lo, 0, v3
	v_and_b32_e32 v14, 0x2000, v100
	s_mov_b32 s16, exec_lo
	v_cndmask_b32_e32 v3, 0xc8, v116, vcc_lo
	v_add_co_u32 v10, vcc_lo, v34, v12
	v_add_co_ci_u32_e64 v11, null, v35, v13, vcc_lo
	v_add_nc_u32_e32 v3, v0, v3
	ds_write_b64 v3, v[10:11] offset:584
	v_cmpx_ne_u32_e32 0, v14
	s_cbranch_execz .LBB4_3301
; %bb.3300:                             ;   in Loop: Header=BB4_3276 Depth=3
	ds_read_b64 v[10:11], v0 offset:872
	s_waitcnt lgkmcnt(0)
	v_add_co_u32 v10, vcc_lo, v10, 1
	v_add_co_ci_u32_e64 v11, null, 0, v11, vcc_lo
	ds_write_b64 v0, v[10:11] offset:872
.LBB4_3301:                             ;   in Loop: Header=BB4_3276 Depth=3
	s_or_b32 exec_lo, exec_lo, s16
	v_mov_b32_e32 v65, v9
	v_mov_b32_e32 v64, v8
.LBB4_3302:                             ;   in Loop: Header=BB4_3276 Depth=3
	s_or_b32 exec_lo, exec_lo, s22
	s_xor_b32 s16, s21, -1
	s_and_b32 s16, exec_lo, s16
	s_or_b32 s19, s16, s19
	s_and_saveexec_b32 s16, s6
	s_cbranch_execz .LBB4_3321
; %bb.3303:                             ;   in Loop: Header=BB4_3276 Depth=3
	s_and_saveexec_b32 s21, s29
	s_xor_b32 s21, exec_lo, s21
	s_cbranch_execz .LBB4_3318
; %bb.3304:                             ;   in Loop: Header=BB4_3276 Depth=3
	s_and_saveexec_b32 s22, s11
	s_cbranch_execz .LBB4_3317
; %bb.3305:                             ;   in Loop: Header=BB4_3276 Depth=3
	s_mov_b32 s61, exec_lo
	s_mov_b32 s23, exec_lo
	v_mbcnt_lo_u32_b32 v3, s61, 0
	s_waitcnt vmcnt(0) lgkmcnt(0)
	s_waitcnt_vscnt null, 0x0
	buffer_gl1_inv
	buffer_gl0_inv
	v_cmpx_eq_u32_e32 0, v3
	s_cbranch_execz .LBB4_3307
; %bb.3306:                             ;   in Loop: Header=BB4_3276 Depth=3
	s_bcnt1_i32_b32 s61, s61
	v_mov_b32_e32 v9, v2
	v_mov_b32_e32 v8, s61
	ds_add_u64 v0, v[8:9]
	s_trap 2
.LBB4_3307:                             ;   in Loop: Header=BB4_3276 Depth=3
	s_or_b32 exec_lo, exec_lo, s23
	s_trap 2
	ds_read_b64 v[8:9], v0
	s_waitcnt lgkmcnt(0)
	buffer_gl0_inv
	v_add_co_u32 v38, vcc_lo, v38, v103
	v_add_co_ci_u32_e64 v39, null, 0, v39, vcc_lo
	s_mov_b32 s23, exec_lo
	v_cmpx_lt_u64_e64 v[8:9], v[38:39]
	s_cbranch_execz .LBB4_3316
; %bb.3308:                             ;   in Loop: Header=BB4_3276 Depth=3
	s_mov_b32 s61, 0
	s_mov_b32 s72, 0
                                        ; implicit-def: $sgpr62
                                        ; implicit-def: $sgpr63
	s_inst_prefetch 0x1
	s_branch .LBB4_3310
	.p2align	6
.LBB4_3309:                             ;   in Loop: Header=BB4_3310 Depth=4
	s_or_b32 exec_lo, exec_lo, s74
	s_and_b32 s73, exec_lo, s75
	s_or_b32 s61, s73, s61
	s_andn2_b32 s62, s62, exec_lo
	s_and_b32 s73, s63, exec_lo
	s_or_b32 s62, s62, s73
	s_andn2_b32 exec_lo, exec_lo, s61
	s_cbranch_execz .LBB4_3314
.LBB4_3310:                             ;   Parent Loop BB4_47 Depth=1
                                        ;     Parent Loop BB4_269 Depth=2
                                        ;       Parent Loop BB4_3276 Depth=3
                                        ; =>      This Inner Loop Header: Depth=4
	s_add_i32 s72, s72, 1
	s_cmpk_lg_i32 s72, 0x2710
	s_cselect_b32 s73, -1, 0
	s_and_b32 vcc_lo, exec_lo, s73
	s_cbranch_vccz .LBB4_3312
; %bb.3311:                             ;   in Loop: Header=BB4_3310 Depth=4
	s_mov_b32 s75, -1
	s_or_b32 s63, s63, exec_lo
	s_and_saveexec_b32 s74, s73
	s_cbranch_execz .LBB4_3309
	s_branch .LBB4_3313
	.p2align	6
.LBB4_3312:                             ;   in Loop: Header=BB4_3310 Depth=4
	s_trap 2
	ds_read_b64 v[8:9], v0
	s_andn2_b32 s73, s73, exec_lo
	s_mov_b32 s72, 0
	s_waitcnt lgkmcnt(0)
	flat_load_dword v3, v[8:9] glc dlc
	s_waitcnt vmcnt(0) lgkmcnt(0)
	buffer_gl1_inv
	buffer_gl0_inv
	v_cmp_eq_u32_e32 vcc_lo, 0, v3
	s_and_b32 s74, vcc_lo, exec_lo
	s_or_b32 s73, s73, s74
	s_mov_b32 s75, -1
	s_or_b32 s63, s63, exec_lo
	s_and_saveexec_b32 s74, s73
	s_cbranch_execz .LBB4_3309
.LBB4_3313:                             ;   in Loop: Header=BB4_3310 Depth=4
	s_sleep 1
	s_trap 2
	ds_read_b64 v[8:9], v0
	s_waitcnt lgkmcnt(0)
	buffer_gl0_inv
	s_andn2_b32 s63, s63, exec_lo
	v_cmp_ge_u64_e32 vcc_lo, v[8:9], v[38:39]
	s_orn2_b32 s75, vcc_lo, exec_lo
	s_branch .LBB4_3309
.LBB4_3314:                             ;   in Loop: Header=BB4_3276 Depth=3
	s_inst_prefetch 0x2
	s_or_b32 exec_lo, exec_lo, s61
	s_and_saveexec_b32 s61, s62
	s_xor_b32 s61, exec_lo, s61
	s_cbranch_execz .LBB4_3316
; %bb.3315:                             ;   in Loop: Header=BB4_3276 Depth=3
	ds_write_b32 v0, v115
	s_trap 2
.LBB4_3316:                             ;   in Loop: Header=BB4_3276 Depth=3
	s_or_b32 exec_lo, exec_lo, s23
	;;#ASMSTART
	s_wakeup
	;;#ASMEND
.LBB4_3317:                             ;   in Loop: Header=BB4_3276 Depth=3
	s_or_b32 exec_lo, exec_lo, s22
.LBB4_3318:                             ;   in Loop: Header=BB4_3276 Depth=3
	s_andn2_saveexec_b32 s21, s21
	s_cbranch_execz .LBB4_3320
; %bb.3319:                             ;   in Loop: Header=BB4_3276 Depth=3
	s_waitcnt vmcnt(0) lgkmcnt(0)
	s_waitcnt_vscnt null, 0x0
	buffer_gl1_inv
	buffer_gl0_inv
	s_barrier
.LBB4_3320:                             ;   in Loop: Header=BB4_3276 Depth=3
	s_or_b32 exec_lo, exec_lo, s21
.LBB4_3321:                             ;   in Loop: Header=BB4_3276 Depth=3
	s_or_b32 exec_lo, exec_lo, s16
                                        ; implicit-def: $vgpr3
	s_and_saveexec_b32 s16, s47
	s_xor_b32 s16, exec_lo, s16
	s_cbranch_execz .LBB4_3333
; %bb.3322:                             ;   in Loop: Header=BB4_3276 Depth=3
	s_and_saveexec_b32 s21, s29
	s_xor_b32 s21, exec_lo, s21
	s_cbranch_execz .LBB4_3338
; %bb.3323:                             ;   in Loop: Header=BB4_3276 Depth=3
	s_and_saveexec_b32 s22, s11
	s_cbranch_execz .LBB4_3337
; %bb.3324:                             ;   in Loop: Header=BB4_3276 Depth=3
	s_mov_b32 s61, exec_lo
	s_mov_b32 s23, exec_lo
	v_mbcnt_lo_u32_b32 v3, s61, 0
	;;#ASMSTART
	s_waitcnt lgkmcnt(0) vmcnt(0)
	;;#ASMEND
	v_cmpx_eq_u32_e32 0, v3
	s_cbranch_execz .LBB4_3326
; %bb.3325:                             ;   in Loop: Header=BB4_3276 Depth=3
	s_bcnt1_i32_b32 s61, s61
	v_mov_b32_e32 v9, v2
	v_mov_b32_e32 v8, s61
	s_waitcnt vmcnt(0) lgkmcnt(0)
	s_waitcnt_vscnt null, 0x0
	ds_add_u64 v0, v[8:9]
	s_trap 2
.LBB4_3326:                             ;   in Loop: Header=BB4_3276 Depth=3
	s_or_b32 exec_lo, exec_lo, s23
	s_trap 2
	ds_read_b64 v[8:9], v0
	s_waitcnt vmcnt(0) lgkmcnt(0)
	buffer_gl0_inv
	v_add_co_u32 v38, vcc_lo, v38, v103
	v_add_co_ci_u32_e64 v39, null, 0, v39, vcc_lo
	s_mov_b32 s23, exec_lo
	v_cmpx_lt_u64_e64 v[8:9], v[38:39]
	s_cbranch_execz .LBB4_3336
; %bb.3327:                             ;   in Loop: Header=BB4_3276 Depth=3
	s_mov_b32 s61, 0
	s_mov_b32 s72, 0
                                        ; implicit-def: $sgpr62
                                        ; implicit-def: $sgpr63
	s_inst_prefetch 0x1
	s_branch .LBB4_3329
	.p2align	6
.LBB4_3328:                             ;   in Loop: Header=BB4_3329 Depth=4
	s_or_b32 exec_lo, exec_lo, s74
	s_and_b32 s73, exec_lo, s75
	s_or_b32 s61, s73, s61
	s_andn2_b32 s62, s62, exec_lo
	s_and_b32 s73, s63, exec_lo
	s_or_b32 s62, s62, s73
	s_andn2_b32 exec_lo, exec_lo, s61
	s_cbranch_execz .LBB4_3334
.LBB4_3329:                             ;   Parent Loop BB4_47 Depth=1
                                        ;     Parent Loop BB4_269 Depth=2
                                        ;       Parent Loop BB4_3276 Depth=3
                                        ; =>      This Inner Loop Header: Depth=4
	s_add_i32 s72, s72, 1
	s_cmpk_lg_i32 s72, 0x2710
	s_cselect_b32 s73, -1, 0
	s_and_b32 vcc_lo, exec_lo, s73
	s_cbranch_vccz .LBB4_3331
; %bb.3330:                             ;   in Loop: Header=BB4_3329 Depth=4
	s_mov_b32 s75, -1
	s_or_b32 s63, s63, exec_lo
	s_and_saveexec_b32 s74, s73
	s_cbranch_execz .LBB4_3328
	s_branch .LBB4_3332
	.p2align	6
.LBB4_3331:                             ;   in Loop: Header=BB4_3329 Depth=4
	s_trap 2
	ds_read_b64 v[8:9], v0
	s_andn2_b32 s73, s73, exec_lo
	s_mov_b32 s72, 0
	s_waitcnt lgkmcnt(0)
	s_waitcnt_vscnt null, 0x0
	flat_load_dword v3, v[8:9] glc dlc
	s_waitcnt vmcnt(0) lgkmcnt(0)
	buffer_gl1_inv
	buffer_gl0_inv
	v_cmp_eq_u32_e32 vcc_lo, 0, v3
	s_and_b32 s74, vcc_lo, exec_lo
	s_or_b32 s73, s73, s74
	s_mov_b32 s75, -1
	s_or_b32 s63, s63, exec_lo
	s_and_saveexec_b32 s74, s73
	s_cbranch_execz .LBB4_3328
.LBB4_3332:                             ;   in Loop: Header=BB4_3329 Depth=4
	s_sleep 1
	s_trap 2
	ds_read_b64 v[8:9], v0
	s_waitcnt lgkmcnt(0)
	buffer_gl0_inv
	s_andn2_b32 s63, s63, exec_lo
	v_cmp_ge_u64_e32 vcc_lo, v[8:9], v[38:39]
	s_orn2_b32 s75, vcc_lo, exec_lo
	s_branch .LBB4_3328
.LBB4_3333:                             ;   in Loop: Header=BB4_3276 Depth=3
	s_andn2_saveexec_b32 s21, s16
	s_cbranch_execnz .LBB4_3341
	s_branch .LBB4_3344
.LBB4_3334:                             ;   in Loop: Header=BB4_3276 Depth=3
	s_inst_prefetch 0x2
	s_or_b32 exec_lo, exec_lo, s61
	s_and_saveexec_b32 s61, s62
	s_xor_b32 s61, exec_lo, s61
	s_cbranch_execz .LBB4_3336
; %bb.3335:                             ;   in Loop: Header=BB4_3276 Depth=3
	ds_write_b32 v0, v115
	s_trap 2
.LBB4_3336:                             ;   in Loop: Header=BB4_3276 Depth=3
	s_or_b32 exec_lo, exec_lo, s23
	;;#ASMSTART
	s_wakeup
	;;#ASMEND
.LBB4_3337:                             ;   in Loop: Header=BB4_3276 Depth=3
	s_or_b32 exec_lo, exec_lo, s22
.LBB4_3338:                             ;   in Loop: Header=BB4_3276 Depth=3
	s_andn2_saveexec_b32 s21, s21
	s_cbranch_execz .LBB4_3340
; %bb.3339:                             ;   in Loop: Header=BB4_3276 Depth=3
	;;#ASMSTART
	s_waitcnt lgkmcnt(0) vmcnt(0)
	;;#ASMEND
	s_barrier
.LBB4_3340:                             ;   in Loop: Header=BB4_3276 Depth=3
	s_or_b32 exec_lo, exec_lo, s21
	v_and_b32_e32 v3, 16, v100
	s_andn2_saveexec_b32 s21, s16
	s_cbranch_execz .LBB4_3344
.LBB4_3341:                             ;   in Loop: Header=BB4_3276 Depth=3
	s_trap 2
	ds_read_b32 v3, v0
	v_cmp_lt_i32_e32 vcc_lo, 0, v68
	s_waitcnt lgkmcnt(0)
	v_readfirstlane_b32 s16, v3
	v_and_b32_e32 v3, 16, v100
	s_cmp_eq_u32 s16, 0
	v_cmp_ne_u32_e64 s16, 0, v3
	s_cselect_b32 s22, -1, 0
	v_and_b32_e32 v3, 16, v100
	s_and_b32 s22, vcc_lo, s22
	s_and_b32 s22, s16, s22
	s_and_saveexec_b32 s16, s22
	s_cbranch_execz .LBB4_3343
; %bb.3342:                             ;   in Loop: Header=BB4_3276 Depth=3
	v_mov_b32_e32 v3, 1
	s_waitcnt vmcnt(0)
	s_waitcnt_vscnt null, 0x0
	buffer_gl1_inv
	buffer_gl0_inv
.LBB4_3343:                             ;   in Loop: Header=BB4_3276 Depth=3
	s_or_b32 exec_lo, exec_lo, s16
.LBB4_3344:                             ;   in Loop: Header=BB4_3276 Depth=3
	s_or_b32 exec_lo, exec_lo, s21
	v_cmp_ne_u32_e32 vcc_lo, 0, v3
	s_xor_b32 s16, s7, -1
	s_and_b32 s21, vcc_lo, s16
	s_and_saveexec_b32 s16, s21
	s_cbranch_execz .LBB4_3346
; %bb.3345:                             ;   in Loop: Header=BB4_3276 Depth=3
	s_waitcnt vmcnt(0) lgkmcnt(0)
	s_waitcnt_vscnt null, 0x0
	flat_store_dword v[36:37], v115
.LBB4_3346:                             ;   in Loop: Header=BB4_3276 Depth=3
	s_or_b32 exec_lo, exec_lo, s16
	v_and_b32_e32 v3, 48, v100
	s_mov_b32 s16, exec_lo
	v_cmpx_ne_u32_e32 0, v3
	s_cbranch_execz .LBB4_3275
; %bb.3347:                             ;   in Loop: Header=BB4_3276 Depth=3
	v_add_co_u32 v64, vcc_lo, v64, 2
	v_add_co_ci_u32_e64 v65, null, 0, v65, vcc_lo
	s_waitcnt vmcnt(0) lgkmcnt(0)
	s_waitcnt_vscnt null, 0x0
	flat_store_dwordx2 v[32:33], v[64:65]
	s_branch .LBB4_3275
.LBB4_3348:                             ;   in Loop: Header=BB4_47 Depth=1
	v_mul_lo_u32 v3, v55, s25
	v_mul_lo_u32 v10, v54, s28
	v_mad_u64_u32 v[8:9], null, v54, s25, 0
	v_mov_b32_e32 v71, 0
	v_add3_u32 v9, v9, v10, v3
	v_sub_co_u32 v10, vcc_lo, v66, v8
	v_sub_co_ci_u32_e64 v11, null, v67, v9, vcc_lo
	v_cmp_lt_i64_e32 vcc_lo, v[54:55], v[10:11]
	v_cndmask_b32_e32 v11, v10, v54, vcc_lo
	v_max_i32_e32 v3, 0, v11
	v_cmp_lt_i32_e32 vcc_lo, 0, v11
	v_add_nc_u32_e32 v10, 31, v3
	s_and_b32 s16, s57, vcc_lo
	v_lshrrev_b32_e32 v10, 1, v10
	v_and_b32_e32 v12, 0x3ffffff0, v10
	v_mov_b32_e32 v10, 0
	v_max_i32_e32 v68, s45, v12
	s_and_saveexec_b32 s21, s16
	s_cbranch_execnz .LBB4_3349
; %bb.9833:                             ;   in Loop: Header=BB4_47 Depth=1
	s_getpc_b64 s[34:35]
.Lpost_getpc10:
	s_add_u32 s34, s34, (.LBB4_9245-.Lpost_getpc10)&4294967295
	s_addc_u32 s35, s35, (.LBB4_9245-.Lpost_getpc10)>>32
	s_setpc_b64 s[34:35]
.LBB4_3349:                             ;   in Loop: Header=BB4_47 Depth=1
	v_add_co_u32 v74, vcc_lo, v8, v72
	v_add_co_ci_u32_e64 v75, null, v9, v73, vcc_lo
	v_mov_b32_e32 v71, 0
	s_mov_b32 s63, 1
	s_mov_b32 s62, -1
	s_mov_b32 s61, 0
	s_branch .LBB4_3351
.LBB4_3350:                             ;   in Loop: Header=BB4_3351 Depth=2
	s_or_b32 exec_lo, exec_lo, s16
	v_add_nc_u32_e32 v71, v68, v71
	s_xor_b32 s16, s62, -1
	v_mov_b32_e32 v10, s63
	s_mov_b32 s62, 0
	s_mov_b32 s63, 2
	v_cmp_ge_i32_e32 vcc_lo, v71, v3
	s_or_b32 s16, s16, vcc_lo
	s_and_b32 s16, exec_lo, s16
	s_or_b32 s61, s16, s61
	s_andn2_b32 exec_lo, exec_lo, s61
	s_cbranch_execnz .LBB4_3351
; %bb.9835:                             ;   in Loop: Header=BB4_47 Depth=1
	s_getpc_b64 s[34:35]
.Lpost_getpc11:
	s_add_u32 s34, s34, (.LBB4_9244-.Lpost_getpc11)&4294967295
	s_addc_u32 s35, s35, (.LBB4_9244-.Lpost_getpc11)>>32
	s_setpc_b64 s[34:35]
.LBB4_3351:                             ;   Parent Loop BB4_47 Depth=1
                                        ; =>  This Loop Header: Depth=2
                                        ;       Child Loop BB4_3359 Depth 3
                                        ;       Child Loop BB4_3387 Depth 3
	;; [unrolled: 1-line block ×5, first 2 shown]
                                        ;         Child Loop BB4_5423 Depth 4
                                        ;       Child Loop BB4_5561 Depth 3
                                        ;       Child Loop BB4_6267 Depth 3
                                        ;         Child Loop BB4_6304 Depth 4
                                        ;       Child Loop BB4_6327 Depth 3
                                        ;       Child Loop BB4_7740 Depth 3
	;; [unrolled: 1-line block ×6, first 2 shown]
	s_and_saveexec_b32 s17, s4
	s_cbranch_execz .LBB4_3353
; %bb.3352:                             ;   in Loop: Header=BB4_3351 Depth=2
	s_trap 2
	ds_read2_b64 v[8:11], v0 offset1:1
	ds_read_b64 v[12:13], v0
	v_ashrrev_i32_e32 v14, 31, v71
	s_waitcnt lgkmcnt(1)
	v_add_co_u32 v8, vcc_lo, v8, v74
	v_add_co_ci_u32_e64 v9, null, v9, v75, vcc_lo
	v_add_co_u32 v10, vcc_lo, v10, v74
	v_add_co_ci_u32_e64 v11, null, v11, v75, vcc_lo
	s_waitcnt lgkmcnt(0)
	v_add_co_u32 v15, vcc_lo, v12, v74
	v_add_co_ci_u32_e64 v16, null, v13, v75, vcc_lo
	v_add_co_u32 v8, vcc_lo, v8, v71
	v_add_co_ci_u32_e64 v9, null, v9, v14, vcc_lo
	;; [unrolled: 2-line block ×3, first 2 shown]
	v_cmp_ne_u64_e32 vcc_lo, 0, v[12:13]
	v_add_co_u32 v10, s16, v10, v71
	v_add_co_ci_u32_e64 v11, null, v11, v14, s16
	v_cndmask_b32_e32 v13, 0, v16, vcc_lo
	v_cndmask_b32_e32 v12, 0, v15, vcc_lo
	ds_write_b64 v0, v[8:9]
	ds_write_b64 v0, v[10:11]
	;; [unrolled: 1-line block ×3, first 2 shown]
.LBB4_3353:                             ;   in Loop: Header=BB4_3351 Depth=2
	s_or_b32 exec_lo, exec_lo, s17
	v_sub_nc_u32_e32 v8, v3, v71
	v_and_b32_e32 v9, 12, v100
	s_mov_b32 s17, exec_lo
	v_min_i32_e32 v68, v68, v8
	v_cmpx_ne_u32_e32 0, v9
	s_cbranch_execz .LBB4_3379
; %bb.3354:                             ;   in Loop: Header=BB4_3351 Depth=2
	v_and_b32_e32 v16, 8, v100
	s_mov_b32 s18, exec_lo
	s_waitcnt vmcnt(0) lgkmcnt(1)
	v_add_co_u32 v10, vcc_lo, v48, v16
	v_add_co_ci_u32_e64 v11, null, 0, v49, vcc_lo
	v_add_co_u32 v8, vcc_lo, v64, 2
	v_add_co_ci_u32_e64 v9, null, 0, v65, vcc_lo
	v_cmpx_lt_u64_e64 v[10:11], v[8:9]
	s_cbranch_execz .LBB4_3366
; %bb.3355:                             ;   in Loop: Header=BB4_3351 Depth=2
	v_and_b32_e32 v10, 64, v100
	s_mov_b32 s19, 0
	s_mov_b32 s73, 0
                                        ; implicit-def: $sgpr22
                                        ; implicit-def: $sgpr23
                                        ; implicit-def: $sgpr72
	v_cmp_eq_u32_e32 vcc_lo, 0, v10
	s_branch .LBB4_3359
.LBB4_3356:                             ;   in Loop: Header=BB4_3359 Depth=3
	s_waitcnt vmcnt(0) lgkmcnt(0)
	v_add_co_u32 v11, s16, v48, v16
	v_add_co_ci_u32_e64 v12, null, 0, v49, s16
	s_or_b32 s76, s76, exec_lo
	v_cmp_ge_u64_e64 s16, v[11:12], v[8:9]
	s_orn2_b32 s75, s16, exec_lo
.LBB4_3357:                             ;   in Loop: Header=BB4_3359 Depth=3
	s_or_b32 exec_lo, exec_lo, s78
	s_andn2_b32 s16, s72, exec_lo
	s_and_b32 s72, s76, exec_lo
	s_andn2_b32 s23, s23, exec_lo
	s_and_b32 s75, s75, exec_lo
	s_or_b32 s72, s16, s72
	s_or_b32 s23, s23, s75
.LBB4_3358:                             ;   in Loop: Header=BB4_3359 Depth=3
	s_or_b32 exec_lo, exec_lo, s74
	s_and_b32 s16, exec_lo, s23
	s_or_b32 s19, s16, s19
	s_andn2_b32 s16, s22, exec_lo
	s_and_b32 s22, s72, exec_lo
	s_or_b32 s22, s16, s22
	s_andn2_b32 exec_lo, exec_lo, s19
	s_cbranch_execz .LBB4_3363
.LBB4_3359:                             ;   Parent Loop BB4_47 Depth=1
                                        ;     Parent Loop BB4_3351 Depth=2
                                        ; =>    This Inner Loop Header: Depth=3
	s_sleep 1
	s_waitcnt vmcnt(0) lgkmcnt(0)
	flat_load_dwordx2 v[48:49], v[32:33] glc dlc
	s_or_b32 s72, s72, exec_lo
	s_or_b32 s23, s23, exec_lo
                                        ; implicit-def: $vgpr10
	s_and_saveexec_b32 s74, vcc_lo
	s_cbranch_execz .LBB4_3358
; %bb.3360:                             ;   in Loop: Header=BB4_3359 Depth=3
	s_cmpk_lt_i32 s73, 0x270f
	s_mov_b32 s75, -1
	s_cselect_b32 s77, -1, 0
	s_cmpk_gt_i32 s73, 0x270e
	s_cbranch_scc0 .LBB4_3362
; %bb.3361:                             ;   in Loop: Header=BB4_3359 Depth=3
	s_trap 2
	ds_read_b64 v[10:11], v0
	s_andn2_b32 s73, s77, exec_lo
	s_mov_b32 s76, 0
	s_waitcnt vmcnt(0) lgkmcnt(0)
	s_waitcnt_vscnt null, 0x0
	flat_load_dword v10, v[10:11] glc dlc
	s_waitcnt vmcnt(0) lgkmcnt(0)
	buffer_gl1_inv
	buffer_gl0_inv
	v_cmp_eq_u32_e64 s16, 0, v10
	s_and_b32 s16, s16, exec_lo
	s_or_b32 s77, s73, s16
	s_mov_b32 s73, 0
	s_and_saveexec_b32 s78, s77
	s_cbranch_execz .LBB4_3357
	s_branch .LBB4_3356
.LBB4_3362:                             ;   in Loop: Header=BB4_3359 Depth=3
	s_add_i32 s73, s73, 1
	s_mov_b32 s76, -1
                                        ; implicit-def: $vgpr10
	s_and_saveexec_b32 s78, s77
	s_cbranch_execz .LBB4_3357
	s_branch .LBB4_3356
.LBB4_3363:                             ;   in Loop: Header=BB4_3351 Depth=2
	s_or_b32 exec_lo, exec_lo, s19
	s_xor_b32 s16, s22, -1
	s_and_saveexec_b32 s19, s16
	s_xor_b32 s16, exec_lo, s19
	s_cbranch_execz .LBB4_3365
; %bb.3364:                             ;   in Loop: Header=BB4_3351 Depth=2
	v_or_b32_e32 v100, 64, v100
	s_waitcnt vmcnt(0) lgkmcnt(0)
	s_waitcnt_vscnt null, 0x0
	ds_write_b32 v0, v10
	s_trap 2
.LBB4_3365:                             ;   in Loop: Header=BB4_3351 Depth=2
	s_or_b32 exec_lo, exec_lo, s16
.LBB4_3366:                             ;   in Loop: Header=BB4_3351 Depth=2
	s_or_b32 exec_lo, exec_lo, s18
	v_and_b32_e32 v10, 0x108, v100
	;;#ASMSTART
	s_wakeup
	;;#ASMEND
	v_cmp_ne_u32_e32 vcc_lo, 0x108, v10
                                        ; implicit-def: $vgpr10_vgpr11
	s_and_saveexec_b32 s16, vcc_lo
	s_xor_b32 s16, exec_lo, s16
; %bb.3367:                             ;   in Loop: Header=BB4_3351 Depth=2
	v_and_b32_e32 v10, 7, v64
	v_mov_b32_e32 v11, v2
                                        ; implicit-def: $vgpr64_vgpr65
; %bb.3368:                             ;   in Loop: Header=BB4_3351 Depth=2
	s_andn2_saveexec_b32 s16, s16
	s_cbranch_execz .LBB4_3370
; %bb.3369:                             ;   in Loop: Header=BB4_3351 Depth=2
	v_and_b32_e32 v10, 7, v64
	v_ashrrev_i32_e32 v69, 31, v68
	v_mov_b32_e32 v11, v2
	v_mad_u64_u32 v[12:13], null, v10, 24, v[6:7]
	flat_store_dwordx2 v[12:13], v[68:69] offset:8
.LBB4_3370:                             ;   in Loop: Header=BB4_3351 Depth=2
	s_or_b32 exec_lo, exec_lo, s16
	v_and_b32_e32 v12, 0x100, v100
	s_mov_b32 s16, -1
	v_cmp_ne_u32_e32 vcc_lo, 0, v12
                                        ; implicit-def: $vgpr12_vgpr13
	s_and_saveexec_b32 s18, vcc_lo
	s_cbranch_execz .LBB4_3374
; %bb.3371:                             ;   in Loop: Header=BB4_3351 Depth=2
	v_mad_u64_u32 v[14:15], null, v10, 24, v[6:7]
	v_mov_b32_e32 v12, v15
	v_mad_u64_u32 v[12:13], null, v11, 24, v[12:13]
	v_mov_b32_e32 v15, v12
	flat_load_dword v12, v[14:15]
	s_waitcnt vmcnt(0) lgkmcnt(0)
	v_cmp_eq_u32_e64 s16, 1, v12
	v_cmp_ne_u32_e32 vcc_lo, 1, v12
                                        ; implicit-def: $vgpr12_vgpr13
	s_and_saveexec_b32 s19, s16
	s_cbranch_execz .LBB4_3373
; %bb.3372:                             ;   in Loop: Header=BB4_3351 Depth=2
	flat_load_dword v12, v[14:15] offset:4 glc dlc
	s_waitcnt vmcnt(0) lgkmcnt(0)
	v_ashrrev_i32_e32 v13, 31, v12
.LBB4_3373:                             ;   in Loop: Header=BB4_3351 Depth=2
	s_or_b32 exec_lo, exec_lo, s19
	s_orn2_b32 s16, vcc_lo, exec_lo
.LBB4_3374:                             ;   in Loop: Header=BB4_3351 Depth=2
	s_or_b32 exec_lo, exec_lo, s18
	s_and_saveexec_b32 s18, s16
; %bb.3375:                             ;   in Loop: Header=BB4_3351 Depth=2
	v_mul_lo_u32 v11, v11, v101
	v_mul_lo_u32 v14, v10, v102
	v_mad_u64_u32 v[12:13], null, v10, v101, 0
	v_add3_u32 v13, v13, v14, v11
; %bb.3376:                             ;   in Loop: Header=BB4_3351 Depth=2
	s_or_b32 exec_lo, exec_lo, s18
	v_cmp_eq_u32_e32 vcc_lo, 0, v16
	v_and_b32_e32 v15, 0x2000, v100
	s_mov_b32 s16, exec_lo
	v_cndmask_b32_e32 v14, 0xd0, v116, vcc_lo
	v_add_co_u32 v10, vcc_lo, v34, v12
	v_add_co_ci_u32_e64 v11, null, v35, v13, vcc_lo
	v_add_nc_u32_e32 v12, v0, v14
	ds_write_b64 v12, v[10:11] offset:584
	v_cmpx_ne_u32_e32 0, v15
	s_cbranch_execz .LBB4_3378
; %bb.3377:                             ;   in Loop: Header=BB4_3351 Depth=2
	ds_read_b64 v[10:11], v0 offset:872
	s_waitcnt lgkmcnt(0)
	v_add_co_u32 v10, vcc_lo, v10, 1
	v_add_co_ci_u32_e64 v11, null, 0, v11, vcc_lo
	ds_write_b64 v0, v[10:11] offset:872
.LBB4_3378:                             ;   in Loop: Header=BB4_3351 Depth=2
	s_or_b32 exec_lo, exec_lo, s16
	v_mov_b32_e32 v65, v9
	v_mov_b32_e32 v64, v8
.LBB4_3379:                             ;   in Loop: Header=BB4_3351 Depth=2
	s_or_b32 exec_lo, exec_lo, s17
	s_and_saveexec_b32 s16, s6
	s_cbranch_execz .LBB4_3398
; %bb.3380:                             ;   in Loop: Header=BB4_3351 Depth=2
	s_and_saveexec_b32 s17, s29
	s_xor_b32 s17, exec_lo, s17
	s_cbranch_execz .LBB4_3395
; %bb.3381:                             ;   in Loop: Header=BB4_3351 Depth=2
	s_and_saveexec_b32 s18, s11
	s_cbranch_execz .LBB4_3394
; %bb.3382:                             ;   in Loop: Header=BB4_3351 Depth=2
	s_mov_b32 s22, exec_lo
	s_mov_b32 s19, exec_lo
	v_mbcnt_lo_u32_b32 v8, s22, 0
	s_waitcnt vmcnt(0) lgkmcnt(0)
	s_waitcnt_vscnt null, 0x0
	buffer_gl1_inv
	buffer_gl0_inv
	v_cmpx_eq_u32_e32 0, v8
	s_cbranch_execz .LBB4_3384
; %bb.3383:                             ;   in Loop: Header=BB4_3351 Depth=2
	s_bcnt1_i32_b32 s22, s22
	v_mov_b32_e32 v9, v2
	v_mov_b32_e32 v8, s22
	ds_add_u64 v0, v[8:9]
	s_trap 2
.LBB4_3384:                             ;   in Loop: Header=BB4_3351 Depth=2
	s_or_b32 exec_lo, exec_lo, s19
	s_trap 2
	ds_read_b64 v[8:9], v0
	s_waitcnt lgkmcnt(0)
	buffer_gl0_inv
	v_add_co_u32 v38, vcc_lo, v38, v103
	v_add_co_ci_u32_e64 v39, null, 0, v39, vcc_lo
	s_mov_b32 s19, exec_lo
	v_cmpx_lt_u64_e64 v[8:9], v[38:39]
	s_cbranch_execz .LBB4_3393
; %bb.3385:                             ;   in Loop: Header=BB4_3351 Depth=2
	s_mov_b32 s22, 0
	s_mov_b32 s73, 0
                                        ; implicit-def: $sgpr23
                                        ; implicit-def: $sgpr72
	s_inst_prefetch 0x1
	s_branch .LBB4_3387
	.p2align	6
.LBB4_3386:                             ;   in Loop: Header=BB4_3387 Depth=3
	s_or_b32 exec_lo, exec_lo, s75
	s_and_b32 s74, exec_lo, s76
	s_or_b32 s22, s74, s22
	s_andn2_b32 s23, s23, exec_lo
	s_and_b32 s74, s72, exec_lo
	s_or_b32 s23, s23, s74
	s_andn2_b32 exec_lo, exec_lo, s22
	s_cbranch_execz .LBB4_3391
.LBB4_3387:                             ;   Parent Loop BB4_47 Depth=1
                                        ;     Parent Loop BB4_3351 Depth=2
                                        ; =>    This Inner Loop Header: Depth=3
	s_add_i32 s73, s73, 1
	s_cmpk_lg_i32 s73, 0x2710
	s_cselect_b32 s74, -1, 0
	s_and_b32 vcc_lo, exec_lo, s74
	s_cbranch_vccz .LBB4_3389
; %bb.3388:                             ;   in Loop: Header=BB4_3387 Depth=3
	s_mov_b32 s76, -1
	s_or_b32 s72, s72, exec_lo
	s_and_saveexec_b32 s75, s74
	s_cbranch_execz .LBB4_3386
	s_branch .LBB4_3390
	.p2align	6
.LBB4_3389:                             ;   in Loop: Header=BB4_3387 Depth=3
	s_trap 2
	ds_read_b64 v[8:9], v0
	s_andn2_b32 s74, s74, exec_lo
	s_mov_b32 s73, 0
	s_waitcnt lgkmcnt(0)
	flat_load_dword v8, v[8:9] glc dlc
	s_waitcnt vmcnt(0) lgkmcnt(0)
	buffer_gl1_inv
	buffer_gl0_inv
	v_cmp_eq_u32_e32 vcc_lo, 0, v8
	s_and_b32 s75, vcc_lo, exec_lo
	s_or_b32 s74, s74, s75
	s_mov_b32 s76, -1
	s_or_b32 s72, s72, exec_lo
	s_and_saveexec_b32 s75, s74
	s_cbranch_execz .LBB4_3386
.LBB4_3390:                             ;   in Loop: Header=BB4_3387 Depth=3
	s_sleep 1
	s_trap 2
	ds_read_b64 v[8:9], v0
	s_waitcnt lgkmcnt(0)
	buffer_gl0_inv
	s_andn2_b32 s72, s72, exec_lo
	v_cmp_ge_u64_e32 vcc_lo, v[8:9], v[38:39]
	s_orn2_b32 s76, vcc_lo, exec_lo
	s_branch .LBB4_3386
.LBB4_3391:                             ;   in Loop: Header=BB4_3351 Depth=2
	s_inst_prefetch 0x2
	s_or_b32 exec_lo, exec_lo, s22
	s_and_saveexec_b32 s22, s23
	s_xor_b32 s22, exec_lo, s22
	s_cbranch_execz .LBB4_3393
; %bb.3392:                             ;   in Loop: Header=BB4_3351 Depth=2
	ds_write_b32 v0, v115
	s_trap 2
.LBB4_3393:                             ;   in Loop: Header=BB4_3351 Depth=2
	s_or_b32 exec_lo, exec_lo, s19
	;;#ASMSTART
	s_wakeup
	;;#ASMEND
.LBB4_3394:                             ;   in Loop: Header=BB4_3351 Depth=2
	s_or_b32 exec_lo, exec_lo, s18
.LBB4_3395:                             ;   in Loop: Header=BB4_3351 Depth=2
	s_andn2_saveexec_b32 s17, s17
	s_cbranch_execz .LBB4_3397
; %bb.3396:                             ;   in Loop: Header=BB4_3351 Depth=2
	s_waitcnt vmcnt(0) lgkmcnt(0)
	s_waitcnt_vscnt null, 0x0
	buffer_gl1_inv
	buffer_gl0_inv
	s_barrier
.LBB4_3397:                             ;   in Loop: Header=BB4_3351 Depth=2
	s_or_b32 exec_lo, exec_lo, s17
.LBB4_3398:                             ;   in Loop: Header=BB4_3351 Depth=2
	s_or_b32 exec_lo, exec_lo, s16
	s_trap 2
	ds_read_b32 v8, v0
	v_and_b32_e32 v9, 0x4000, v100
	s_xor_b32 s16, s5, -1
	v_cmp_ne_u32_e32 vcc_lo, 0, v9
	s_and_b32 s17, s16, vcc_lo
	s_and_saveexec_b32 s16, s17
	s_cbranch_execz .LBB4_3417
; %bb.3399:                             ;   in Loop: Header=BB4_3351 Depth=2
	s_and_saveexec_b32 s17, s29
	s_xor_b32 s17, exec_lo, s17
	s_cbranch_execz .LBB4_3414
; %bb.3400:                             ;   in Loop: Header=BB4_3351 Depth=2
	s_and_saveexec_b32 s18, s11
	s_cbranch_execz .LBB4_3413
; %bb.3401:                             ;   in Loop: Header=BB4_3351 Depth=2
	s_mov_b32 s22, exec_lo
	s_mov_b32 s19, exec_lo
	v_mbcnt_lo_u32_b32 v9, s22, 0
	s_waitcnt vmcnt(0) lgkmcnt(0)
	s_waitcnt_vscnt null, 0x0
	buffer_gl1_inv
	buffer_gl0_inv
	v_cmpx_eq_u32_e32 0, v9
	s_cbranch_execz .LBB4_3403
; %bb.3402:                             ;   in Loop: Header=BB4_3351 Depth=2
	s_bcnt1_i32_b32 s22, s22
	v_mov_b32_e32 v10, v2
	v_mov_b32_e32 v9, s22
	ds_add_u64 v0, v[9:10]
	s_trap 2
.LBB4_3403:                             ;   in Loop: Header=BB4_3351 Depth=2
	s_or_b32 exec_lo, exec_lo, s19
	s_trap 2
	ds_read_b64 v[9:10], v0
	s_waitcnt lgkmcnt(0)
	buffer_gl0_inv
	v_add_co_u32 v38, vcc_lo, v38, v103
	v_add_co_ci_u32_e64 v39, null, 0, v39, vcc_lo
	s_mov_b32 s19, exec_lo
	v_cmpx_lt_u64_e64 v[9:10], v[38:39]
	s_cbranch_execz .LBB4_3412
; %bb.3404:                             ;   in Loop: Header=BB4_3351 Depth=2
	s_mov_b32 s22, 0
	s_mov_b32 s73, 0
                                        ; implicit-def: $sgpr23
                                        ; implicit-def: $sgpr72
	s_inst_prefetch 0x1
	s_branch .LBB4_3406
	.p2align	6
.LBB4_3405:                             ;   in Loop: Header=BB4_3406 Depth=3
	s_or_b32 exec_lo, exec_lo, s75
	s_and_b32 s74, exec_lo, s76
	s_or_b32 s22, s74, s22
	s_andn2_b32 s23, s23, exec_lo
	s_and_b32 s74, s72, exec_lo
	s_or_b32 s23, s23, s74
	s_andn2_b32 exec_lo, exec_lo, s22
	s_cbranch_execz .LBB4_3410
.LBB4_3406:                             ;   Parent Loop BB4_47 Depth=1
                                        ;     Parent Loop BB4_3351 Depth=2
                                        ; =>    This Inner Loop Header: Depth=3
	s_add_i32 s73, s73, 1
	s_cmpk_lg_i32 s73, 0x2710
	s_cselect_b32 s74, -1, 0
	s_and_b32 vcc_lo, exec_lo, s74
	s_cbranch_vccz .LBB4_3408
; %bb.3407:                             ;   in Loop: Header=BB4_3406 Depth=3
	s_mov_b32 s76, -1
	s_or_b32 s72, s72, exec_lo
	s_and_saveexec_b32 s75, s74
	s_cbranch_execz .LBB4_3405
	s_branch .LBB4_3409
	.p2align	6
.LBB4_3408:                             ;   in Loop: Header=BB4_3406 Depth=3
	s_trap 2
	ds_read_b64 v[9:10], v0
	s_andn2_b32 s74, s74, exec_lo
	s_mov_b32 s73, 0
	s_waitcnt lgkmcnt(0)
	flat_load_dword v9, v[9:10] glc dlc
	s_waitcnt vmcnt(0) lgkmcnt(0)
	buffer_gl1_inv
	buffer_gl0_inv
	v_cmp_eq_u32_e32 vcc_lo, 0, v9
	s_and_b32 s75, vcc_lo, exec_lo
	s_or_b32 s74, s74, s75
	s_mov_b32 s76, -1
	s_or_b32 s72, s72, exec_lo
	s_and_saveexec_b32 s75, s74
	s_cbranch_execz .LBB4_3405
.LBB4_3409:                             ;   in Loop: Header=BB4_3406 Depth=3
	s_sleep 1
	s_trap 2
	ds_read_b64 v[9:10], v0
	s_waitcnt lgkmcnt(0)
	buffer_gl0_inv
	s_andn2_b32 s72, s72, exec_lo
	v_cmp_ge_u64_e32 vcc_lo, v[9:10], v[38:39]
	s_orn2_b32 s76, vcc_lo, exec_lo
	s_branch .LBB4_3405
.LBB4_3410:                             ;   in Loop: Header=BB4_3351 Depth=2
	s_inst_prefetch 0x2
	s_or_b32 exec_lo, exec_lo, s22
	s_and_saveexec_b32 s22, s23
	s_xor_b32 s22, exec_lo, s22
	s_cbranch_execz .LBB4_3412
; %bb.3411:                             ;   in Loop: Header=BB4_3351 Depth=2
	ds_write_b32 v0, v115
	s_trap 2
.LBB4_3412:                             ;   in Loop: Header=BB4_3351 Depth=2
	s_or_b32 exec_lo, exec_lo, s19
	;;#ASMSTART
	s_wakeup
	;;#ASMEND
.LBB4_3413:                             ;   in Loop: Header=BB4_3351 Depth=2
	s_or_b32 exec_lo, exec_lo, s18
.LBB4_3414:                             ;   in Loop: Header=BB4_3351 Depth=2
	s_andn2_saveexec_b32 s17, s17
	s_cbranch_execz .LBB4_3416
; %bb.3415:                             ;   in Loop: Header=BB4_3351 Depth=2
	s_waitcnt vmcnt(0) lgkmcnt(0)
	s_waitcnt_vscnt null, 0x0
	buffer_gl1_inv
	buffer_gl0_inv
	s_barrier
.LBB4_3416:                             ;   in Loop: Header=BB4_3351 Depth=2
	s_or_b32 exec_lo, exec_lo, s17
.LBB4_3417:                             ;   in Loop: Header=BB4_3351 Depth=2
	s_or_b32 exec_lo, exec_lo, s16
	s_trap 2
	ds_read_b64 v[69:70], v0
	s_waitcnt lgkmcnt(0)
	v_cmp_eq_u64_e32 vcc_lo, 0, v[69:70]
	s_cbranch_vccnz .LBB4_3426
; %bb.3418:                             ;   in Loop: Header=BB4_3351 Depth=2
	s_trap 2
	ds_read_b64 v[80:81], v0
	s_waitcnt lgkmcnt(0)
	v_cmp_eq_u64_e32 vcc_lo, 0, v[80:81]
	s_cbranch_vccnz .LBB4_3426
; %bb.3419:                             ;   in Loop: Header=BB4_3351 Depth=2
	s_trap 2
	ds_read_b64 v[82:83], v0
	v_cmp_eq_u32_e64 s16, 0, v8
	v_cndmask_b32_e64 v76, 0, v68, s16
	s_mov_b32 s16, -1
	s_waitcnt lgkmcnt(0)
	v_cmp_ne_u64_e32 vcc_lo, 0, v[82:83]
	v_readfirstlane_b32 s72, v82
	s_cbranch_vccz .LBB4_6315
; %bb.3420:                             ;   in Loop: Header=BB4_3351 Depth=2
	s_and_saveexec_b32 s17, s14
	s_cbranch_execz .LBB4_3422
; %bb.3421:                             ;   in Loop: Header=BB4_3351 Depth=2
	ds_read_b32 v8, v0 offset:720
	s_waitcnt lgkmcnt(0)
	v_and_b32_e32 v8, 15, v8
	v_cmp_eq_u32_e32 vcc_lo, 0, v8
	s_orn2_b32 s16, vcc_lo, exec_lo
.LBB4_3422:                             ;   in Loop: Header=BB4_3351 Depth=2
	s_or_b32 exec_lo, exec_lo, s17
	s_and_saveexec_b32 s17, s14
	s_cbranch_execz .LBB4_3424
; %bb.3423:                             ;   in Loop: Header=BB4_3351 Depth=2
	ds_read_b32 v8, v0 offset:784
	s_waitcnt lgkmcnt(0)
	v_and_b32_e32 v8, 15, v8
	v_cmp_eq_u32_e32 vcc_lo, 0, v8
	s_and_b32 s18, s16, vcc_lo
	s_andn2_b32 s16, s16, exec_lo
	s_and_b32 s18, s18, exec_lo
	s_or_b32 s16, s16, s18
.LBB4_3424:                             ;   in Loop: Header=BB4_3351 Depth=2
	s_or_b32 exec_lo, exec_lo, s17
	s_xor_b32 s16, s16, -1
	v_mov_b32_e32 v16, 0
	v_cndmask_b32_e64 v8, 0, 1, s16
	s_waitcnt vmcnt(0)
	v_mov_b32_e32 v17, v76
	v_mov_b32_e32 v18, v0
	s_mov_b32 s16, -1
	v_cmp_ne_u32_e32 vcc_lo, 0, v8
	s_cbranch_vccz .LBB4_3431
; %bb.3425:                             ;   in Loop: Header=BB4_3351 Depth=2
	s_and_saveexec_b32 s22, s16
	s_cbranch_execz .LBB4_6314
	s_branch .LBB4_5556
.LBB4_3426:                             ;   in Loop: Header=BB4_3351 Depth=2
	s_mov_b32 s16, 0
	s_and_saveexec_b32 s17, s6
	s_cbranch_execz .LBB4_3427
; %bb.9837:                             ;   in Loop: Header=BB4_3351 Depth=2
	s_getpc_b64 s[34:35]
.Lpost_getpc12:
	s_add_u32 s34, s34, (.LBB4_9203-.Lpost_getpc12)&4294967295
	s_addc_u32 s35, s35, (.LBB4_9203-.Lpost_getpc12)>>32
	s_setpc_b64 s[34:35]
.LBB4_3427:                             ;   in Loop: Header=BB4_3351 Depth=2
	s_or_b32 exec_lo, exec_lo, s17
                                        ; implicit-def: $vgpr8
	s_and_saveexec_b32 s17, s15
	s_xor_b32 s17, exec_lo, s17
	s_cbranch_execnz .LBB4_3428
; %bb.9839:                             ;   in Loop: Header=BB4_3351 Depth=2
	s_getpc_b64 s[34:35]
.Lpost_getpc13:
	s_add_u32 s34, s34, (.LBB4_9221-.Lpost_getpc13)&4294967295
	s_addc_u32 s35, s35, (.LBB4_9221-.Lpost_getpc13)>>32
	s_setpc_b64 s[34:35]
.LBB4_3428:                             ;   in Loop: Header=BB4_3351 Depth=2
	v_and_b32_e32 v8, 16, v100
	v_cmp_ne_u32_e32 vcc_lo, 0, v8
	v_and_b32_e32 v8, 16, v100
	s_and_b32 s18, vcc_lo, s16
	s_and_saveexec_b32 s16, s18
	s_cbranch_execz .LBB4_3430
; %bb.3429:                             ;   in Loop: Header=BB4_3351 Depth=2
	v_mov_b32_e32 v8, 1
	s_waitcnt vmcnt(0) lgkmcnt(0)
	s_waitcnt_vscnt null, 0x0
	buffer_gl1_inv
	buffer_gl0_inv
.LBB4_3430:                             ;   in Loop: Header=BB4_3351 Depth=2
	s_or_b32 exec_lo, exec_lo, s16
	s_andn2_saveexec_b32 s16, s17
	s_cbranch_execnz .LBB4_9823
; %bb.9841:                             ;   in Loop: Header=BB4_3351 Depth=2
	s_getpc_b64 s[34:35]
.Lpost_getpc14:
	s_add_u32 s34, s34, (.LBB4_9240-.Lpost_getpc14)&4294967295
	s_addc_u32 s35, s35, (.LBB4_9240-.Lpost_getpc14)>>32
	s_setpc_b64 s[34:35]
.LBB4_9823:                             ;   in Loop: Header=BB4_3351 Depth=2
	s_getpc_b64 s[34:35]
.Lpost_getpc5:
	s_add_u32 s34, s34, (.LBB4_9222-.Lpost_getpc5)&4294967295
	s_addc_u32 s35, s35, (.LBB4_9222-.Lpost_getpc5)>>32
	s_setpc_b64 s[34:35]
.LBB4_3431:                             ;   in Loop: Header=BB4_3351 Depth=2
	v_ashrrev_i32_e32 v8, 31, v76
	s_mov_b32 s17, exec_lo
	v_lshrrev_b32_e32 v8, 22, v8
	v_add_nc_u32_e32 v8, v76, v8
	v_ashrrev_i32_e32 v78, 10, v8
	v_sub_nc_u32_e32 v77, v78, v113
	v_cmpx_lt_i32_e32 0, v77
	s_cbranch_execz .LBB4_4843
; %bb.3432:                             ;   in Loop: Header=BB4_3351 Depth=2
	s_trap 2
	ds_read_b64 v[8:9], v0
	v_add_co_u32 v84, vcc_lo, v80, v47
	v_add_co_ci_u32_e64 v85, null, 0, v81, vcc_lo
	v_add_co_u32 v86, vcc_lo, v82, v47
	v_add_co_ci_u32_e64 v87, null, 0, v83, vcc_lo
	;; [unrolled: 2-line block ×3, first 2 shown]
	s_bitcmp1_b32 s72, 0
	s_mov_b32 s18, 0
	s_cselect_b32 s19, -1, 0
	s_waitcnt lgkmcnt(0)
	v_add_co_u32 v98, vcc_lo, v8, v47
	v_add_co_ci_u32_e64 v99, null, 0, v9, vcc_lo
	s_branch .LBB4_3436
.LBB4_3433:                             ;   in Loop: Header=BB4_3436 Depth=3
	s_or_b32 exec_lo, exec_lo, s16
	v_lshrrev_b32_e32 v15, 20, v15
	v_min_i32_e32 v121, 15, v11
	v_cmp_gt_i32_e32 vcc_lo, 16, v11
	v_and_b32_sdwa v120, v120, v118 dst_sel:DWORD dst_unused:UNUSED_PAD src0_sel:BYTE_3 src1_sel:DWORD
	v_lshlrev_b32_e32 v121, 3, v121
	v_cndmask_b32_e32 v15, 7, v15, vcc_lo
	v_and_b32_e32 v121, 0xf8, v121
	v_and_b32_e32 v122, 7, v15
	v_or_b32_e32 v11, v11, v15
	v_or3_b32 v120, v120, v121, v122
	v_cmp_ne_u32_e32 vcc_lo, 0, v11
	v_lshlrev_b32_e32 v15, 8, v120
	v_cndmask_b32_e32 v11, 0, v15, vcc_lo
.LBB4_3434:                             ;   in Loop: Header=BB4_3436 Depth=3
	s_or_b32 exec_lo, exec_lo, s23
.LBB4_3435:                             ;   in Loop: Header=BB4_3436 Depth=3
	s_or_b32 exec_lo, exec_lo, s22
	v_or_b32_sdwa v15, v17, v91 dst_sel:WORD_1 dst_unused:UNUSED_PAD src0_sel:DWORD src1_sel:DWORD
	v_or_b32_sdwa v17, v16, v89 dst_sel:WORD_1 dst_unused:UNUSED_PAD src0_sel:DWORD src1_sel:DWORD
	;; [unrolled: 1-line block ×5, first 2 shown]
	v_or3_b32 v16, v90, v20, v15
	v_or3_b32 v15, v88, v79, v17
	;; [unrolled: 1-line block ×3, first 2 shown]
	v_or_b32_sdwa v18, v19, v95 dst_sel:WORD_1 dst_unused:UNUSED_PAD src0_sel:DWORD src1_sel:DWORD
	v_or_b32_sdwa v10, v10, v109 dst_sel:WORD_1 dst_unused:UNUSED_PAD src0_sel:DWORD src1_sel:DWORD
	;; [unrolled: 1-line block ×3, first 2 shown]
	v_or3_b32 v9, v106, v12, v9
	v_or3_b32 v8, v104, v23, v8
	;; [unrolled: 1-line block ×5, first 2 shown]
	v_add_co_u32 v96, vcc_lo, v96, v45
	v_sub_nc_u32_e32 v77, v77, v103
	v_add_co_ci_u32_e64 v97, null, 0, v97, vcc_lo
	v_add_co_u32 v98, vcc_lo, v98, v45
	global_store_dwordx4 v[84:85], v[15:18], off glc slc
	global_store_dwordx4 v[84:85], v[8:11], off offset:512 glc slc
	global_store_dwordx4 v[86:87], v[15:18], off glc slc
	global_store_dwordx4 v[86:87], v[8:11], off offset:512 glc slc
	v_add_co_ci_u32_e64 v99, null, 0, v99, vcc_lo
	v_add_co_u32 v84, vcc_lo, v84, v45
	v_add_co_ci_u32_e64 v85, null, 0, v85, vcc_lo
	v_cmp_gt_i32_e32 vcc_lo, 1, v77
	v_add_co_u32 v86, s16, v86, v45
	v_add_co_ci_u32_e64 v87, null, 0, v87, s16
	s_or_b32 s18, vcc_lo, s18
	s_andn2_b32 exec_lo, exec_lo, s18
	s_cbranch_execz .LBB4_4842
.LBB4_3436:                             ;   Parent Loop BB4_47 Depth=1
                                        ;     Parent Loop BB4_3351 Depth=2
                                        ; =>    This Inner Loop Header: Depth=3
	s_clause 0x1
	global_load_dwordx4 v[20:23], v[96:97], off slc
	global_load_dwordx4 v[12:15], v[96:97], off offset:512 slc
	s_clause 0x1
	global_load_dwordx4 v[16:19], v[98:99], off slc
	global_load_dwordx4 v[8:11], v[98:99], off offset:512 slc
	s_and_b32 vcc_lo, exec_lo, s19
	s_mov_b32 s16, -1
                                        ; implicit-def: $vgpr88
	s_waitcnt vmcnt(3)
	v_cmp_gt_i16_sdwa s22, v20, v117 src0_sel:BYTE_0 src1_sel:DWORD
	s_cbranch_vccz .LBB4_3450
; %bb.3437:                             ;   in Loop: Header=BB4_3436 Depth=3
	s_mov_b32 s16, 0
	s_and_saveexec_b32 s23, s22
	s_xor_b32 s22, exec_lo, s23
	s_cbranch_execz .LBB4_4586
; %bb.3438:                             ;   in Loop: Header=BB4_3436 Depth=3
	v_cmp_eq_u16_sdwa s73, v20, v118 src0_sel:BYTE_0 src1_sel:DWORD
	s_mov_b32 s16, -1
	s_and_saveexec_b32 s23, s73
; %bb.3439:                             ;   in Loop: Header=BB4_3436 Depth=3
	s_xor_b32 s16, exec_lo, -1
; %bb.3440:                             ;   in Loop: Header=BB4_3436 Depth=3
	s_or_b32 exec_lo, exec_lo, s23
	s_and_b32 s16, s16, exec_lo
	s_or_saveexec_b32 s22, s22
	v_mov_b32_e32 v79, 0x7f800001
	s_xor_b32 exec_lo, exec_lo, s22
	s_cbranch_execnz .LBB4_4587
.LBB4_3441:                             ;   in Loop: Header=BB4_3436 Depth=3
	s_or_b32 exec_lo, exec_lo, s22
	s_and_saveexec_b32 s22, s16
	s_cbranch_execz .LBB4_3443
.LBB4_3442:                             ;   in Loop: Header=BB4_3436 Depth=3
	v_and_b32_e32 v79, 7, v20
	v_bfe_u32 v90, v20, 3, 4
	v_lshlrev_b32_e32 v91, 24, v20
	v_ffbh_u32_e32 v88, v79
	v_cmp_eq_u32_e32 vcc_lo, 0, v90
	v_min_u32_e32 v88, 32, v88
	v_subrev_nc_u32_e32 v89, 28, v88
	v_sub_nc_u32_e32 v88, 29, v88
	v_lshlrev_b32_e32 v89, v89, v20
	v_cndmask_b32_e32 v88, v90, v88, vcc_lo
	v_and_b32_e32 v89, 7, v89
	v_lshl_add_u32 v88, v88, 23, 0x3b800000
	v_cndmask_b32_e32 v79, v79, v89, vcc_lo
	v_and_b32_e32 v89, 0x80000000, v91
	v_lshlrev_b32_e32 v79, 20, v79
	v_or3_b32 v79, v89, v88, v79
.LBB4_3443:                             ;   in Loop: Header=BB4_3436 Depth=3
	s_or_b32 exec_lo, exec_lo, s22
	s_waitcnt vmcnt(1)
	v_cmp_gt_i16_sdwa s22, v16, v117 src0_sel:BYTE_0 src1_sel:DWORD
	s_mov_b32 s16, 0
	s_and_saveexec_b32 s23, s22
	s_xor_b32 s22, exec_lo, s23
	s_cbranch_execz .LBB4_4588
; %bb.3444:                             ;   in Loop: Header=BB4_3436 Depth=3
	v_cmp_eq_u16_sdwa s73, v16, v118 src0_sel:BYTE_0 src1_sel:DWORD
	s_mov_b32 s16, -1
	s_and_saveexec_b32 s23, s73
; %bb.3445:                             ;   in Loop: Header=BB4_3436 Depth=3
	s_xor_b32 s16, exec_lo, -1
; %bb.3446:                             ;   in Loop: Header=BB4_3436 Depth=3
	s_or_b32 exec_lo, exec_lo, s23
	s_and_b32 s16, s16, exec_lo
	s_or_saveexec_b32 s22, s22
	v_mov_b32_e32 v88, 0x7f800001
	s_xor_b32 exec_lo, exec_lo, s22
	s_cbranch_execnz .LBB4_4589
.LBB4_3447:                             ;   in Loop: Header=BB4_3436 Depth=3
	s_or_b32 exec_lo, exec_lo, s22
	s_and_saveexec_b32 s22, s16
	s_cbranch_execz .LBB4_3449
.LBB4_3448:                             ;   in Loop: Header=BB4_3436 Depth=3
	v_and_b32_e32 v88, 7, v16
	v_bfe_u32 v91, v16, 3, 4
	v_lshlrev_b32_e32 v92, 24, v16
	v_ffbh_u32_e32 v89, v88
	v_cmp_eq_u32_e32 vcc_lo, 0, v91
	v_min_u32_e32 v89, 32, v89
	v_subrev_nc_u32_e32 v90, 28, v89
	v_sub_nc_u32_e32 v89, 29, v89
	v_lshlrev_b32_e32 v90, v90, v16
	v_cndmask_b32_e32 v89, v91, v89, vcc_lo
	v_and_b32_e32 v90, 7, v90
	v_lshl_add_u32 v89, v89, 23, 0x3b800000
	v_cndmask_b32_e32 v88, v88, v90, vcc_lo
	v_and_b32_e32 v90, 0x80000000, v92
	v_lshlrev_b32_e32 v88, 20, v88
	v_or3_b32 v88, v90, v89, v88
.LBB4_3449:                             ;   in Loop: Header=BB4_3436 Depth=3
	s_or_b32 exec_lo, exec_lo, s22
	v_max_f32_e32 v88, v88, v88
	v_max_f32_e32 v79, v79, v79
	s_mov_b32 s16, 0
	v_max_f32_e32 v88, v79, v88
.LBB4_3450:                             ;   in Loop: Header=BB4_3436 Depth=3
	s_and_b32 vcc_lo, exec_lo, s16
	s_cbranch_vccz .LBB4_3464
; %bb.3451:                             ;   in Loop: Header=BB4_3436 Depth=3
	v_cmp_gt_i16_sdwa s22, v20, v117 src0_sel:BYTE_0 src1_sel:DWORD
	s_mov_b32 s16, 0
	s_and_saveexec_b32 s23, s22
	s_xor_b32 s22, exec_lo, s23
	s_cbranch_execz .LBB4_4590
; %bb.3452:                             ;   in Loop: Header=BB4_3436 Depth=3
	v_cmp_eq_u16_sdwa s73, v20, v118 src0_sel:BYTE_0 src1_sel:DWORD
	s_mov_b32 s16, -1
	s_and_saveexec_b32 s23, s73
; %bb.3453:                             ;   in Loop: Header=BB4_3436 Depth=3
	s_xor_b32 s16, exec_lo, -1
; %bb.3454:                             ;   in Loop: Header=BB4_3436 Depth=3
	s_or_b32 exec_lo, exec_lo, s23
	s_and_b32 s16, s16, exec_lo
	s_or_saveexec_b32 s22, s22
	v_mov_b32_e32 v79, 0x7f800001
	s_xor_b32 exec_lo, exec_lo, s22
	s_cbranch_execnz .LBB4_4591
.LBB4_3455:                             ;   in Loop: Header=BB4_3436 Depth=3
	s_or_b32 exec_lo, exec_lo, s22
	s_and_saveexec_b32 s22, s16
	s_cbranch_execz .LBB4_3457
.LBB4_3456:                             ;   in Loop: Header=BB4_3436 Depth=3
	v_and_b32_e32 v79, 7, v20
	v_bfe_u32 v90, v20, 3, 4
	v_lshlrev_b32_e32 v91, 24, v20
	v_ffbh_u32_e32 v88, v79
	v_cmp_eq_u32_e32 vcc_lo, 0, v90
	v_min_u32_e32 v88, 32, v88
	v_subrev_nc_u32_e32 v89, 28, v88
	v_sub_nc_u32_e32 v88, 29, v88
	v_lshlrev_b32_e32 v89, v89, v20
	v_cndmask_b32_e32 v88, v90, v88, vcc_lo
	v_and_b32_e32 v89, 7, v89
	v_lshl_add_u32 v88, v88, 23, 0x3b800000
	v_cndmask_b32_e32 v79, v79, v89, vcc_lo
	v_and_b32_e32 v89, 0x80000000, v91
	v_lshlrev_b32_e32 v79, 20, v79
	v_or3_b32 v79, v89, v88, v79
.LBB4_3457:                             ;   in Loop: Header=BB4_3436 Depth=3
	s_or_b32 exec_lo, exec_lo, s22
	s_waitcnt vmcnt(1)
	v_cmp_gt_i16_sdwa s22, v16, v117 src0_sel:BYTE_0 src1_sel:DWORD
	s_mov_b32 s16, 0
	s_and_saveexec_b32 s23, s22
	s_xor_b32 s22, exec_lo, s23
	s_cbranch_execz .LBB4_4592
; %bb.3458:                             ;   in Loop: Header=BB4_3436 Depth=3
	v_cmp_eq_u16_sdwa s73, v16, v118 src0_sel:BYTE_0 src1_sel:DWORD
	s_mov_b32 s16, -1
	s_and_saveexec_b32 s23, s73
; %bb.3459:                             ;   in Loop: Header=BB4_3436 Depth=3
	s_xor_b32 s16, exec_lo, -1
; %bb.3460:                             ;   in Loop: Header=BB4_3436 Depth=3
	s_or_b32 exec_lo, exec_lo, s23
	s_and_b32 s16, s16, exec_lo
	s_or_saveexec_b32 s22, s22
	v_mov_b32_e32 v88, 0x7f800001
	s_xor_b32 exec_lo, exec_lo, s22
	s_cbranch_execnz .LBB4_4593
.LBB4_3461:                             ;   in Loop: Header=BB4_3436 Depth=3
	s_or_b32 exec_lo, exec_lo, s22
	s_and_saveexec_b32 s22, s16
	s_cbranch_execz .LBB4_3463
.LBB4_3462:                             ;   in Loop: Header=BB4_3436 Depth=3
	v_and_b32_e32 v88, 7, v16
	v_bfe_u32 v91, v16, 3, 4
	v_lshlrev_b32_e32 v92, 24, v16
	v_ffbh_u32_e32 v89, v88
	v_cmp_eq_u32_e32 vcc_lo, 0, v91
	v_min_u32_e32 v89, 32, v89
	v_subrev_nc_u32_e32 v90, 28, v89
	v_sub_nc_u32_e32 v89, 29, v89
	v_lshlrev_b32_e32 v90, v90, v16
	v_cndmask_b32_e32 v89, v91, v89, vcc_lo
	v_and_b32_e32 v90, 7, v90
	v_lshl_add_u32 v89, v89, 23, 0x3b800000
	v_cndmask_b32_e32 v88, v88, v90, vcc_lo
	v_and_b32_e32 v90, 0x80000000, v92
	v_lshlrev_b32_e32 v88, 20, v88
	v_or3_b32 v88, v90, v89, v88
.LBB4_3463:                             ;   in Loop: Header=BB4_3436 Depth=3
	s_or_b32 exec_lo, exec_lo, s22
	v_max_f32_e32 v88, v88, v88
	v_max_f32_e32 v79, v79, v79
	v_min_f32_e32 v88, v79, v88
.LBB4_3464:                             ;   in Loop: Header=BB4_3436 Depth=3
	v_and_b32_e32 v79, 0x7f800000, v88
	v_cmp_ne_u32_e32 vcc_lo, 0x7f800000, v79
	v_mov_b32_e32 v79, 0x80
	s_and_saveexec_b32 s22, vcc_lo
	s_cbranch_execz .LBB4_3472
; %bb.3465:                             ;   in Loop: Header=BB4_3436 Depth=3
	v_mov_b32_e32 v79, 0
	s_mov_b32 s23, exec_lo
	v_cmpx_ne_u32_e32 0, v88
	s_cbranch_execz .LBB4_3471
; %bb.3466:                             ;   in Loop: Header=BB4_3436 Depth=3
	v_bfe_u32 v79, v88, 23, 8
	v_and_b32_e32 v89, 0x7fffff, v88
	v_sub_nc_u32_e32 v90, 0x78, v79
	v_cmp_gt_u32_e32 vcc_lo, 0x79, v79
	v_or_b32_e32 v91, 0x800000, v89
	v_cndmask_b32_e32 v90, 0, v90, vcc_lo
	v_cmp_eq_u32_e32 vcc_lo, 0, v79
	v_add_nc_u32_e32 v79, 0xffffff89, v79
	v_cndmask_b32_e64 v90, v90, 0x77, vcc_lo
	v_cndmask_b32_e32 v89, v91, v89, vcc_lo
	v_cndmask_b32_e64 v79, v79, 0xffffff8a, vcc_lo
	v_lshl_add_u32 v91, 0x100000, v90, -1
	v_lshrrev_b32_e32 v92, v90, v89
	v_lshlrev_b32_e64 v94, v90, 0x80000
	v_add_nc_u32_e32 v90, v90, v79
	v_and_b32_e32 v89, v91, v89
	v_bfe_u32 v93, v92, 20, 1
	v_cmp_eq_u32_e64 s16, v89, v94
	v_add_nc_u32_e32 v91, -1, v93
	v_cndmask_b32_e64 v89, 0, v91, s16
	v_lshrrev_b32_e32 v91, 23, v92
	s_mov_b32 s16, exec_lo
	v_add_nc_u32_e32 v89, v89, v92
	v_xor_b32_e32 v91, 1, v91
	v_and_b32_e32 v79, 0xfffff, v89
	v_add_nc_u32_e32 v89, v79, v92
                                        ; implicit-def: $vgpr79
	v_cmpx_ne_u32_e64 v90, v91
	s_xor_b32 s16, exec_lo, s16
; %bb.3467:                             ;   in Loop: Header=BB4_3436 Depth=3
	v_cmp_lt_u32_e32 vcc_lo, 0xffffff, v89
	v_sub_nc_u32_e32 v79, v90, v91
	v_cndmask_b32_e64 v90, 0, 1, vcc_lo
	v_add_co_ci_u32_e64 v79, null, 0, v79, vcc_lo
	v_lshrrev_b32_e32 v89, v90, v89
; %bb.3468:                             ;   in Loop: Header=BB4_3436 Depth=3
	s_andn2_saveexec_b32 s16, s16
; %bb.3469:                             ;   in Loop: Header=BB4_3436 Depth=3
	v_bfe_u32 v79, v89, 23, 1
; %bb.3470:                             ;   in Loop: Header=BB4_3436 Depth=3
	s_or_b32 exec_lo, exec_lo, s16
	v_lshrrev_b32_e32 v89, 20, v89
	v_min_i32_e32 v90, 15, v79
	v_cmp_gt_i32_e32 vcc_lo, 16, v79
	v_and_b32_sdwa v88, v88, v118 dst_sel:DWORD dst_unused:UNUSED_PAD src0_sel:BYTE_3 src1_sel:DWORD
	v_lshlrev_b32_e32 v90, 3, v90
	v_cndmask_b32_e32 v89, 7, v89, vcc_lo
	v_and_b32_e32 v90, 0xf8, v90
	v_and_b32_e32 v91, 7, v89
	v_or_b32_e32 v79, v79, v89
	v_or3_b32 v88, v90, v88, v91
	v_cmp_ne_u32_e32 vcc_lo, 0, v79
	v_cndmask_b32_e32 v79, 0, v88, vcc_lo
.LBB4_3471:                             ;   in Loop: Header=BB4_3436 Depth=3
	s_or_b32 exec_lo, exec_lo, s23
.LBB4_3472:                             ;   in Loop: Header=BB4_3436 Depth=3
	s_or_b32 exec_lo, exec_lo, s22
	v_cmp_gt_i16_sdwa s22, v20, v117 src0_sel:BYTE_1 src1_sel:DWORD
	s_and_b32 vcc_lo, exec_lo, s19
	s_mov_b32 s16, -1
                                        ; implicit-def: $vgpr89
	s_cbranch_vccz .LBB4_3486
; %bb.3473:                             ;   in Loop: Header=BB4_3436 Depth=3
	s_mov_b32 s16, 0
	s_and_saveexec_b32 s23, s22
	s_xor_b32 s22, exec_lo, s23
	s_cbranch_execz .LBB4_4594
; %bb.3474:                             ;   in Loop: Header=BB4_3436 Depth=3
	v_cmp_eq_u16_sdwa s73, v20, v118 src0_sel:BYTE_1 src1_sel:DWORD
	s_mov_b32 s16, -1
	s_and_saveexec_b32 s23, s73
; %bb.3475:                             ;   in Loop: Header=BB4_3436 Depth=3
	s_xor_b32 s16, exec_lo, -1
; %bb.3476:                             ;   in Loop: Header=BB4_3436 Depth=3
	s_or_b32 exec_lo, exec_lo, s23
	s_and_b32 s16, s16, exec_lo
	s_or_saveexec_b32 s22, s22
	v_mov_b32_e32 v88, 0x7f800001
	s_xor_b32 exec_lo, exec_lo, s22
	s_cbranch_execnz .LBB4_4595
.LBB4_3477:                             ;   in Loop: Header=BB4_3436 Depth=3
	s_or_b32 exec_lo, exec_lo, s22
	s_and_saveexec_b32 s22, s16
	s_cbranch_execz .LBB4_3479
.LBB4_3478:                             ;   in Loop: Header=BB4_3436 Depth=3
	v_and_b32_sdwa v88, v119, v20 dst_sel:DWORD dst_unused:UNUSED_PAD src0_sel:DWORD src1_sel:BYTE_1
	v_and_b32_e32 v89, 7, v88
	v_bfe_u32 v92, v88, 3, 4
	v_ffbh_u32_e32 v90, v89
	v_cmp_eq_u32_e32 vcc_lo, 0, v92
	v_min_u32_e32 v90, 32, v90
	v_subrev_nc_u32_e32 v91, 28, v90
	v_sub_nc_u32_e32 v90, 29, v90
	v_lshlrev_b32_e32 v88, v91, v88
	v_lshlrev_b32_e32 v91, 16, v20
	v_cndmask_b32_e32 v90, v92, v90, vcc_lo
	v_and_b32_e32 v88, 7, v88
	v_lshl_add_u32 v90, v90, 23, 0x3b800000
	v_cndmask_b32_e32 v88, v89, v88, vcc_lo
	v_and_b32_e32 v89, 0x80000000, v91
	v_lshlrev_b32_e32 v88, 20, v88
	v_or3_b32 v88, v89, v90, v88
.LBB4_3479:                             ;   in Loop: Header=BB4_3436 Depth=3
	s_or_b32 exec_lo, exec_lo, s22
	s_waitcnt vmcnt(1)
	v_cmp_gt_i16_sdwa s22, v16, v117 src0_sel:BYTE_1 src1_sel:DWORD
	s_mov_b32 s16, 0
	s_and_saveexec_b32 s23, s22
	s_xor_b32 s22, exec_lo, s23
	s_cbranch_execz .LBB4_4596
; %bb.3480:                             ;   in Loop: Header=BB4_3436 Depth=3
	v_cmp_eq_u16_sdwa s73, v16, v118 src0_sel:BYTE_1 src1_sel:DWORD
	s_mov_b32 s16, -1
	s_and_saveexec_b32 s23, s73
; %bb.3481:                             ;   in Loop: Header=BB4_3436 Depth=3
	s_xor_b32 s16, exec_lo, -1
; %bb.3482:                             ;   in Loop: Header=BB4_3436 Depth=3
	s_or_b32 exec_lo, exec_lo, s23
	s_and_b32 s16, s16, exec_lo
	s_or_saveexec_b32 s22, s22
	v_mov_b32_e32 v89, 0x7f800001
	s_xor_b32 exec_lo, exec_lo, s22
	s_cbranch_execnz .LBB4_4597
.LBB4_3483:                             ;   in Loop: Header=BB4_3436 Depth=3
	s_or_b32 exec_lo, exec_lo, s22
	s_and_saveexec_b32 s22, s16
	s_cbranch_execz .LBB4_3485
.LBB4_3484:                             ;   in Loop: Header=BB4_3436 Depth=3
	v_and_b32_sdwa v89, v119, v16 dst_sel:DWORD dst_unused:UNUSED_PAD src0_sel:DWORD src1_sel:BYTE_1
	v_and_b32_e32 v90, 7, v89
	v_bfe_u32 v93, v89, 3, 4
	v_ffbh_u32_e32 v91, v90
	v_cmp_eq_u32_e32 vcc_lo, 0, v93
	v_min_u32_e32 v91, 32, v91
	v_subrev_nc_u32_e32 v92, 28, v91
	v_sub_nc_u32_e32 v91, 29, v91
	v_lshlrev_b32_e32 v89, v92, v89
	v_lshlrev_b32_e32 v92, 16, v16
	v_cndmask_b32_e32 v91, v93, v91, vcc_lo
	v_and_b32_e32 v89, 7, v89
	v_lshl_add_u32 v91, v91, 23, 0x3b800000
	v_cndmask_b32_e32 v89, v90, v89, vcc_lo
	v_and_b32_e32 v90, 0x80000000, v92
	v_lshlrev_b32_e32 v89, 20, v89
	v_or3_b32 v89, v90, v91, v89
.LBB4_3485:                             ;   in Loop: Header=BB4_3436 Depth=3
	s_or_b32 exec_lo, exec_lo, s22
	v_max_f32_e32 v89, v89, v89
	v_max_f32_e32 v88, v88, v88
	s_mov_b32 s16, 0
	v_max_f32_e32 v89, v88, v89
.LBB4_3486:                             ;   in Loop: Header=BB4_3436 Depth=3
	s_and_b32 vcc_lo, exec_lo, s16
	s_cbranch_vccz .LBB4_3500
; %bb.3487:                             ;   in Loop: Header=BB4_3436 Depth=3
	v_cmp_gt_i16_sdwa s22, v20, v117 src0_sel:BYTE_1 src1_sel:DWORD
	s_mov_b32 s16, 0
	s_and_saveexec_b32 s23, s22
	s_xor_b32 s22, exec_lo, s23
	s_cbranch_execz .LBB4_4598
; %bb.3488:                             ;   in Loop: Header=BB4_3436 Depth=3
	v_cmp_eq_u16_sdwa s73, v20, v118 src0_sel:BYTE_1 src1_sel:DWORD
	s_mov_b32 s16, -1
	s_and_saveexec_b32 s23, s73
; %bb.3489:                             ;   in Loop: Header=BB4_3436 Depth=3
	s_xor_b32 s16, exec_lo, -1
; %bb.3490:                             ;   in Loop: Header=BB4_3436 Depth=3
	s_or_b32 exec_lo, exec_lo, s23
	s_and_b32 s16, s16, exec_lo
	s_or_saveexec_b32 s22, s22
	v_mov_b32_e32 v88, 0x7f800001
	s_xor_b32 exec_lo, exec_lo, s22
	s_cbranch_execnz .LBB4_4599
.LBB4_3491:                             ;   in Loop: Header=BB4_3436 Depth=3
	s_or_b32 exec_lo, exec_lo, s22
	s_and_saveexec_b32 s22, s16
	s_cbranch_execz .LBB4_3493
.LBB4_3492:                             ;   in Loop: Header=BB4_3436 Depth=3
	v_and_b32_sdwa v88, v119, v20 dst_sel:DWORD dst_unused:UNUSED_PAD src0_sel:DWORD src1_sel:BYTE_1
	v_and_b32_e32 v89, 7, v88
	v_bfe_u32 v92, v88, 3, 4
	v_ffbh_u32_e32 v90, v89
	v_cmp_eq_u32_e32 vcc_lo, 0, v92
	v_min_u32_e32 v90, 32, v90
	v_subrev_nc_u32_e32 v91, 28, v90
	v_sub_nc_u32_e32 v90, 29, v90
	v_lshlrev_b32_e32 v88, v91, v88
	v_lshlrev_b32_e32 v91, 16, v20
	v_cndmask_b32_e32 v90, v92, v90, vcc_lo
	v_and_b32_e32 v88, 7, v88
	v_lshl_add_u32 v90, v90, 23, 0x3b800000
	v_cndmask_b32_e32 v88, v89, v88, vcc_lo
	v_and_b32_e32 v89, 0x80000000, v91
	v_lshlrev_b32_e32 v88, 20, v88
	v_or3_b32 v88, v89, v90, v88
.LBB4_3493:                             ;   in Loop: Header=BB4_3436 Depth=3
	s_or_b32 exec_lo, exec_lo, s22
	s_waitcnt vmcnt(1)
	v_cmp_gt_i16_sdwa s22, v16, v117 src0_sel:BYTE_1 src1_sel:DWORD
	s_mov_b32 s16, 0
	s_and_saveexec_b32 s23, s22
	s_xor_b32 s22, exec_lo, s23
	s_cbranch_execz .LBB4_4600
; %bb.3494:                             ;   in Loop: Header=BB4_3436 Depth=3
	v_cmp_eq_u16_sdwa s73, v16, v118 src0_sel:BYTE_1 src1_sel:DWORD
	s_mov_b32 s16, -1
	s_and_saveexec_b32 s23, s73
; %bb.3495:                             ;   in Loop: Header=BB4_3436 Depth=3
	s_xor_b32 s16, exec_lo, -1
; %bb.3496:                             ;   in Loop: Header=BB4_3436 Depth=3
	s_or_b32 exec_lo, exec_lo, s23
	s_and_b32 s16, s16, exec_lo
	s_or_saveexec_b32 s22, s22
	v_mov_b32_e32 v89, 0x7f800001
	s_xor_b32 exec_lo, exec_lo, s22
	s_cbranch_execnz .LBB4_4601
.LBB4_3497:                             ;   in Loop: Header=BB4_3436 Depth=3
	s_or_b32 exec_lo, exec_lo, s22
	s_and_saveexec_b32 s22, s16
	s_cbranch_execz .LBB4_3499
.LBB4_3498:                             ;   in Loop: Header=BB4_3436 Depth=3
	v_and_b32_sdwa v89, v119, v16 dst_sel:DWORD dst_unused:UNUSED_PAD src0_sel:DWORD src1_sel:BYTE_1
	v_and_b32_e32 v90, 7, v89
	v_bfe_u32 v93, v89, 3, 4
	v_ffbh_u32_e32 v91, v90
	v_cmp_eq_u32_e32 vcc_lo, 0, v93
	v_min_u32_e32 v91, 32, v91
	v_subrev_nc_u32_e32 v92, 28, v91
	v_sub_nc_u32_e32 v91, 29, v91
	v_lshlrev_b32_e32 v89, v92, v89
	v_lshlrev_b32_e32 v92, 16, v16
	v_cndmask_b32_e32 v91, v93, v91, vcc_lo
	v_and_b32_e32 v89, 7, v89
	v_lshl_add_u32 v91, v91, 23, 0x3b800000
	v_cndmask_b32_e32 v89, v90, v89, vcc_lo
	v_and_b32_e32 v90, 0x80000000, v92
	v_lshlrev_b32_e32 v89, 20, v89
	v_or3_b32 v89, v90, v91, v89
.LBB4_3499:                             ;   in Loop: Header=BB4_3436 Depth=3
	s_or_b32 exec_lo, exec_lo, s22
	v_max_f32_e32 v89, v89, v89
	v_max_f32_e32 v88, v88, v88
	v_min_f32_e32 v89, v88, v89
.LBB4_3500:                             ;   in Loop: Header=BB4_3436 Depth=3
	v_and_b32_e32 v88, 0x7f800000, v89
	v_cmp_ne_u32_e32 vcc_lo, 0x7f800000, v88
	v_mov_b32_e32 v88, 0x8000
	s_and_saveexec_b32 s22, vcc_lo
	s_cbranch_execz .LBB4_3508
; %bb.3501:                             ;   in Loop: Header=BB4_3436 Depth=3
	v_mov_b32_e32 v88, 0
	s_mov_b32 s23, exec_lo
	v_cmpx_ne_u32_e32 0, v89
	s_cbranch_execz .LBB4_3507
; %bb.3502:                             ;   in Loop: Header=BB4_3436 Depth=3
	v_bfe_u32 v88, v89, 23, 8
	v_and_b32_e32 v90, 0x7fffff, v89
	v_sub_nc_u32_e32 v91, 0x78, v88
	v_cmp_gt_u32_e32 vcc_lo, 0x79, v88
	v_or_b32_e32 v92, 0x800000, v90
	v_cndmask_b32_e32 v91, 0, v91, vcc_lo
	v_cmp_eq_u32_e32 vcc_lo, 0, v88
	v_add_nc_u32_e32 v88, 0xffffff89, v88
	v_cndmask_b32_e64 v91, v91, 0x77, vcc_lo
	v_cndmask_b32_e32 v90, v92, v90, vcc_lo
	v_cndmask_b32_e64 v88, v88, 0xffffff8a, vcc_lo
	v_lshl_add_u32 v92, 0x100000, v91, -1
	v_lshrrev_b32_e32 v93, v91, v90
	v_lshlrev_b32_e64 v95, v91, 0x80000
	v_add_nc_u32_e32 v91, v91, v88
	v_and_b32_e32 v90, v92, v90
	v_bfe_u32 v94, v93, 20, 1
	v_cmp_eq_u32_e64 s16, v90, v95
	v_add_nc_u32_e32 v92, -1, v94
	v_cndmask_b32_e64 v90, 0, v92, s16
	v_lshrrev_b32_e32 v92, 23, v93
	s_mov_b32 s16, exec_lo
	v_add_nc_u32_e32 v90, v90, v93
	v_xor_b32_e32 v92, 1, v92
	v_and_b32_e32 v88, 0xfffff, v90
	v_add_nc_u32_e32 v90, v88, v93
                                        ; implicit-def: $vgpr88
	v_cmpx_ne_u32_e64 v91, v92
	s_xor_b32 s16, exec_lo, s16
; %bb.3503:                             ;   in Loop: Header=BB4_3436 Depth=3
	v_cmp_lt_u32_e32 vcc_lo, 0xffffff, v90
	v_sub_nc_u32_e32 v88, v91, v92
	v_cndmask_b32_e64 v91, 0, 1, vcc_lo
	v_add_co_ci_u32_e64 v88, null, 0, v88, vcc_lo
	v_lshrrev_b32_e32 v90, v91, v90
; %bb.3504:                             ;   in Loop: Header=BB4_3436 Depth=3
	s_andn2_saveexec_b32 s16, s16
; %bb.3505:                             ;   in Loop: Header=BB4_3436 Depth=3
	v_bfe_u32 v88, v90, 23, 1
; %bb.3506:                             ;   in Loop: Header=BB4_3436 Depth=3
	s_or_b32 exec_lo, exec_lo, s16
	v_lshrrev_b32_e32 v90, 20, v90
	v_min_i32_e32 v91, 15, v88
	v_cmp_gt_i32_e32 vcc_lo, 16, v88
	v_and_b32_sdwa v89, v89, v118 dst_sel:DWORD dst_unused:UNUSED_PAD src0_sel:BYTE_3 src1_sel:DWORD
	v_lshlrev_b32_e32 v91, 3, v91
	v_cndmask_b32_e32 v90, 7, v90, vcc_lo
	v_and_b32_e32 v91, 0xf8, v91
	v_and_b32_e32 v92, 7, v90
	v_or_b32_e32 v88, v88, v90
	v_or3_b32 v89, v89, v91, v92
	v_cmp_ne_u32_e32 vcc_lo, 0, v88
	v_lshlrev_b32_e32 v89, 8, v89
	v_cndmask_b32_e32 v88, 0, v89, vcc_lo
.LBB4_3507:                             ;   in Loop: Header=BB4_3436 Depth=3
	s_or_b32 exec_lo, exec_lo, s23
.LBB4_3508:                             ;   in Loop: Header=BB4_3436 Depth=3
	s_or_b32 exec_lo, exec_lo, s22
	v_and_b32_sdwa v89, v20, v40 dst_sel:DWORD dst_unused:UNUSED_PAD src0_sel:WORD_1 src1_sel:DWORD
	s_and_b32 vcc_lo, exec_lo, s19
	s_mov_b32 s22, -1
                                        ; implicit-def: $vgpr90
	v_cmp_lt_i16_e64 s16, 0x7f, v89
	s_cbranch_vccz .LBB4_3522
; %bb.3509:                             ;   in Loop: Header=BB4_3436 Depth=3
	s_mov_b32 s22, 0
	s_and_saveexec_b32 s23, s16
	s_xor_b32 s16, exec_lo, s23
	s_cbranch_execz .LBB4_4602
; %bb.3510:                             ;   in Loop: Header=BB4_3436 Depth=3
	s_mov_b32 s22, -1
	s_mov_b32 s23, exec_lo
	v_cmpx_eq_u16_e32 0x80, v89
; %bb.3511:                             ;   in Loop: Header=BB4_3436 Depth=3
	s_xor_b32 s22, exec_lo, -1
; %bb.3512:                             ;   in Loop: Header=BB4_3436 Depth=3
	s_or_b32 exec_lo, exec_lo, s23
	s_and_b32 s22, s22, exec_lo
	s_or_saveexec_b32 s16, s16
	v_mov_b32_e32 v90, 0x7f800001
	s_xor_b32 exec_lo, exec_lo, s16
	s_cbranch_execnz .LBB4_4603
.LBB4_3513:                             ;   in Loop: Header=BB4_3436 Depth=3
	s_or_b32 exec_lo, exec_lo, s16
	s_and_saveexec_b32 s16, s22
	s_cbranch_execz .LBB4_3515
.LBB4_3514:                             ;   in Loop: Header=BB4_3436 Depth=3
	v_bfe_u32 v90, v20, 16, 3
	v_bfe_u32 v93, v20, 19, 4
	v_lshlrev_b32_sdwa v94, v41, v20 dst_sel:DWORD dst_unused:UNUSED_PAD src0_sel:DWORD src1_sel:WORD_1
	v_ffbh_u32_e32 v91, v90
	v_cmp_eq_u32_e32 vcc_lo, 0, v93
	v_min_u32_e32 v91, 32, v91
	v_subrev_nc_u32_e32 v92, 28, v91
	v_sub_nc_u32_e32 v91, 29, v91
	v_lshlrev_b32_sdwa v92, v92, v20 dst_sel:DWORD dst_unused:UNUSED_PAD src0_sel:DWORD src1_sel:WORD_1
	v_cndmask_b32_e32 v91, v93, v91, vcc_lo
	v_and_b32_e32 v92, 7, v92
	v_lshl_add_u32 v91, v91, 23, 0x3b800000
	v_cndmask_b32_e32 v90, v90, v92, vcc_lo
	v_and_b32_e32 v92, 0x80000000, v94
	v_lshlrev_b32_e32 v90, 20, v90
	v_or3_b32 v90, v92, v91, v90
.LBB4_3515:                             ;   in Loop: Header=BB4_3436 Depth=3
	s_or_b32 exec_lo, exec_lo, s16
	s_waitcnt vmcnt(1)
	v_and_b32_sdwa v92, v16, v40 dst_sel:DWORD dst_unused:UNUSED_PAD src0_sel:WORD_1 src1_sel:DWORD
	s_mov_b32 s16, 0
	s_mov_b32 s22, exec_lo
	v_cmpx_lt_i16_e32 0x7f, v92
	s_xor_b32 s22, exec_lo, s22
	s_cbranch_execz .LBB4_4604
; %bb.3516:                             ;   in Loop: Header=BB4_3436 Depth=3
	s_mov_b32 s16, -1
	s_mov_b32 s23, exec_lo
	v_cmpx_eq_u16_e32 0x80, v92
; %bb.3517:                             ;   in Loop: Header=BB4_3436 Depth=3
	s_xor_b32 s16, exec_lo, -1
; %bb.3518:                             ;   in Loop: Header=BB4_3436 Depth=3
	s_or_b32 exec_lo, exec_lo, s23
	s_and_b32 s16, s16, exec_lo
                                        ; implicit-def: $vgpr92
	s_or_saveexec_b32 s22, s22
	v_mov_b32_e32 v91, 0x7f800001
	s_xor_b32 exec_lo, exec_lo, s22
	s_cbranch_execnz .LBB4_4605
.LBB4_3519:                             ;   in Loop: Header=BB4_3436 Depth=3
	s_or_b32 exec_lo, exec_lo, s22
	s_and_saveexec_b32 s22, s16
	s_cbranch_execz .LBB4_3521
.LBB4_3520:                             ;   in Loop: Header=BB4_3436 Depth=3
	v_bfe_u32 v91, v16, 16, 3
	v_bfe_u32 v94, v16, 19, 4
	v_lshlrev_b32_sdwa v95, v41, v16 dst_sel:DWORD dst_unused:UNUSED_PAD src0_sel:DWORD src1_sel:WORD_1
	v_ffbh_u32_e32 v92, v91
	v_cmp_eq_u32_e32 vcc_lo, 0, v94
	v_min_u32_e32 v92, 32, v92
	v_subrev_nc_u32_e32 v93, 28, v92
	v_sub_nc_u32_e32 v92, 29, v92
	v_lshlrev_b32_sdwa v93, v93, v16 dst_sel:DWORD dst_unused:UNUSED_PAD src0_sel:DWORD src1_sel:WORD_1
	v_cndmask_b32_e32 v92, v94, v92, vcc_lo
	v_and_b32_e32 v93, 7, v93
	v_lshl_add_u32 v92, v92, 23, 0x3b800000
	v_cndmask_b32_e32 v91, v91, v93, vcc_lo
	v_and_b32_e32 v93, 0x80000000, v95
	v_lshlrev_b32_e32 v91, 20, v91
	v_or3_b32 v91, v93, v92, v91
.LBB4_3521:                             ;   in Loop: Header=BB4_3436 Depth=3
	s_or_b32 exec_lo, exec_lo, s22
	v_max_f32_e32 v91, v91, v91
	v_max_f32_e32 v90, v90, v90
	s_mov_b32 s22, 0
	v_max_f32_e32 v90, v90, v91
.LBB4_3522:                             ;   in Loop: Header=BB4_3436 Depth=3
	s_and_b32 vcc_lo, exec_lo, s22
	s_cbranch_vccz .LBB4_3536
; %bb.3523:                             ;   in Loop: Header=BB4_3436 Depth=3
	s_mov_b32 s16, 0
	s_mov_b32 s22, exec_lo
	v_cmpx_lt_i16_e32 0x7f, v89
	s_xor_b32 s22, exec_lo, s22
	s_cbranch_execz .LBB4_4606
; %bb.3524:                             ;   in Loop: Header=BB4_3436 Depth=3
	s_mov_b32 s16, -1
	s_mov_b32 s23, exec_lo
	v_cmpx_eq_u16_e32 0x80, v89
; %bb.3525:                             ;   in Loop: Header=BB4_3436 Depth=3
	s_xor_b32 s16, exec_lo, -1
; %bb.3526:                             ;   in Loop: Header=BB4_3436 Depth=3
	s_or_b32 exec_lo, exec_lo, s23
	s_and_b32 s16, s16, exec_lo
                                        ; implicit-def: $vgpr89
	s_or_saveexec_b32 s22, s22
	v_mov_b32_e32 v90, 0x7f800001
	s_xor_b32 exec_lo, exec_lo, s22
	s_cbranch_execnz .LBB4_4607
.LBB4_3527:                             ;   in Loop: Header=BB4_3436 Depth=3
	s_or_b32 exec_lo, exec_lo, s22
	s_and_saveexec_b32 s22, s16
	s_cbranch_execz .LBB4_3529
.LBB4_3528:                             ;   in Loop: Header=BB4_3436 Depth=3
	v_bfe_u32 v89, v20, 16, 3
	v_bfe_u32 v92, v20, 19, 4
	v_lshlrev_b32_sdwa v93, v41, v20 dst_sel:DWORD dst_unused:UNUSED_PAD src0_sel:DWORD src1_sel:WORD_1
	v_ffbh_u32_e32 v90, v89
	v_cmp_eq_u32_e32 vcc_lo, 0, v92
	v_min_u32_e32 v90, 32, v90
	v_subrev_nc_u32_e32 v91, 28, v90
	v_sub_nc_u32_e32 v90, 29, v90
	v_lshlrev_b32_sdwa v91, v91, v20 dst_sel:DWORD dst_unused:UNUSED_PAD src0_sel:DWORD src1_sel:WORD_1
	v_cndmask_b32_e32 v90, v92, v90, vcc_lo
	v_and_b32_e32 v91, 7, v91
	v_lshl_add_u32 v90, v90, 23, 0x3b800000
	v_cndmask_b32_e32 v89, v89, v91, vcc_lo
	v_and_b32_e32 v91, 0x80000000, v93
	v_lshlrev_b32_e32 v89, 20, v89
	v_or3_b32 v90, v91, v90, v89
.LBB4_3529:                             ;   in Loop: Header=BB4_3436 Depth=3
	s_or_b32 exec_lo, exec_lo, s22
	s_waitcnt vmcnt(1)
	v_and_b32_sdwa v91, v16, v40 dst_sel:DWORD dst_unused:UNUSED_PAD src0_sel:WORD_1 src1_sel:DWORD
	s_mov_b32 s16, 0
	s_mov_b32 s22, exec_lo
	v_cmpx_lt_i16_e32 0x7f, v91
	s_xor_b32 s22, exec_lo, s22
	s_cbranch_execz .LBB4_4608
; %bb.3530:                             ;   in Loop: Header=BB4_3436 Depth=3
	s_mov_b32 s16, -1
	s_mov_b32 s23, exec_lo
	v_cmpx_eq_u16_e32 0x80, v91
; %bb.3531:                             ;   in Loop: Header=BB4_3436 Depth=3
	s_xor_b32 s16, exec_lo, -1
; %bb.3532:                             ;   in Loop: Header=BB4_3436 Depth=3
	s_or_b32 exec_lo, exec_lo, s23
	s_and_b32 s16, s16, exec_lo
                                        ; implicit-def: $vgpr91
	s_or_saveexec_b32 s22, s22
	v_mov_b32_e32 v89, 0x7f800001
	s_xor_b32 exec_lo, exec_lo, s22
	s_cbranch_execnz .LBB4_4609
.LBB4_3533:                             ;   in Loop: Header=BB4_3436 Depth=3
	s_or_b32 exec_lo, exec_lo, s22
	s_and_saveexec_b32 s22, s16
	s_cbranch_execz .LBB4_3535
.LBB4_3534:                             ;   in Loop: Header=BB4_3436 Depth=3
	v_bfe_u32 v89, v16, 16, 3
	v_bfe_u32 v93, v16, 19, 4
	v_lshlrev_b32_sdwa v94, v41, v16 dst_sel:DWORD dst_unused:UNUSED_PAD src0_sel:DWORD src1_sel:WORD_1
	v_ffbh_u32_e32 v91, v89
	v_cmp_eq_u32_e32 vcc_lo, 0, v93
	v_min_u32_e32 v91, 32, v91
	v_subrev_nc_u32_e32 v92, 28, v91
	v_sub_nc_u32_e32 v91, 29, v91
	v_lshlrev_b32_sdwa v92, v92, v16 dst_sel:DWORD dst_unused:UNUSED_PAD src0_sel:DWORD src1_sel:WORD_1
	v_cndmask_b32_e32 v91, v93, v91, vcc_lo
	v_and_b32_e32 v92, 7, v92
	v_lshl_add_u32 v91, v91, 23, 0x3b800000
	v_cndmask_b32_e32 v89, v89, v92, vcc_lo
	v_and_b32_e32 v92, 0x80000000, v94
	v_lshlrev_b32_e32 v89, 20, v89
	v_or3_b32 v89, v92, v91, v89
.LBB4_3535:                             ;   in Loop: Header=BB4_3436 Depth=3
	s_or_b32 exec_lo, exec_lo, s22
	v_max_f32_e32 v89, v89, v89
	v_max_f32_e32 v90, v90, v90
	v_min_f32_e32 v90, v90, v89
.LBB4_3536:                             ;   in Loop: Header=BB4_3436 Depth=3
	v_and_b32_e32 v89, 0x7f800000, v90
	v_cmp_ne_u32_e32 vcc_lo, 0x7f800000, v89
	v_mov_b32_e32 v89, 0x80
	s_and_saveexec_b32 s22, vcc_lo
	s_cbranch_execz .LBB4_3544
; %bb.3537:                             ;   in Loop: Header=BB4_3436 Depth=3
	v_mov_b32_e32 v89, 0
	s_mov_b32 s23, exec_lo
	v_cmpx_ne_u32_e32 0, v90
	s_cbranch_execz .LBB4_3543
; %bb.3538:                             ;   in Loop: Header=BB4_3436 Depth=3
	v_bfe_u32 v89, v90, 23, 8
	v_and_b32_e32 v91, 0x7fffff, v90
	v_sub_nc_u32_e32 v92, 0x78, v89
	v_cmp_gt_u32_e32 vcc_lo, 0x79, v89
	v_or_b32_e32 v93, 0x800000, v91
	v_cndmask_b32_e32 v92, 0, v92, vcc_lo
	v_cmp_eq_u32_e32 vcc_lo, 0, v89
	v_add_nc_u32_e32 v89, 0xffffff89, v89
	v_cndmask_b32_e64 v92, v92, 0x77, vcc_lo
	v_cndmask_b32_e32 v91, v93, v91, vcc_lo
	v_cndmask_b32_e64 v89, v89, 0xffffff8a, vcc_lo
	v_lshl_add_u32 v93, 0x100000, v92, -1
	v_lshrrev_b32_e32 v94, v92, v91
	v_lshlrev_b32_e64 v104, v92, 0x80000
	v_add_nc_u32_e32 v92, v92, v89
	v_and_b32_e32 v91, v93, v91
	v_bfe_u32 v95, v94, 20, 1
	v_cmp_eq_u32_e64 s16, v91, v104
	v_add_nc_u32_e32 v93, -1, v95
	v_cndmask_b32_e64 v91, 0, v93, s16
	v_lshrrev_b32_e32 v93, 23, v94
	s_mov_b32 s16, exec_lo
	v_add_nc_u32_e32 v91, v91, v94
	v_xor_b32_e32 v93, 1, v93
	v_and_b32_e32 v89, 0xfffff, v91
	v_add_nc_u32_e32 v91, v89, v94
                                        ; implicit-def: $vgpr89
	v_cmpx_ne_u32_e64 v92, v93
	s_xor_b32 s16, exec_lo, s16
; %bb.3539:                             ;   in Loop: Header=BB4_3436 Depth=3
	v_cmp_lt_u32_e32 vcc_lo, 0xffffff, v91
	v_sub_nc_u32_e32 v89, v92, v93
	v_cndmask_b32_e64 v92, 0, 1, vcc_lo
	v_add_co_ci_u32_e64 v89, null, 0, v89, vcc_lo
	v_lshrrev_b32_e32 v91, v92, v91
; %bb.3540:                             ;   in Loop: Header=BB4_3436 Depth=3
	s_andn2_saveexec_b32 s16, s16
; %bb.3541:                             ;   in Loop: Header=BB4_3436 Depth=3
	v_bfe_u32 v89, v91, 23, 1
; %bb.3542:                             ;   in Loop: Header=BB4_3436 Depth=3
	s_or_b32 exec_lo, exec_lo, s16
	v_lshrrev_b32_e32 v91, 20, v91
	v_min_i32_e32 v92, 15, v89
	v_cmp_gt_i32_e32 vcc_lo, 16, v89
	v_and_b32_sdwa v90, v90, v118 dst_sel:DWORD dst_unused:UNUSED_PAD src0_sel:BYTE_3 src1_sel:DWORD
	v_lshlrev_b32_e32 v92, 3, v92
	v_cndmask_b32_e32 v91, 7, v91, vcc_lo
	v_and_b32_e32 v92, 0xf8, v92
	v_and_b32_e32 v93, 7, v91
	v_or_b32_e32 v89, v89, v91
	v_or3_b32 v90, v92, v90, v93
	v_cmp_ne_u32_e32 vcc_lo, 0, v89
	v_cndmask_b32_e32 v89, 0, v90, vcc_lo
.LBB4_3543:                             ;   in Loop: Header=BB4_3436 Depth=3
	s_or_b32 exec_lo, exec_lo, s23
.LBB4_3544:                             ;   in Loop: Header=BB4_3436 Depth=3
	s_or_b32 exec_lo, exec_lo, s22
	v_cmp_gt_i16_sdwa s22, v20, v117 src0_sel:BYTE_3 src1_sel:DWORD
	s_and_b32 vcc_lo, exec_lo, s19
	s_mov_b32 s16, -1
                                        ; implicit-def: $vgpr90
	s_cbranch_vccz .LBB4_3558
; %bb.3545:                             ;   in Loop: Header=BB4_3436 Depth=3
	s_mov_b32 s16, 0
	s_and_saveexec_b32 s23, s22
	s_xor_b32 s22, exec_lo, s23
	s_cbranch_execz .LBB4_4610
; %bb.3546:                             ;   in Loop: Header=BB4_3436 Depth=3
	v_cmp_eq_u16_sdwa s73, v20, v118 src0_sel:BYTE_3 src1_sel:DWORD
	s_mov_b32 s16, -1
	s_and_saveexec_b32 s23, s73
; %bb.3547:                             ;   in Loop: Header=BB4_3436 Depth=3
	s_xor_b32 s16, exec_lo, -1
; %bb.3548:                             ;   in Loop: Header=BB4_3436 Depth=3
	s_or_b32 exec_lo, exec_lo, s23
	s_and_b32 s16, s16, exec_lo
	s_or_saveexec_b32 s22, s22
	v_mov_b32_e32 v90, 0x7f800001
	s_xor_b32 exec_lo, exec_lo, s22
	s_cbranch_execnz .LBB4_4611
.LBB4_3549:                             ;   in Loop: Header=BB4_3436 Depth=3
	s_or_b32 exec_lo, exec_lo, s22
	s_and_saveexec_b32 s22, s16
	s_cbranch_execz .LBB4_3551
.LBB4_3550:                             ;   in Loop: Header=BB4_3436 Depth=3
	v_bfe_u32 v90, v20, 24, 3
	v_bfe_u32 v93, v20, 27, 4
	v_ffbh_u32_e32 v91, v90
	v_cmp_eq_u32_e32 vcc_lo, 0, v93
	v_min_u32_e32 v91, 32, v91
	v_subrev_nc_u32_e32 v92, 28, v91
	v_sub_nc_u32_e32 v91, 29, v91
	v_lshlrev_b32_sdwa v92, v92, v20 dst_sel:DWORD dst_unused:UNUSED_PAD src0_sel:DWORD src1_sel:BYTE_3
	v_cndmask_b32_e32 v91, v93, v91, vcc_lo
	v_and_b32_e32 v92, 7, v92
	v_lshl_add_u32 v91, v91, 23, 0x3b800000
	v_cndmask_b32_e32 v90, v90, v92, vcc_lo
	v_and_b32_e32 v92, 0x80000000, v20
	v_lshlrev_b32_e32 v90, 20, v90
	v_or3_b32 v90, v92, v91, v90
.LBB4_3551:                             ;   in Loop: Header=BB4_3436 Depth=3
	s_or_b32 exec_lo, exec_lo, s22
	s_waitcnt vmcnt(1)
	v_cmp_gt_i16_sdwa s22, v16, v117 src0_sel:BYTE_3 src1_sel:DWORD
	s_mov_b32 s16, 0
	s_and_saveexec_b32 s23, s22
	s_xor_b32 s22, exec_lo, s23
	s_cbranch_execz .LBB4_4612
; %bb.3552:                             ;   in Loop: Header=BB4_3436 Depth=3
	v_cmp_eq_u16_sdwa s73, v16, v118 src0_sel:BYTE_3 src1_sel:DWORD
	s_mov_b32 s16, -1
	s_and_saveexec_b32 s23, s73
; %bb.3553:                             ;   in Loop: Header=BB4_3436 Depth=3
	s_xor_b32 s16, exec_lo, -1
; %bb.3554:                             ;   in Loop: Header=BB4_3436 Depth=3
	s_or_b32 exec_lo, exec_lo, s23
	s_and_b32 s16, s16, exec_lo
	s_or_saveexec_b32 s22, s22
	v_mov_b32_e32 v91, 0x7f800001
	s_xor_b32 exec_lo, exec_lo, s22
	s_cbranch_execnz .LBB4_4613
.LBB4_3555:                             ;   in Loop: Header=BB4_3436 Depth=3
	s_or_b32 exec_lo, exec_lo, s22
	s_and_saveexec_b32 s22, s16
	s_cbranch_execz .LBB4_3557
.LBB4_3556:                             ;   in Loop: Header=BB4_3436 Depth=3
	v_bfe_u32 v91, v16, 24, 3
	v_bfe_u32 v94, v16, 27, 4
	v_ffbh_u32_e32 v92, v91
	v_cmp_eq_u32_e32 vcc_lo, 0, v94
	v_min_u32_e32 v92, 32, v92
	v_subrev_nc_u32_e32 v93, 28, v92
	v_sub_nc_u32_e32 v92, 29, v92
	v_lshlrev_b32_sdwa v93, v93, v16 dst_sel:DWORD dst_unused:UNUSED_PAD src0_sel:DWORD src1_sel:BYTE_3
	v_cndmask_b32_e32 v92, v94, v92, vcc_lo
	v_and_b32_e32 v93, 7, v93
	v_lshl_add_u32 v92, v92, 23, 0x3b800000
	v_cndmask_b32_e32 v91, v91, v93, vcc_lo
	v_and_b32_e32 v93, 0x80000000, v16
	v_lshlrev_b32_e32 v91, 20, v91
	v_or3_b32 v91, v93, v92, v91
.LBB4_3557:                             ;   in Loop: Header=BB4_3436 Depth=3
	s_or_b32 exec_lo, exec_lo, s22
	v_max_f32_e32 v91, v91, v91
	v_max_f32_e32 v90, v90, v90
	s_mov_b32 s16, 0
	v_max_f32_e32 v90, v90, v91
.LBB4_3558:                             ;   in Loop: Header=BB4_3436 Depth=3
	s_and_b32 vcc_lo, exec_lo, s16
	s_cbranch_vccz .LBB4_3572
; %bb.3559:                             ;   in Loop: Header=BB4_3436 Depth=3
	v_cmp_gt_i16_sdwa s22, v20, v117 src0_sel:BYTE_3 src1_sel:DWORD
	s_mov_b32 s16, 0
	s_and_saveexec_b32 s23, s22
	s_xor_b32 s22, exec_lo, s23
	s_cbranch_execz .LBB4_4614
; %bb.3560:                             ;   in Loop: Header=BB4_3436 Depth=3
	v_cmp_eq_u16_sdwa s73, v20, v118 src0_sel:BYTE_3 src1_sel:DWORD
	s_mov_b32 s16, -1
	s_and_saveexec_b32 s23, s73
; %bb.3561:                             ;   in Loop: Header=BB4_3436 Depth=3
	s_xor_b32 s16, exec_lo, -1
; %bb.3562:                             ;   in Loop: Header=BB4_3436 Depth=3
	s_or_b32 exec_lo, exec_lo, s23
	s_and_b32 s16, s16, exec_lo
	s_or_saveexec_b32 s22, s22
	v_mov_b32_e32 v90, 0x7f800001
	s_xor_b32 exec_lo, exec_lo, s22
	s_cbranch_execnz .LBB4_4615
.LBB4_3563:                             ;   in Loop: Header=BB4_3436 Depth=3
	s_or_b32 exec_lo, exec_lo, s22
	s_and_saveexec_b32 s22, s16
	s_cbranch_execz .LBB4_3565
.LBB4_3564:                             ;   in Loop: Header=BB4_3436 Depth=3
	v_bfe_u32 v90, v20, 24, 3
	v_bfe_u32 v93, v20, 27, 4
	v_ffbh_u32_e32 v91, v90
	v_cmp_eq_u32_e32 vcc_lo, 0, v93
	v_min_u32_e32 v91, 32, v91
	v_subrev_nc_u32_e32 v92, 28, v91
	v_sub_nc_u32_e32 v91, 29, v91
	v_lshlrev_b32_sdwa v92, v92, v20 dst_sel:DWORD dst_unused:UNUSED_PAD src0_sel:DWORD src1_sel:BYTE_3
	v_cndmask_b32_e32 v91, v93, v91, vcc_lo
	v_and_b32_e32 v20, 0x80000000, v20
	v_and_b32_e32 v92, 7, v92
	v_lshl_add_u32 v91, v91, 23, 0x3b800000
	v_cndmask_b32_e32 v90, v90, v92, vcc_lo
	v_lshlrev_b32_e32 v90, 20, v90
	v_or3_b32 v90, v20, v91, v90
.LBB4_3565:                             ;   in Loop: Header=BB4_3436 Depth=3
	s_or_b32 exec_lo, exec_lo, s22
	s_waitcnt vmcnt(1)
	v_cmp_gt_i16_sdwa s22, v16, v117 src0_sel:BYTE_3 src1_sel:DWORD
	s_mov_b32 s16, 0
	s_and_saveexec_b32 s23, s22
	s_xor_b32 s22, exec_lo, s23
	s_cbranch_execz .LBB4_4616
; %bb.3566:                             ;   in Loop: Header=BB4_3436 Depth=3
	v_cmp_eq_u16_sdwa s73, v16, v118 src0_sel:BYTE_3 src1_sel:DWORD
	s_mov_b32 s16, -1
	s_and_saveexec_b32 s23, s73
; %bb.3567:                             ;   in Loop: Header=BB4_3436 Depth=3
	s_xor_b32 s16, exec_lo, -1
; %bb.3568:                             ;   in Loop: Header=BB4_3436 Depth=3
	s_or_b32 exec_lo, exec_lo, s23
	s_and_b32 s16, s16, exec_lo
	s_or_saveexec_b32 s22, s22
	v_mov_b32_e32 v20, 0x7f800001
	s_xor_b32 exec_lo, exec_lo, s22
	s_cbranch_execnz .LBB4_4617
.LBB4_3569:                             ;   in Loop: Header=BB4_3436 Depth=3
	s_or_b32 exec_lo, exec_lo, s22
	s_and_saveexec_b32 s22, s16
	s_cbranch_execz .LBB4_3571
.LBB4_3570:                             ;   in Loop: Header=BB4_3436 Depth=3
	v_bfe_u32 v20, v16, 24, 3
	v_bfe_u32 v93, v16, 27, 4
	v_ffbh_u32_e32 v91, v20
	v_cmp_eq_u32_e32 vcc_lo, 0, v93
	v_min_u32_e32 v91, 32, v91
	v_subrev_nc_u32_e32 v92, 28, v91
	v_sub_nc_u32_e32 v91, 29, v91
	v_lshlrev_b32_sdwa v92, v92, v16 dst_sel:DWORD dst_unused:UNUSED_PAD src0_sel:DWORD src1_sel:BYTE_3
	v_cndmask_b32_e32 v91, v93, v91, vcc_lo
	v_and_b32_e32 v16, 0x80000000, v16
	v_and_b32_e32 v92, 7, v92
	v_lshl_add_u32 v91, v91, 23, 0x3b800000
	v_cndmask_b32_e32 v20, v20, v92, vcc_lo
	v_lshlrev_b32_e32 v20, 20, v20
	v_or3_b32 v20, v16, v91, v20
.LBB4_3571:                             ;   in Loop: Header=BB4_3436 Depth=3
	s_or_b32 exec_lo, exec_lo, s22
	v_max_f32_e32 v16, v20, v20
	v_max_f32_e32 v20, v90, v90
	v_min_f32_e32 v90, v20, v16
.LBB4_3572:                             ;   in Loop: Header=BB4_3436 Depth=3
	s_waitcnt vmcnt(1)
	v_and_b32_e32 v16, 0x7f800000, v90
	v_cmp_ne_u32_e32 vcc_lo, 0x7f800000, v16
	v_mov_b32_e32 v16, 0x8000
	s_and_saveexec_b32 s22, vcc_lo
	s_cbranch_execz .LBB4_3580
; %bb.3573:                             ;   in Loop: Header=BB4_3436 Depth=3
	v_mov_b32_e32 v16, 0
	s_mov_b32 s23, exec_lo
	v_cmpx_ne_u32_e32 0, v90
	s_cbranch_execz .LBB4_3579
; %bb.3574:                             ;   in Loop: Header=BB4_3436 Depth=3
	v_bfe_u32 v16, v90, 23, 8
	v_and_b32_e32 v20, 0x7fffff, v90
	v_sub_nc_u32_e32 v91, 0x78, v16
	v_cmp_gt_u32_e32 vcc_lo, 0x79, v16
	v_or_b32_e32 v92, 0x800000, v20
	v_cndmask_b32_e32 v91, 0, v91, vcc_lo
	v_cmp_eq_u32_e32 vcc_lo, 0, v16
	v_add_nc_u32_e32 v16, 0xffffff89, v16
	v_cndmask_b32_e64 v91, v91, 0x77, vcc_lo
	v_cndmask_b32_e32 v20, v92, v20, vcc_lo
	v_cndmask_b32_e64 v16, v16, 0xffffff8a, vcc_lo
	v_lshl_add_u32 v92, 0x100000, v91, -1
	v_lshrrev_b32_e32 v93, v91, v20
	v_lshlrev_b32_e64 v95, v91, 0x80000
	v_add_nc_u32_e32 v91, v91, v16
	v_and_b32_e32 v20, v92, v20
	v_bfe_u32 v94, v93, 20, 1
	v_cmp_eq_u32_e64 s16, v20, v95
	v_add_nc_u32_e32 v92, -1, v94
	v_cndmask_b32_e64 v20, 0, v92, s16
	v_lshrrev_b32_e32 v92, 23, v93
	s_mov_b32 s16, exec_lo
	v_add_nc_u32_e32 v20, v20, v93
	v_xor_b32_e32 v92, 1, v92
	v_and_b32_e32 v16, 0xfffff, v20
	v_add_nc_u32_e32 v20, v16, v93
                                        ; implicit-def: $vgpr16
	v_cmpx_ne_u32_e64 v91, v92
	s_xor_b32 s16, exec_lo, s16
; %bb.3575:                             ;   in Loop: Header=BB4_3436 Depth=3
	v_cmp_lt_u32_e32 vcc_lo, 0xffffff, v20
	v_sub_nc_u32_e32 v16, v91, v92
	v_cndmask_b32_e64 v91, 0, 1, vcc_lo
	v_add_co_ci_u32_e64 v16, null, 0, v16, vcc_lo
	v_lshrrev_b32_e32 v20, v91, v20
; %bb.3576:                             ;   in Loop: Header=BB4_3436 Depth=3
	s_andn2_saveexec_b32 s16, s16
; %bb.3577:                             ;   in Loop: Header=BB4_3436 Depth=3
	v_bfe_u32 v16, v20, 23, 1
; %bb.3578:                             ;   in Loop: Header=BB4_3436 Depth=3
	s_or_b32 exec_lo, exec_lo, s16
	v_lshrrev_b32_e32 v20, 20, v20
	v_min_i32_e32 v91, 15, v16
	v_cmp_gt_i32_e32 vcc_lo, 16, v16
	v_and_b32_sdwa v90, v90, v118 dst_sel:DWORD dst_unused:UNUSED_PAD src0_sel:BYTE_3 src1_sel:DWORD
	v_lshlrev_b32_e32 v91, 3, v91
	v_cndmask_b32_e32 v20, 7, v20, vcc_lo
	v_and_b32_e32 v91, 0xf8, v91
	v_and_b32_e32 v92, 7, v20
	v_or_b32_e32 v16, v16, v20
	v_or3_b32 v90, v90, v91, v92
	v_cmp_ne_u32_e32 vcc_lo, 0, v16
	v_lshlrev_b32_e32 v20, 8, v90
	v_cndmask_b32_e32 v16, 0, v20, vcc_lo
.LBB4_3579:                             ;   in Loop: Header=BB4_3436 Depth=3
	s_or_b32 exec_lo, exec_lo, s23
.LBB4_3580:                             ;   in Loop: Header=BB4_3436 Depth=3
	s_or_b32 exec_lo, exec_lo, s22
	v_cmp_gt_i16_sdwa s22, v21, v117 src0_sel:BYTE_0 src1_sel:DWORD
	s_and_b32 vcc_lo, exec_lo, s19
	s_mov_b32 s16, -1
                                        ; implicit-def: $vgpr90
	s_cbranch_vccz .LBB4_3594
; %bb.3581:                             ;   in Loop: Header=BB4_3436 Depth=3
	s_mov_b32 s16, 0
	s_and_saveexec_b32 s23, s22
	s_xor_b32 s22, exec_lo, s23
	s_cbranch_execz .LBB4_4618
; %bb.3582:                             ;   in Loop: Header=BB4_3436 Depth=3
	v_cmp_eq_u16_sdwa s73, v21, v118 src0_sel:BYTE_0 src1_sel:DWORD
	s_mov_b32 s16, -1
	s_and_saveexec_b32 s23, s73
; %bb.3583:                             ;   in Loop: Header=BB4_3436 Depth=3
	s_xor_b32 s16, exec_lo, -1
; %bb.3584:                             ;   in Loop: Header=BB4_3436 Depth=3
	s_or_b32 exec_lo, exec_lo, s23
	s_and_b32 s16, s16, exec_lo
	s_or_saveexec_b32 s22, s22
	v_mov_b32_e32 v20, 0x7f800001
	s_xor_b32 exec_lo, exec_lo, s22
	s_cbranch_execnz .LBB4_4619
.LBB4_3585:                             ;   in Loop: Header=BB4_3436 Depth=3
	s_or_b32 exec_lo, exec_lo, s22
	s_and_saveexec_b32 s22, s16
	s_cbranch_execz .LBB4_3587
.LBB4_3586:                             ;   in Loop: Header=BB4_3436 Depth=3
	v_and_b32_e32 v20, 7, v21
	v_bfe_u32 v92, v21, 3, 4
	v_lshlrev_b32_e32 v93, 24, v21
	v_ffbh_u32_e32 v90, v20
	v_cmp_eq_u32_e32 vcc_lo, 0, v92
	v_min_u32_e32 v90, 32, v90
	v_subrev_nc_u32_e32 v91, 28, v90
	v_sub_nc_u32_e32 v90, 29, v90
	v_lshlrev_b32_e32 v91, v91, v21
	v_cndmask_b32_e32 v90, v92, v90, vcc_lo
	v_and_b32_e32 v91, 7, v91
	v_lshl_add_u32 v90, v90, 23, 0x3b800000
	v_cndmask_b32_e32 v20, v20, v91, vcc_lo
	v_and_b32_e32 v91, 0x80000000, v93
	v_lshlrev_b32_e32 v20, 20, v20
	v_or3_b32 v20, v91, v90, v20
.LBB4_3587:                             ;   in Loop: Header=BB4_3436 Depth=3
	s_or_b32 exec_lo, exec_lo, s22
	v_cmp_gt_i16_sdwa s22, v17, v117 src0_sel:BYTE_0 src1_sel:DWORD
	s_mov_b32 s16, 0
	s_and_saveexec_b32 s23, s22
	s_xor_b32 s22, exec_lo, s23
	s_cbranch_execz .LBB4_4620
; %bb.3588:                             ;   in Loop: Header=BB4_3436 Depth=3
	v_cmp_eq_u16_sdwa s73, v17, v118 src0_sel:BYTE_0 src1_sel:DWORD
	s_mov_b32 s16, -1
	s_and_saveexec_b32 s23, s73
; %bb.3589:                             ;   in Loop: Header=BB4_3436 Depth=3
	s_xor_b32 s16, exec_lo, -1
; %bb.3590:                             ;   in Loop: Header=BB4_3436 Depth=3
	s_or_b32 exec_lo, exec_lo, s23
	s_and_b32 s16, s16, exec_lo
	s_or_saveexec_b32 s22, s22
	v_mov_b32_e32 v90, 0x7f800001
	s_xor_b32 exec_lo, exec_lo, s22
	s_cbranch_execnz .LBB4_4621
.LBB4_3591:                             ;   in Loop: Header=BB4_3436 Depth=3
	s_or_b32 exec_lo, exec_lo, s22
	s_and_saveexec_b32 s22, s16
	s_cbranch_execz .LBB4_3593
.LBB4_3592:                             ;   in Loop: Header=BB4_3436 Depth=3
	v_and_b32_e32 v90, 7, v17
	v_bfe_u32 v93, v17, 3, 4
	v_lshlrev_b32_e32 v94, 24, v17
	v_ffbh_u32_e32 v91, v90
	v_cmp_eq_u32_e32 vcc_lo, 0, v93
	v_min_u32_e32 v91, 32, v91
	v_subrev_nc_u32_e32 v92, 28, v91
	v_sub_nc_u32_e32 v91, 29, v91
	v_lshlrev_b32_e32 v92, v92, v17
	v_cndmask_b32_e32 v91, v93, v91, vcc_lo
	v_and_b32_e32 v92, 7, v92
	v_lshl_add_u32 v91, v91, 23, 0x3b800000
	v_cndmask_b32_e32 v90, v90, v92, vcc_lo
	v_and_b32_e32 v92, 0x80000000, v94
	v_lshlrev_b32_e32 v90, 20, v90
	v_or3_b32 v90, v92, v91, v90
.LBB4_3593:                             ;   in Loop: Header=BB4_3436 Depth=3
	s_or_b32 exec_lo, exec_lo, s22
	v_max_f32_e32 v90, v90, v90
	v_max_f32_e32 v20, v20, v20
	s_mov_b32 s16, 0
	v_max_f32_e32 v90, v20, v90
.LBB4_3594:                             ;   in Loop: Header=BB4_3436 Depth=3
	s_and_b32 vcc_lo, exec_lo, s16
	s_cbranch_vccz .LBB4_3608
; %bb.3595:                             ;   in Loop: Header=BB4_3436 Depth=3
	v_cmp_gt_i16_sdwa s22, v21, v117 src0_sel:BYTE_0 src1_sel:DWORD
	s_mov_b32 s16, 0
	s_and_saveexec_b32 s23, s22
	s_xor_b32 s22, exec_lo, s23
	s_cbranch_execz .LBB4_4622
; %bb.3596:                             ;   in Loop: Header=BB4_3436 Depth=3
	v_cmp_eq_u16_sdwa s73, v21, v118 src0_sel:BYTE_0 src1_sel:DWORD
	s_mov_b32 s16, -1
	s_and_saveexec_b32 s23, s73
; %bb.3597:                             ;   in Loop: Header=BB4_3436 Depth=3
	s_xor_b32 s16, exec_lo, -1
; %bb.3598:                             ;   in Loop: Header=BB4_3436 Depth=3
	s_or_b32 exec_lo, exec_lo, s23
	s_and_b32 s16, s16, exec_lo
	s_or_saveexec_b32 s22, s22
	v_mov_b32_e32 v20, 0x7f800001
	s_xor_b32 exec_lo, exec_lo, s22
	s_cbranch_execnz .LBB4_4623
.LBB4_3599:                             ;   in Loop: Header=BB4_3436 Depth=3
	s_or_b32 exec_lo, exec_lo, s22
	s_and_saveexec_b32 s22, s16
	s_cbranch_execz .LBB4_3601
.LBB4_3600:                             ;   in Loop: Header=BB4_3436 Depth=3
	v_and_b32_e32 v20, 7, v21
	v_bfe_u32 v92, v21, 3, 4
	v_lshlrev_b32_e32 v93, 24, v21
	v_ffbh_u32_e32 v90, v20
	v_cmp_eq_u32_e32 vcc_lo, 0, v92
	v_min_u32_e32 v90, 32, v90
	v_subrev_nc_u32_e32 v91, 28, v90
	v_sub_nc_u32_e32 v90, 29, v90
	v_lshlrev_b32_e32 v91, v91, v21
	v_cndmask_b32_e32 v90, v92, v90, vcc_lo
	v_and_b32_e32 v91, 7, v91
	v_lshl_add_u32 v90, v90, 23, 0x3b800000
	v_cndmask_b32_e32 v20, v20, v91, vcc_lo
	v_and_b32_e32 v91, 0x80000000, v93
	v_lshlrev_b32_e32 v20, 20, v20
	v_or3_b32 v20, v91, v90, v20
.LBB4_3601:                             ;   in Loop: Header=BB4_3436 Depth=3
	s_or_b32 exec_lo, exec_lo, s22
	v_cmp_gt_i16_sdwa s22, v17, v117 src0_sel:BYTE_0 src1_sel:DWORD
	s_mov_b32 s16, 0
	s_and_saveexec_b32 s23, s22
	s_xor_b32 s22, exec_lo, s23
	s_cbranch_execz .LBB4_4624
; %bb.3602:                             ;   in Loop: Header=BB4_3436 Depth=3
	v_cmp_eq_u16_sdwa s73, v17, v118 src0_sel:BYTE_0 src1_sel:DWORD
	s_mov_b32 s16, -1
	s_and_saveexec_b32 s23, s73
; %bb.3603:                             ;   in Loop: Header=BB4_3436 Depth=3
	s_xor_b32 s16, exec_lo, -1
; %bb.3604:                             ;   in Loop: Header=BB4_3436 Depth=3
	s_or_b32 exec_lo, exec_lo, s23
	s_and_b32 s16, s16, exec_lo
	s_or_saveexec_b32 s22, s22
	v_mov_b32_e32 v90, 0x7f800001
	s_xor_b32 exec_lo, exec_lo, s22
	s_cbranch_execnz .LBB4_4625
.LBB4_3605:                             ;   in Loop: Header=BB4_3436 Depth=3
	s_or_b32 exec_lo, exec_lo, s22
	s_and_saveexec_b32 s22, s16
	s_cbranch_execz .LBB4_3607
.LBB4_3606:                             ;   in Loop: Header=BB4_3436 Depth=3
	v_and_b32_e32 v90, 7, v17
	v_bfe_u32 v93, v17, 3, 4
	v_lshlrev_b32_e32 v94, 24, v17
	v_ffbh_u32_e32 v91, v90
	v_cmp_eq_u32_e32 vcc_lo, 0, v93
	v_min_u32_e32 v91, 32, v91
	v_subrev_nc_u32_e32 v92, 28, v91
	v_sub_nc_u32_e32 v91, 29, v91
	v_lshlrev_b32_e32 v92, v92, v17
	v_cndmask_b32_e32 v91, v93, v91, vcc_lo
	v_and_b32_e32 v92, 7, v92
	v_lshl_add_u32 v91, v91, 23, 0x3b800000
	v_cndmask_b32_e32 v90, v90, v92, vcc_lo
	v_and_b32_e32 v92, 0x80000000, v94
	v_lshlrev_b32_e32 v90, 20, v90
	v_or3_b32 v90, v92, v91, v90
.LBB4_3607:                             ;   in Loop: Header=BB4_3436 Depth=3
	s_or_b32 exec_lo, exec_lo, s22
	v_max_f32_e32 v90, v90, v90
	v_max_f32_e32 v20, v20, v20
	v_min_f32_e32 v90, v20, v90
.LBB4_3608:                             ;   in Loop: Header=BB4_3436 Depth=3
	v_and_b32_e32 v20, 0x7f800000, v90
	v_cmp_ne_u32_e32 vcc_lo, 0x7f800000, v20
	v_mov_b32_e32 v20, 0x80
	s_and_saveexec_b32 s22, vcc_lo
	s_cbranch_execz .LBB4_3616
; %bb.3609:                             ;   in Loop: Header=BB4_3436 Depth=3
	v_mov_b32_e32 v20, 0
	s_mov_b32 s23, exec_lo
	v_cmpx_ne_u32_e32 0, v90
	s_cbranch_execz .LBB4_3615
; %bb.3610:                             ;   in Loop: Header=BB4_3436 Depth=3
	v_bfe_u32 v20, v90, 23, 8
	v_and_b32_e32 v91, 0x7fffff, v90
	v_sub_nc_u32_e32 v92, 0x78, v20
	v_cmp_gt_u32_e32 vcc_lo, 0x79, v20
	v_or_b32_e32 v93, 0x800000, v91
	v_cndmask_b32_e32 v92, 0, v92, vcc_lo
	v_cmp_eq_u32_e32 vcc_lo, 0, v20
	v_add_nc_u32_e32 v20, 0xffffff89, v20
	v_cndmask_b32_e64 v92, v92, 0x77, vcc_lo
	v_cndmask_b32_e32 v91, v93, v91, vcc_lo
	v_cndmask_b32_e64 v20, v20, 0xffffff8a, vcc_lo
	v_lshl_add_u32 v93, 0x100000, v92, -1
	v_lshrrev_b32_e32 v94, v92, v91
	v_lshlrev_b32_e64 v104, v92, 0x80000
	v_add_nc_u32_e32 v92, v92, v20
	v_and_b32_e32 v91, v93, v91
	v_bfe_u32 v95, v94, 20, 1
	v_cmp_eq_u32_e64 s16, v91, v104
	v_add_nc_u32_e32 v93, -1, v95
	v_cndmask_b32_e64 v91, 0, v93, s16
	v_lshrrev_b32_e32 v93, 23, v94
	s_mov_b32 s16, exec_lo
	v_add_nc_u32_e32 v91, v91, v94
	v_xor_b32_e32 v93, 1, v93
	v_and_b32_e32 v20, 0xfffff, v91
	v_add_nc_u32_e32 v91, v20, v94
                                        ; implicit-def: $vgpr20
	v_cmpx_ne_u32_e64 v92, v93
	s_xor_b32 s16, exec_lo, s16
; %bb.3611:                             ;   in Loop: Header=BB4_3436 Depth=3
	v_cmp_lt_u32_e32 vcc_lo, 0xffffff, v91
	v_sub_nc_u32_e32 v20, v92, v93
	v_cndmask_b32_e64 v92, 0, 1, vcc_lo
	v_add_co_ci_u32_e64 v20, null, 0, v20, vcc_lo
	v_lshrrev_b32_e32 v91, v92, v91
; %bb.3612:                             ;   in Loop: Header=BB4_3436 Depth=3
	s_andn2_saveexec_b32 s16, s16
; %bb.3613:                             ;   in Loop: Header=BB4_3436 Depth=3
	v_bfe_u32 v20, v91, 23, 1
; %bb.3614:                             ;   in Loop: Header=BB4_3436 Depth=3
	s_or_b32 exec_lo, exec_lo, s16
	v_lshrrev_b32_e32 v91, 20, v91
	v_min_i32_e32 v92, 15, v20
	v_cmp_gt_i32_e32 vcc_lo, 16, v20
	v_and_b32_sdwa v90, v90, v118 dst_sel:DWORD dst_unused:UNUSED_PAD src0_sel:BYTE_3 src1_sel:DWORD
	v_lshlrev_b32_e32 v92, 3, v92
	v_cndmask_b32_e32 v91, 7, v91, vcc_lo
	v_and_b32_e32 v92, 0xf8, v92
	v_and_b32_e32 v93, 7, v91
	v_or_b32_e32 v20, v20, v91
	v_or3_b32 v90, v92, v90, v93
	v_cmp_ne_u32_e32 vcc_lo, 0, v20
	v_cndmask_b32_e32 v20, 0, v90, vcc_lo
.LBB4_3615:                             ;   in Loop: Header=BB4_3436 Depth=3
	s_or_b32 exec_lo, exec_lo, s23
.LBB4_3616:                             ;   in Loop: Header=BB4_3436 Depth=3
	s_or_b32 exec_lo, exec_lo, s22
	v_cmp_gt_i16_sdwa s22, v21, v117 src0_sel:BYTE_1 src1_sel:DWORD
	s_and_b32 vcc_lo, exec_lo, s19
	s_mov_b32 s16, -1
                                        ; implicit-def: $vgpr91
	s_cbranch_vccz .LBB4_3630
; %bb.3617:                             ;   in Loop: Header=BB4_3436 Depth=3
	s_mov_b32 s16, 0
	s_and_saveexec_b32 s23, s22
	s_xor_b32 s22, exec_lo, s23
	s_cbranch_execz .LBB4_4626
; %bb.3618:                             ;   in Loop: Header=BB4_3436 Depth=3
	v_cmp_eq_u16_sdwa s73, v21, v118 src0_sel:BYTE_1 src1_sel:DWORD
	s_mov_b32 s16, -1
	s_and_saveexec_b32 s23, s73
; %bb.3619:                             ;   in Loop: Header=BB4_3436 Depth=3
	s_xor_b32 s16, exec_lo, -1
; %bb.3620:                             ;   in Loop: Header=BB4_3436 Depth=3
	s_or_b32 exec_lo, exec_lo, s23
	s_and_b32 s16, s16, exec_lo
	s_or_saveexec_b32 s22, s22
	v_mov_b32_e32 v90, 0x7f800001
	s_xor_b32 exec_lo, exec_lo, s22
	s_cbranch_execnz .LBB4_4627
.LBB4_3621:                             ;   in Loop: Header=BB4_3436 Depth=3
	s_or_b32 exec_lo, exec_lo, s22
	s_and_saveexec_b32 s22, s16
	s_cbranch_execz .LBB4_3623
.LBB4_3622:                             ;   in Loop: Header=BB4_3436 Depth=3
	v_and_b32_sdwa v90, v119, v21 dst_sel:DWORD dst_unused:UNUSED_PAD src0_sel:DWORD src1_sel:BYTE_1
	v_and_b32_e32 v91, 7, v90
	v_bfe_u32 v94, v90, 3, 4
	v_ffbh_u32_e32 v92, v91
	v_cmp_eq_u32_e32 vcc_lo, 0, v94
	v_min_u32_e32 v92, 32, v92
	v_subrev_nc_u32_e32 v93, 28, v92
	v_sub_nc_u32_e32 v92, 29, v92
	v_lshlrev_b32_e32 v90, v93, v90
	v_lshlrev_b32_e32 v93, 16, v21
	v_cndmask_b32_e32 v92, v94, v92, vcc_lo
	v_and_b32_e32 v90, 7, v90
	v_lshl_add_u32 v92, v92, 23, 0x3b800000
	v_cndmask_b32_e32 v90, v91, v90, vcc_lo
	v_and_b32_e32 v91, 0x80000000, v93
	v_lshlrev_b32_e32 v90, 20, v90
	v_or3_b32 v90, v91, v92, v90
.LBB4_3623:                             ;   in Loop: Header=BB4_3436 Depth=3
	s_or_b32 exec_lo, exec_lo, s22
	v_cmp_gt_i16_sdwa s22, v17, v117 src0_sel:BYTE_1 src1_sel:DWORD
	s_mov_b32 s16, 0
	s_and_saveexec_b32 s23, s22
	s_xor_b32 s22, exec_lo, s23
	s_cbranch_execz .LBB4_4628
; %bb.3624:                             ;   in Loop: Header=BB4_3436 Depth=3
	v_cmp_eq_u16_sdwa s73, v17, v118 src0_sel:BYTE_1 src1_sel:DWORD
	s_mov_b32 s16, -1
	s_and_saveexec_b32 s23, s73
; %bb.3625:                             ;   in Loop: Header=BB4_3436 Depth=3
	s_xor_b32 s16, exec_lo, -1
; %bb.3626:                             ;   in Loop: Header=BB4_3436 Depth=3
	s_or_b32 exec_lo, exec_lo, s23
	s_and_b32 s16, s16, exec_lo
	s_or_saveexec_b32 s22, s22
	v_mov_b32_e32 v91, 0x7f800001
	s_xor_b32 exec_lo, exec_lo, s22
	s_cbranch_execnz .LBB4_4629
.LBB4_3627:                             ;   in Loop: Header=BB4_3436 Depth=3
	s_or_b32 exec_lo, exec_lo, s22
	s_and_saveexec_b32 s22, s16
	s_cbranch_execz .LBB4_3629
.LBB4_3628:                             ;   in Loop: Header=BB4_3436 Depth=3
	v_and_b32_sdwa v91, v119, v17 dst_sel:DWORD dst_unused:UNUSED_PAD src0_sel:DWORD src1_sel:BYTE_1
	v_and_b32_e32 v92, 7, v91
	v_bfe_u32 v95, v91, 3, 4
	v_ffbh_u32_e32 v93, v92
	v_cmp_eq_u32_e32 vcc_lo, 0, v95
	v_min_u32_e32 v93, 32, v93
	v_subrev_nc_u32_e32 v94, 28, v93
	v_sub_nc_u32_e32 v93, 29, v93
	v_lshlrev_b32_e32 v91, v94, v91
	v_lshlrev_b32_e32 v94, 16, v17
	v_cndmask_b32_e32 v93, v95, v93, vcc_lo
	v_and_b32_e32 v91, 7, v91
	v_lshl_add_u32 v93, v93, 23, 0x3b800000
	v_cndmask_b32_e32 v91, v92, v91, vcc_lo
	v_and_b32_e32 v92, 0x80000000, v94
	v_lshlrev_b32_e32 v91, 20, v91
	v_or3_b32 v91, v92, v93, v91
.LBB4_3629:                             ;   in Loop: Header=BB4_3436 Depth=3
	s_or_b32 exec_lo, exec_lo, s22
	v_max_f32_e32 v91, v91, v91
	v_max_f32_e32 v90, v90, v90
	s_mov_b32 s16, 0
	v_max_f32_e32 v91, v90, v91
.LBB4_3630:                             ;   in Loop: Header=BB4_3436 Depth=3
	s_and_b32 vcc_lo, exec_lo, s16
	s_cbranch_vccz .LBB4_3644
; %bb.3631:                             ;   in Loop: Header=BB4_3436 Depth=3
	v_cmp_gt_i16_sdwa s22, v21, v117 src0_sel:BYTE_1 src1_sel:DWORD
	s_mov_b32 s16, 0
	s_and_saveexec_b32 s23, s22
	s_xor_b32 s22, exec_lo, s23
	s_cbranch_execz .LBB4_4630
; %bb.3632:                             ;   in Loop: Header=BB4_3436 Depth=3
	v_cmp_eq_u16_sdwa s73, v21, v118 src0_sel:BYTE_1 src1_sel:DWORD
	s_mov_b32 s16, -1
	s_and_saveexec_b32 s23, s73
; %bb.3633:                             ;   in Loop: Header=BB4_3436 Depth=3
	s_xor_b32 s16, exec_lo, -1
; %bb.3634:                             ;   in Loop: Header=BB4_3436 Depth=3
	s_or_b32 exec_lo, exec_lo, s23
	s_and_b32 s16, s16, exec_lo
	s_or_saveexec_b32 s22, s22
	v_mov_b32_e32 v90, 0x7f800001
	s_xor_b32 exec_lo, exec_lo, s22
	s_cbranch_execnz .LBB4_4631
.LBB4_3635:                             ;   in Loop: Header=BB4_3436 Depth=3
	s_or_b32 exec_lo, exec_lo, s22
	s_and_saveexec_b32 s22, s16
	s_cbranch_execz .LBB4_3637
.LBB4_3636:                             ;   in Loop: Header=BB4_3436 Depth=3
	v_and_b32_sdwa v90, v119, v21 dst_sel:DWORD dst_unused:UNUSED_PAD src0_sel:DWORD src1_sel:BYTE_1
	v_and_b32_e32 v91, 7, v90
	v_bfe_u32 v94, v90, 3, 4
	v_ffbh_u32_e32 v92, v91
	v_cmp_eq_u32_e32 vcc_lo, 0, v94
	v_min_u32_e32 v92, 32, v92
	v_subrev_nc_u32_e32 v93, 28, v92
	v_sub_nc_u32_e32 v92, 29, v92
	v_lshlrev_b32_e32 v90, v93, v90
	v_lshlrev_b32_e32 v93, 16, v21
	v_cndmask_b32_e32 v92, v94, v92, vcc_lo
	v_and_b32_e32 v90, 7, v90
	v_lshl_add_u32 v92, v92, 23, 0x3b800000
	v_cndmask_b32_e32 v90, v91, v90, vcc_lo
	v_and_b32_e32 v91, 0x80000000, v93
	v_lshlrev_b32_e32 v90, 20, v90
	v_or3_b32 v90, v91, v92, v90
.LBB4_3637:                             ;   in Loop: Header=BB4_3436 Depth=3
	s_or_b32 exec_lo, exec_lo, s22
	v_cmp_gt_i16_sdwa s22, v17, v117 src0_sel:BYTE_1 src1_sel:DWORD
	s_mov_b32 s16, 0
	s_and_saveexec_b32 s23, s22
	s_xor_b32 s22, exec_lo, s23
	s_cbranch_execz .LBB4_4632
; %bb.3638:                             ;   in Loop: Header=BB4_3436 Depth=3
	v_cmp_eq_u16_sdwa s73, v17, v118 src0_sel:BYTE_1 src1_sel:DWORD
	s_mov_b32 s16, -1
	s_and_saveexec_b32 s23, s73
; %bb.3639:                             ;   in Loop: Header=BB4_3436 Depth=3
	s_xor_b32 s16, exec_lo, -1
; %bb.3640:                             ;   in Loop: Header=BB4_3436 Depth=3
	s_or_b32 exec_lo, exec_lo, s23
	s_and_b32 s16, s16, exec_lo
	s_or_saveexec_b32 s22, s22
	v_mov_b32_e32 v91, 0x7f800001
	s_xor_b32 exec_lo, exec_lo, s22
	s_cbranch_execnz .LBB4_4633
.LBB4_3641:                             ;   in Loop: Header=BB4_3436 Depth=3
	s_or_b32 exec_lo, exec_lo, s22
	s_and_saveexec_b32 s22, s16
	s_cbranch_execz .LBB4_3643
.LBB4_3642:                             ;   in Loop: Header=BB4_3436 Depth=3
	v_and_b32_sdwa v91, v119, v17 dst_sel:DWORD dst_unused:UNUSED_PAD src0_sel:DWORD src1_sel:BYTE_1
	v_and_b32_e32 v92, 7, v91
	v_bfe_u32 v95, v91, 3, 4
	v_ffbh_u32_e32 v93, v92
	v_cmp_eq_u32_e32 vcc_lo, 0, v95
	v_min_u32_e32 v93, 32, v93
	v_subrev_nc_u32_e32 v94, 28, v93
	v_sub_nc_u32_e32 v93, 29, v93
	v_lshlrev_b32_e32 v91, v94, v91
	v_lshlrev_b32_e32 v94, 16, v17
	v_cndmask_b32_e32 v93, v95, v93, vcc_lo
	v_and_b32_e32 v91, 7, v91
	v_lshl_add_u32 v93, v93, 23, 0x3b800000
	v_cndmask_b32_e32 v91, v92, v91, vcc_lo
	v_and_b32_e32 v92, 0x80000000, v94
	v_lshlrev_b32_e32 v91, 20, v91
	v_or3_b32 v91, v92, v93, v91
.LBB4_3643:                             ;   in Loop: Header=BB4_3436 Depth=3
	s_or_b32 exec_lo, exec_lo, s22
	v_max_f32_e32 v91, v91, v91
	v_max_f32_e32 v90, v90, v90
	v_min_f32_e32 v91, v90, v91
.LBB4_3644:                             ;   in Loop: Header=BB4_3436 Depth=3
	v_and_b32_e32 v90, 0x7f800000, v91
	v_cmp_ne_u32_e32 vcc_lo, 0x7f800000, v90
	v_mov_b32_e32 v90, 0x8000
	s_and_saveexec_b32 s22, vcc_lo
	s_cbranch_execz .LBB4_3652
; %bb.3645:                             ;   in Loop: Header=BB4_3436 Depth=3
	v_mov_b32_e32 v90, 0
	s_mov_b32 s23, exec_lo
	v_cmpx_ne_u32_e32 0, v91
	s_cbranch_execz .LBB4_3651
; %bb.3646:                             ;   in Loop: Header=BB4_3436 Depth=3
	v_bfe_u32 v90, v91, 23, 8
	v_and_b32_e32 v92, 0x7fffff, v91
	v_sub_nc_u32_e32 v93, 0x78, v90
	v_cmp_gt_u32_e32 vcc_lo, 0x79, v90
	v_or_b32_e32 v94, 0x800000, v92
	v_cndmask_b32_e32 v93, 0, v93, vcc_lo
	v_cmp_eq_u32_e32 vcc_lo, 0, v90
	v_add_nc_u32_e32 v90, 0xffffff89, v90
	v_cndmask_b32_e64 v93, v93, 0x77, vcc_lo
	v_cndmask_b32_e32 v92, v94, v92, vcc_lo
	v_cndmask_b32_e64 v90, v90, 0xffffff8a, vcc_lo
	v_lshl_add_u32 v94, 0x100000, v93, -1
	v_lshrrev_b32_e32 v95, v93, v92
	v_lshlrev_b32_e64 v105, v93, 0x80000
	v_add_nc_u32_e32 v93, v93, v90
	v_and_b32_e32 v92, v94, v92
	v_bfe_u32 v104, v95, 20, 1
	v_cmp_eq_u32_e64 s16, v92, v105
	v_add_nc_u32_e32 v94, -1, v104
	v_cndmask_b32_e64 v92, 0, v94, s16
	v_lshrrev_b32_e32 v94, 23, v95
	s_mov_b32 s16, exec_lo
	v_add_nc_u32_e32 v92, v92, v95
	v_xor_b32_e32 v94, 1, v94
	v_and_b32_e32 v90, 0xfffff, v92
	v_add_nc_u32_e32 v92, v90, v95
                                        ; implicit-def: $vgpr90
	v_cmpx_ne_u32_e64 v93, v94
	s_xor_b32 s16, exec_lo, s16
; %bb.3647:                             ;   in Loop: Header=BB4_3436 Depth=3
	v_cmp_lt_u32_e32 vcc_lo, 0xffffff, v92
	v_sub_nc_u32_e32 v90, v93, v94
	v_cndmask_b32_e64 v93, 0, 1, vcc_lo
	v_add_co_ci_u32_e64 v90, null, 0, v90, vcc_lo
	v_lshrrev_b32_e32 v92, v93, v92
; %bb.3648:                             ;   in Loop: Header=BB4_3436 Depth=3
	s_andn2_saveexec_b32 s16, s16
; %bb.3649:                             ;   in Loop: Header=BB4_3436 Depth=3
	v_bfe_u32 v90, v92, 23, 1
; %bb.3650:                             ;   in Loop: Header=BB4_3436 Depth=3
	s_or_b32 exec_lo, exec_lo, s16
	v_lshrrev_b32_e32 v92, 20, v92
	v_min_i32_e32 v93, 15, v90
	v_cmp_gt_i32_e32 vcc_lo, 16, v90
	v_and_b32_sdwa v91, v91, v118 dst_sel:DWORD dst_unused:UNUSED_PAD src0_sel:BYTE_3 src1_sel:DWORD
	v_lshlrev_b32_e32 v93, 3, v93
	v_cndmask_b32_e32 v92, 7, v92, vcc_lo
	v_and_b32_e32 v93, 0xf8, v93
	v_and_b32_e32 v94, 7, v92
	v_or_b32_e32 v90, v90, v92
	v_or3_b32 v91, v91, v93, v94
	v_cmp_ne_u32_e32 vcc_lo, 0, v90
	v_lshlrev_b32_e32 v91, 8, v91
	v_cndmask_b32_e32 v90, 0, v91, vcc_lo
.LBB4_3651:                             ;   in Loop: Header=BB4_3436 Depth=3
	s_or_b32 exec_lo, exec_lo, s23
.LBB4_3652:                             ;   in Loop: Header=BB4_3436 Depth=3
	s_or_b32 exec_lo, exec_lo, s22
	v_and_b32_sdwa v91, v21, v40 dst_sel:DWORD dst_unused:UNUSED_PAD src0_sel:WORD_1 src1_sel:DWORD
	s_and_b32 vcc_lo, exec_lo, s19
	s_mov_b32 s22, -1
                                        ; implicit-def: $vgpr92
	v_cmp_lt_i16_e64 s16, 0x7f, v91
	s_cbranch_vccz .LBB4_3666
; %bb.3653:                             ;   in Loop: Header=BB4_3436 Depth=3
	s_mov_b32 s22, 0
	s_and_saveexec_b32 s23, s16
	s_xor_b32 s16, exec_lo, s23
	s_cbranch_execz .LBB4_4634
; %bb.3654:                             ;   in Loop: Header=BB4_3436 Depth=3
	s_mov_b32 s22, -1
	s_mov_b32 s23, exec_lo
	v_cmpx_eq_u16_e32 0x80, v91
; %bb.3655:                             ;   in Loop: Header=BB4_3436 Depth=3
	s_xor_b32 s22, exec_lo, -1
; %bb.3656:                             ;   in Loop: Header=BB4_3436 Depth=3
	s_or_b32 exec_lo, exec_lo, s23
	s_and_b32 s22, s22, exec_lo
	s_or_saveexec_b32 s16, s16
	v_mov_b32_e32 v92, 0x7f800001
	s_xor_b32 exec_lo, exec_lo, s16
	s_cbranch_execnz .LBB4_4635
.LBB4_3657:                             ;   in Loop: Header=BB4_3436 Depth=3
	s_or_b32 exec_lo, exec_lo, s16
	s_and_saveexec_b32 s16, s22
	s_cbranch_execz .LBB4_3659
.LBB4_3658:                             ;   in Loop: Header=BB4_3436 Depth=3
	v_bfe_u32 v92, v21, 16, 3
	v_bfe_u32 v95, v21, 19, 4
	v_lshlrev_b32_sdwa v104, v41, v21 dst_sel:DWORD dst_unused:UNUSED_PAD src0_sel:DWORD src1_sel:WORD_1
	v_ffbh_u32_e32 v93, v92
	v_cmp_eq_u32_e32 vcc_lo, 0, v95
	v_min_u32_e32 v93, 32, v93
	v_subrev_nc_u32_e32 v94, 28, v93
	v_sub_nc_u32_e32 v93, 29, v93
	v_lshlrev_b32_sdwa v94, v94, v21 dst_sel:DWORD dst_unused:UNUSED_PAD src0_sel:DWORD src1_sel:WORD_1
	v_cndmask_b32_e32 v93, v95, v93, vcc_lo
	v_and_b32_e32 v94, 7, v94
	v_lshl_add_u32 v93, v93, 23, 0x3b800000
	v_cndmask_b32_e32 v92, v92, v94, vcc_lo
	v_and_b32_e32 v94, 0x80000000, v104
	v_lshlrev_b32_e32 v92, 20, v92
	v_or3_b32 v92, v94, v93, v92
.LBB4_3659:                             ;   in Loop: Header=BB4_3436 Depth=3
	s_or_b32 exec_lo, exec_lo, s16
	v_and_b32_sdwa v94, v17, v40 dst_sel:DWORD dst_unused:UNUSED_PAD src0_sel:WORD_1 src1_sel:DWORD
	s_mov_b32 s16, 0
	s_mov_b32 s22, exec_lo
	v_cmpx_lt_i16_e32 0x7f, v94
	s_xor_b32 s22, exec_lo, s22
	s_cbranch_execz .LBB4_4636
; %bb.3660:                             ;   in Loop: Header=BB4_3436 Depth=3
	s_mov_b32 s16, -1
	s_mov_b32 s23, exec_lo
	v_cmpx_eq_u16_e32 0x80, v94
; %bb.3661:                             ;   in Loop: Header=BB4_3436 Depth=3
	s_xor_b32 s16, exec_lo, -1
; %bb.3662:                             ;   in Loop: Header=BB4_3436 Depth=3
	s_or_b32 exec_lo, exec_lo, s23
	s_and_b32 s16, s16, exec_lo
                                        ; implicit-def: $vgpr94
	s_or_saveexec_b32 s22, s22
	v_mov_b32_e32 v93, 0x7f800001
	s_xor_b32 exec_lo, exec_lo, s22
	s_cbranch_execnz .LBB4_4637
.LBB4_3663:                             ;   in Loop: Header=BB4_3436 Depth=3
	s_or_b32 exec_lo, exec_lo, s22
	s_and_saveexec_b32 s22, s16
	s_cbranch_execz .LBB4_3665
.LBB4_3664:                             ;   in Loop: Header=BB4_3436 Depth=3
	v_bfe_u32 v93, v17, 16, 3
	v_bfe_u32 v104, v17, 19, 4
	v_lshlrev_b32_sdwa v105, v41, v17 dst_sel:DWORD dst_unused:UNUSED_PAD src0_sel:DWORD src1_sel:WORD_1
	v_ffbh_u32_e32 v94, v93
	v_cmp_eq_u32_e32 vcc_lo, 0, v104
	v_min_u32_e32 v94, 32, v94
	v_subrev_nc_u32_e32 v95, 28, v94
	v_sub_nc_u32_e32 v94, 29, v94
	v_lshlrev_b32_sdwa v95, v95, v17 dst_sel:DWORD dst_unused:UNUSED_PAD src0_sel:DWORD src1_sel:WORD_1
	v_cndmask_b32_e32 v94, v104, v94, vcc_lo
	v_and_b32_e32 v95, 7, v95
	v_lshl_add_u32 v94, v94, 23, 0x3b800000
	v_cndmask_b32_e32 v93, v93, v95, vcc_lo
	v_and_b32_e32 v95, 0x80000000, v105
	v_lshlrev_b32_e32 v93, 20, v93
	v_or3_b32 v93, v95, v94, v93
.LBB4_3665:                             ;   in Loop: Header=BB4_3436 Depth=3
	s_or_b32 exec_lo, exec_lo, s22
	v_max_f32_e32 v93, v93, v93
	v_max_f32_e32 v92, v92, v92
	s_mov_b32 s22, 0
	v_max_f32_e32 v92, v92, v93
.LBB4_3666:                             ;   in Loop: Header=BB4_3436 Depth=3
	s_and_b32 vcc_lo, exec_lo, s22
	s_cbranch_vccz .LBB4_3680
; %bb.3667:                             ;   in Loop: Header=BB4_3436 Depth=3
	s_mov_b32 s16, 0
	s_mov_b32 s22, exec_lo
	v_cmpx_lt_i16_e32 0x7f, v91
	s_xor_b32 s22, exec_lo, s22
	s_cbranch_execz .LBB4_4638
; %bb.3668:                             ;   in Loop: Header=BB4_3436 Depth=3
	s_mov_b32 s16, -1
	s_mov_b32 s23, exec_lo
	v_cmpx_eq_u16_e32 0x80, v91
; %bb.3669:                             ;   in Loop: Header=BB4_3436 Depth=3
	s_xor_b32 s16, exec_lo, -1
; %bb.3670:                             ;   in Loop: Header=BB4_3436 Depth=3
	s_or_b32 exec_lo, exec_lo, s23
	s_and_b32 s16, s16, exec_lo
                                        ; implicit-def: $vgpr91
	s_or_saveexec_b32 s22, s22
	v_mov_b32_e32 v92, 0x7f800001
	s_xor_b32 exec_lo, exec_lo, s22
	s_cbranch_execnz .LBB4_4639
.LBB4_3671:                             ;   in Loop: Header=BB4_3436 Depth=3
	s_or_b32 exec_lo, exec_lo, s22
	s_and_saveexec_b32 s22, s16
	s_cbranch_execz .LBB4_3673
.LBB4_3672:                             ;   in Loop: Header=BB4_3436 Depth=3
	v_bfe_u32 v91, v21, 16, 3
	v_bfe_u32 v94, v21, 19, 4
	v_lshlrev_b32_sdwa v95, v41, v21 dst_sel:DWORD dst_unused:UNUSED_PAD src0_sel:DWORD src1_sel:WORD_1
	v_ffbh_u32_e32 v92, v91
	v_cmp_eq_u32_e32 vcc_lo, 0, v94
	v_min_u32_e32 v92, 32, v92
	v_subrev_nc_u32_e32 v93, 28, v92
	v_sub_nc_u32_e32 v92, 29, v92
	v_lshlrev_b32_sdwa v93, v93, v21 dst_sel:DWORD dst_unused:UNUSED_PAD src0_sel:DWORD src1_sel:WORD_1
	v_cndmask_b32_e32 v92, v94, v92, vcc_lo
	v_and_b32_e32 v93, 7, v93
	v_lshl_add_u32 v92, v92, 23, 0x3b800000
	v_cndmask_b32_e32 v91, v91, v93, vcc_lo
	v_and_b32_e32 v93, 0x80000000, v95
	v_lshlrev_b32_e32 v91, 20, v91
	v_or3_b32 v92, v93, v92, v91
.LBB4_3673:                             ;   in Loop: Header=BB4_3436 Depth=3
	s_or_b32 exec_lo, exec_lo, s22
	v_and_b32_sdwa v93, v17, v40 dst_sel:DWORD dst_unused:UNUSED_PAD src0_sel:WORD_1 src1_sel:DWORD
	s_mov_b32 s16, 0
	s_mov_b32 s22, exec_lo
	v_cmpx_lt_i16_e32 0x7f, v93
	s_xor_b32 s22, exec_lo, s22
	s_cbranch_execz .LBB4_4640
; %bb.3674:                             ;   in Loop: Header=BB4_3436 Depth=3
	s_mov_b32 s16, -1
	s_mov_b32 s23, exec_lo
	v_cmpx_eq_u16_e32 0x80, v93
; %bb.3675:                             ;   in Loop: Header=BB4_3436 Depth=3
	s_xor_b32 s16, exec_lo, -1
; %bb.3676:                             ;   in Loop: Header=BB4_3436 Depth=3
	s_or_b32 exec_lo, exec_lo, s23
	s_and_b32 s16, s16, exec_lo
                                        ; implicit-def: $vgpr93
	s_or_saveexec_b32 s22, s22
	v_mov_b32_e32 v91, 0x7f800001
	s_xor_b32 exec_lo, exec_lo, s22
	s_cbranch_execnz .LBB4_4641
.LBB4_3677:                             ;   in Loop: Header=BB4_3436 Depth=3
	s_or_b32 exec_lo, exec_lo, s22
	s_and_saveexec_b32 s22, s16
	s_cbranch_execz .LBB4_3679
.LBB4_3678:                             ;   in Loop: Header=BB4_3436 Depth=3
	v_bfe_u32 v91, v17, 16, 3
	v_bfe_u32 v95, v17, 19, 4
	v_lshlrev_b32_sdwa v104, v41, v17 dst_sel:DWORD dst_unused:UNUSED_PAD src0_sel:DWORD src1_sel:WORD_1
	v_ffbh_u32_e32 v93, v91
	v_cmp_eq_u32_e32 vcc_lo, 0, v95
	v_min_u32_e32 v93, 32, v93
	v_subrev_nc_u32_e32 v94, 28, v93
	v_sub_nc_u32_e32 v93, 29, v93
	v_lshlrev_b32_sdwa v94, v94, v17 dst_sel:DWORD dst_unused:UNUSED_PAD src0_sel:DWORD src1_sel:WORD_1
	v_cndmask_b32_e32 v93, v95, v93, vcc_lo
	v_and_b32_e32 v94, 7, v94
	v_lshl_add_u32 v93, v93, 23, 0x3b800000
	v_cndmask_b32_e32 v91, v91, v94, vcc_lo
	v_and_b32_e32 v94, 0x80000000, v104
	v_lshlrev_b32_e32 v91, 20, v91
	v_or3_b32 v91, v94, v93, v91
.LBB4_3679:                             ;   in Loop: Header=BB4_3436 Depth=3
	s_or_b32 exec_lo, exec_lo, s22
	v_max_f32_e32 v91, v91, v91
	v_max_f32_e32 v92, v92, v92
	v_min_f32_e32 v92, v92, v91
.LBB4_3680:                             ;   in Loop: Header=BB4_3436 Depth=3
	v_and_b32_e32 v91, 0x7f800000, v92
	v_cmp_ne_u32_e32 vcc_lo, 0x7f800000, v91
	v_mov_b32_e32 v91, 0x80
	s_and_saveexec_b32 s22, vcc_lo
	s_cbranch_execz .LBB4_3688
; %bb.3681:                             ;   in Loop: Header=BB4_3436 Depth=3
	v_mov_b32_e32 v91, 0
	s_mov_b32 s23, exec_lo
	v_cmpx_ne_u32_e32 0, v92
	s_cbranch_execz .LBB4_3687
; %bb.3682:                             ;   in Loop: Header=BB4_3436 Depth=3
	v_bfe_u32 v91, v92, 23, 8
	v_and_b32_e32 v93, 0x7fffff, v92
	v_sub_nc_u32_e32 v94, 0x78, v91
	v_cmp_gt_u32_e32 vcc_lo, 0x79, v91
	v_or_b32_e32 v95, 0x800000, v93
	v_cndmask_b32_e32 v94, 0, v94, vcc_lo
	v_cmp_eq_u32_e32 vcc_lo, 0, v91
	v_add_nc_u32_e32 v91, 0xffffff89, v91
	v_cndmask_b32_e64 v94, v94, 0x77, vcc_lo
	v_cndmask_b32_e32 v93, v95, v93, vcc_lo
	v_cndmask_b32_e64 v91, v91, 0xffffff8a, vcc_lo
	v_lshl_add_u32 v95, 0x100000, v94, -1
	v_lshrrev_b32_e32 v104, v94, v93
	v_lshlrev_b32_e64 v106, v94, 0x80000
	v_add_nc_u32_e32 v94, v94, v91
	v_and_b32_e32 v93, v95, v93
	v_bfe_u32 v105, v104, 20, 1
	v_cmp_eq_u32_e64 s16, v93, v106
	v_add_nc_u32_e32 v95, -1, v105
	v_cndmask_b32_e64 v93, 0, v95, s16
	v_lshrrev_b32_e32 v95, 23, v104
	s_mov_b32 s16, exec_lo
	v_add_nc_u32_e32 v93, v93, v104
	v_xor_b32_e32 v95, 1, v95
	v_and_b32_e32 v91, 0xfffff, v93
	v_add_nc_u32_e32 v93, v91, v104
                                        ; implicit-def: $vgpr91
	v_cmpx_ne_u32_e64 v94, v95
	s_xor_b32 s16, exec_lo, s16
; %bb.3683:                             ;   in Loop: Header=BB4_3436 Depth=3
	v_cmp_lt_u32_e32 vcc_lo, 0xffffff, v93
	v_sub_nc_u32_e32 v91, v94, v95
	v_cndmask_b32_e64 v94, 0, 1, vcc_lo
	v_add_co_ci_u32_e64 v91, null, 0, v91, vcc_lo
	v_lshrrev_b32_e32 v93, v94, v93
; %bb.3684:                             ;   in Loop: Header=BB4_3436 Depth=3
	s_andn2_saveexec_b32 s16, s16
; %bb.3685:                             ;   in Loop: Header=BB4_3436 Depth=3
	v_bfe_u32 v91, v93, 23, 1
; %bb.3686:                             ;   in Loop: Header=BB4_3436 Depth=3
	s_or_b32 exec_lo, exec_lo, s16
	v_lshrrev_b32_e32 v93, 20, v93
	v_min_i32_e32 v94, 15, v91
	v_cmp_gt_i32_e32 vcc_lo, 16, v91
	v_and_b32_sdwa v92, v92, v118 dst_sel:DWORD dst_unused:UNUSED_PAD src0_sel:BYTE_3 src1_sel:DWORD
	v_lshlrev_b32_e32 v94, 3, v94
	v_cndmask_b32_e32 v93, 7, v93, vcc_lo
	v_and_b32_e32 v94, 0xf8, v94
	v_and_b32_e32 v95, 7, v93
	v_or_b32_e32 v91, v91, v93
	v_or3_b32 v92, v94, v92, v95
	v_cmp_ne_u32_e32 vcc_lo, 0, v91
	v_cndmask_b32_e32 v91, 0, v92, vcc_lo
.LBB4_3687:                             ;   in Loop: Header=BB4_3436 Depth=3
	s_or_b32 exec_lo, exec_lo, s23
.LBB4_3688:                             ;   in Loop: Header=BB4_3436 Depth=3
	s_or_b32 exec_lo, exec_lo, s22
	v_cmp_gt_i16_sdwa s22, v21, v117 src0_sel:BYTE_3 src1_sel:DWORD
	s_and_b32 vcc_lo, exec_lo, s19
	s_mov_b32 s16, -1
                                        ; implicit-def: $vgpr92
	s_cbranch_vccz .LBB4_3702
; %bb.3689:                             ;   in Loop: Header=BB4_3436 Depth=3
	s_mov_b32 s16, 0
	s_and_saveexec_b32 s23, s22
	s_xor_b32 s22, exec_lo, s23
	s_cbranch_execz .LBB4_4642
; %bb.3690:                             ;   in Loop: Header=BB4_3436 Depth=3
	v_cmp_eq_u16_sdwa s73, v21, v118 src0_sel:BYTE_3 src1_sel:DWORD
	s_mov_b32 s16, -1
	s_and_saveexec_b32 s23, s73
; %bb.3691:                             ;   in Loop: Header=BB4_3436 Depth=3
	s_xor_b32 s16, exec_lo, -1
; %bb.3692:                             ;   in Loop: Header=BB4_3436 Depth=3
	s_or_b32 exec_lo, exec_lo, s23
	s_and_b32 s16, s16, exec_lo
	s_or_saveexec_b32 s22, s22
	v_mov_b32_e32 v92, 0x7f800001
	s_xor_b32 exec_lo, exec_lo, s22
	s_cbranch_execnz .LBB4_4643
.LBB4_3693:                             ;   in Loop: Header=BB4_3436 Depth=3
	s_or_b32 exec_lo, exec_lo, s22
	s_and_saveexec_b32 s22, s16
	s_cbranch_execz .LBB4_3695
.LBB4_3694:                             ;   in Loop: Header=BB4_3436 Depth=3
	v_bfe_u32 v92, v21, 24, 3
	v_bfe_u32 v95, v21, 27, 4
	v_ffbh_u32_e32 v93, v92
	v_cmp_eq_u32_e32 vcc_lo, 0, v95
	v_min_u32_e32 v93, 32, v93
	v_subrev_nc_u32_e32 v94, 28, v93
	v_sub_nc_u32_e32 v93, 29, v93
	v_lshlrev_b32_sdwa v94, v94, v21 dst_sel:DWORD dst_unused:UNUSED_PAD src0_sel:DWORD src1_sel:BYTE_3
	v_cndmask_b32_e32 v93, v95, v93, vcc_lo
	v_and_b32_e32 v94, 7, v94
	v_lshl_add_u32 v93, v93, 23, 0x3b800000
	v_cndmask_b32_e32 v92, v92, v94, vcc_lo
	v_and_b32_e32 v94, 0x80000000, v21
	v_lshlrev_b32_e32 v92, 20, v92
	v_or3_b32 v92, v94, v93, v92
.LBB4_3695:                             ;   in Loop: Header=BB4_3436 Depth=3
	s_or_b32 exec_lo, exec_lo, s22
	v_cmp_gt_i16_sdwa s22, v17, v117 src0_sel:BYTE_3 src1_sel:DWORD
	s_mov_b32 s16, 0
	s_and_saveexec_b32 s23, s22
	s_xor_b32 s22, exec_lo, s23
	s_cbranch_execz .LBB4_4644
; %bb.3696:                             ;   in Loop: Header=BB4_3436 Depth=3
	v_cmp_eq_u16_sdwa s73, v17, v118 src0_sel:BYTE_3 src1_sel:DWORD
	s_mov_b32 s16, -1
	s_and_saveexec_b32 s23, s73
; %bb.3697:                             ;   in Loop: Header=BB4_3436 Depth=3
	s_xor_b32 s16, exec_lo, -1
; %bb.3698:                             ;   in Loop: Header=BB4_3436 Depth=3
	s_or_b32 exec_lo, exec_lo, s23
	s_and_b32 s16, s16, exec_lo
	s_or_saveexec_b32 s22, s22
	v_mov_b32_e32 v93, 0x7f800001
	s_xor_b32 exec_lo, exec_lo, s22
	s_cbranch_execnz .LBB4_4645
.LBB4_3699:                             ;   in Loop: Header=BB4_3436 Depth=3
	s_or_b32 exec_lo, exec_lo, s22
	s_and_saveexec_b32 s22, s16
	s_cbranch_execz .LBB4_3701
.LBB4_3700:                             ;   in Loop: Header=BB4_3436 Depth=3
	v_bfe_u32 v93, v17, 24, 3
	v_bfe_u32 v104, v17, 27, 4
	v_ffbh_u32_e32 v94, v93
	v_cmp_eq_u32_e32 vcc_lo, 0, v104
	v_min_u32_e32 v94, 32, v94
	v_subrev_nc_u32_e32 v95, 28, v94
	v_sub_nc_u32_e32 v94, 29, v94
	v_lshlrev_b32_sdwa v95, v95, v17 dst_sel:DWORD dst_unused:UNUSED_PAD src0_sel:DWORD src1_sel:BYTE_3
	v_cndmask_b32_e32 v94, v104, v94, vcc_lo
	v_and_b32_e32 v95, 7, v95
	v_lshl_add_u32 v94, v94, 23, 0x3b800000
	v_cndmask_b32_e32 v93, v93, v95, vcc_lo
	v_and_b32_e32 v95, 0x80000000, v17
	v_lshlrev_b32_e32 v93, 20, v93
	v_or3_b32 v93, v95, v94, v93
.LBB4_3701:                             ;   in Loop: Header=BB4_3436 Depth=3
	s_or_b32 exec_lo, exec_lo, s22
	v_max_f32_e32 v93, v93, v93
	v_max_f32_e32 v92, v92, v92
	s_mov_b32 s16, 0
	v_max_f32_e32 v92, v92, v93
.LBB4_3702:                             ;   in Loop: Header=BB4_3436 Depth=3
	s_and_b32 vcc_lo, exec_lo, s16
	s_cbranch_vccz .LBB4_3716
; %bb.3703:                             ;   in Loop: Header=BB4_3436 Depth=3
	v_cmp_gt_i16_sdwa s22, v21, v117 src0_sel:BYTE_3 src1_sel:DWORD
	s_mov_b32 s16, 0
	s_and_saveexec_b32 s23, s22
	s_xor_b32 s22, exec_lo, s23
	s_cbranch_execz .LBB4_4646
; %bb.3704:                             ;   in Loop: Header=BB4_3436 Depth=3
	v_cmp_eq_u16_sdwa s73, v21, v118 src0_sel:BYTE_3 src1_sel:DWORD
	s_mov_b32 s16, -1
	s_and_saveexec_b32 s23, s73
; %bb.3705:                             ;   in Loop: Header=BB4_3436 Depth=3
	s_xor_b32 s16, exec_lo, -1
; %bb.3706:                             ;   in Loop: Header=BB4_3436 Depth=3
	s_or_b32 exec_lo, exec_lo, s23
	s_and_b32 s16, s16, exec_lo
	s_or_saveexec_b32 s22, s22
	v_mov_b32_e32 v92, 0x7f800001
	s_xor_b32 exec_lo, exec_lo, s22
	s_cbranch_execnz .LBB4_4647
.LBB4_3707:                             ;   in Loop: Header=BB4_3436 Depth=3
	s_or_b32 exec_lo, exec_lo, s22
	s_and_saveexec_b32 s22, s16
	s_cbranch_execz .LBB4_3709
.LBB4_3708:                             ;   in Loop: Header=BB4_3436 Depth=3
	v_bfe_u32 v92, v21, 24, 3
	v_bfe_u32 v95, v21, 27, 4
	v_ffbh_u32_e32 v93, v92
	v_cmp_eq_u32_e32 vcc_lo, 0, v95
	v_min_u32_e32 v93, 32, v93
	v_subrev_nc_u32_e32 v94, 28, v93
	v_sub_nc_u32_e32 v93, 29, v93
	v_lshlrev_b32_sdwa v94, v94, v21 dst_sel:DWORD dst_unused:UNUSED_PAD src0_sel:DWORD src1_sel:BYTE_3
	v_cndmask_b32_e32 v93, v95, v93, vcc_lo
	v_and_b32_e32 v21, 0x80000000, v21
	v_and_b32_e32 v94, 7, v94
	v_lshl_add_u32 v93, v93, 23, 0x3b800000
	v_cndmask_b32_e32 v92, v92, v94, vcc_lo
	v_lshlrev_b32_e32 v92, 20, v92
	v_or3_b32 v92, v21, v93, v92
.LBB4_3709:                             ;   in Loop: Header=BB4_3436 Depth=3
	s_or_b32 exec_lo, exec_lo, s22
	v_cmp_gt_i16_sdwa s22, v17, v117 src0_sel:BYTE_3 src1_sel:DWORD
	s_mov_b32 s16, 0
	s_and_saveexec_b32 s23, s22
	s_xor_b32 s22, exec_lo, s23
	s_cbranch_execz .LBB4_4648
; %bb.3710:                             ;   in Loop: Header=BB4_3436 Depth=3
	v_cmp_eq_u16_sdwa s73, v17, v118 src0_sel:BYTE_3 src1_sel:DWORD
	s_mov_b32 s16, -1
	s_and_saveexec_b32 s23, s73
; %bb.3711:                             ;   in Loop: Header=BB4_3436 Depth=3
	s_xor_b32 s16, exec_lo, -1
; %bb.3712:                             ;   in Loop: Header=BB4_3436 Depth=3
	s_or_b32 exec_lo, exec_lo, s23
	s_and_b32 s16, s16, exec_lo
	s_or_saveexec_b32 s22, s22
	v_mov_b32_e32 v21, 0x7f800001
	s_xor_b32 exec_lo, exec_lo, s22
	s_cbranch_execnz .LBB4_4649
.LBB4_3713:                             ;   in Loop: Header=BB4_3436 Depth=3
	s_or_b32 exec_lo, exec_lo, s22
	s_and_saveexec_b32 s22, s16
	s_cbranch_execz .LBB4_3715
.LBB4_3714:                             ;   in Loop: Header=BB4_3436 Depth=3
	v_bfe_u32 v21, v17, 24, 3
	v_bfe_u32 v95, v17, 27, 4
	v_ffbh_u32_e32 v93, v21
	v_cmp_eq_u32_e32 vcc_lo, 0, v95
	v_min_u32_e32 v93, 32, v93
	v_subrev_nc_u32_e32 v94, 28, v93
	v_sub_nc_u32_e32 v93, 29, v93
	v_lshlrev_b32_sdwa v94, v94, v17 dst_sel:DWORD dst_unused:UNUSED_PAD src0_sel:DWORD src1_sel:BYTE_3
	v_cndmask_b32_e32 v93, v95, v93, vcc_lo
	v_and_b32_e32 v17, 0x80000000, v17
	v_and_b32_e32 v94, 7, v94
	v_lshl_add_u32 v93, v93, 23, 0x3b800000
	v_cndmask_b32_e32 v21, v21, v94, vcc_lo
	v_lshlrev_b32_e32 v21, 20, v21
	v_or3_b32 v21, v17, v93, v21
.LBB4_3715:                             ;   in Loop: Header=BB4_3436 Depth=3
	s_or_b32 exec_lo, exec_lo, s22
	v_max_f32_e32 v17, v21, v21
	v_max_f32_e32 v21, v92, v92
	v_min_f32_e32 v92, v21, v17
.LBB4_3716:                             ;   in Loop: Header=BB4_3436 Depth=3
	v_and_b32_e32 v17, 0x7f800000, v92
	v_cmp_ne_u32_e32 vcc_lo, 0x7f800000, v17
	v_mov_b32_e32 v17, 0x8000
	s_and_saveexec_b32 s22, vcc_lo
	s_cbranch_execz .LBB4_3724
; %bb.3717:                             ;   in Loop: Header=BB4_3436 Depth=3
	v_mov_b32_e32 v17, 0
	s_mov_b32 s23, exec_lo
	v_cmpx_ne_u32_e32 0, v92
	s_cbranch_execz .LBB4_3723
; %bb.3718:                             ;   in Loop: Header=BB4_3436 Depth=3
	v_bfe_u32 v17, v92, 23, 8
	v_and_b32_e32 v21, 0x7fffff, v92
	v_sub_nc_u32_e32 v93, 0x78, v17
	v_cmp_gt_u32_e32 vcc_lo, 0x79, v17
	v_or_b32_e32 v94, 0x800000, v21
	v_cndmask_b32_e32 v93, 0, v93, vcc_lo
	v_cmp_eq_u32_e32 vcc_lo, 0, v17
	v_add_nc_u32_e32 v17, 0xffffff89, v17
	v_cndmask_b32_e64 v93, v93, 0x77, vcc_lo
	v_cndmask_b32_e32 v21, v94, v21, vcc_lo
	v_cndmask_b32_e64 v17, v17, 0xffffff8a, vcc_lo
	v_lshl_add_u32 v94, 0x100000, v93, -1
	v_lshrrev_b32_e32 v95, v93, v21
	v_lshlrev_b32_e64 v105, v93, 0x80000
	v_add_nc_u32_e32 v93, v93, v17
	v_and_b32_e32 v21, v94, v21
	v_bfe_u32 v104, v95, 20, 1
	v_cmp_eq_u32_e64 s16, v21, v105
	v_add_nc_u32_e32 v94, -1, v104
	v_cndmask_b32_e64 v21, 0, v94, s16
	v_lshrrev_b32_e32 v94, 23, v95
	s_mov_b32 s16, exec_lo
	v_add_nc_u32_e32 v21, v21, v95
	v_xor_b32_e32 v94, 1, v94
	v_and_b32_e32 v17, 0xfffff, v21
	v_add_nc_u32_e32 v21, v17, v95
                                        ; implicit-def: $vgpr17
	v_cmpx_ne_u32_e64 v93, v94
	s_xor_b32 s16, exec_lo, s16
; %bb.3719:                             ;   in Loop: Header=BB4_3436 Depth=3
	v_cmp_lt_u32_e32 vcc_lo, 0xffffff, v21
	v_sub_nc_u32_e32 v17, v93, v94
	v_cndmask_b32_e64 v93, 0, 1, vcc_lo
	v_add_co_ci_u32_e64 v17, null, 0, v17, vcc_lo
	v_lshrrev_b32_e32 v21, v93, v21
; %bb.3720:                             ;   in Loop: Header=BB4_3436 Depth=3
	s_andn2_saveexec_b32 s16, s16
; %bb.3721:                             ;   in Loop: Header=BB4_3436 Depth=3
	v_bfe_u32 v17, v21, 23, 1
; %bb.3722:                             ;   in Loop: Header=BB4_3436 Depth=3
	s_or_b32 exec_lo, exec_lo, s16
	v_lshrrev_b32_e32 v21, 20, v21
	v_min_i32_e32 v93, 15, v17
	v_cmp_gt_i32_e32 vcc_lo, 16, v17
	v_and_b32_sdwa v92, v92, v118 dst_sel:DWORD dst_unused:UNUSED_PAD src0_sel:BYTE_3 src1_sel:DWORD
	v_lshlrev_b32_e32 v93, 3, v93
	v_cndmask_b32_e32 v21, 7, v21, vcc_lo
	v_and_b32_e32 v93, 0xf8, v93
	v_and_b32_e32 v94, 7, v21
	v_or_b32_e32 v17, v17, v21
	v_or3_b32 v92, v92, v93, v94
	v_cmp_ne_u32_e32 vcc_lo, 0, v17
	v_lshlrev_b32_e32 v21, 8, v92
	v_cndmask_b32_e32 v17, 0, v21, vcc_lo
.LBB4_3723:                             ;   in Loop: Header=BB4_3436 Depth=3
	s_or_b32 exec_lo, exec_lo, s23
.LBB4_3724:                             ;   in Loop: Header=BB4_3436 Depth=3
	s_or_b32 exec_lo, exec_lo, s22
	v_cmp_gt_i16_sdwa s22, v22, v117 src0_sel:BYTE_0 src1_sel:DWORD
	s_and_b32 vcc_lo, exec_lo, s19
	s_mov_b32 s16, -1
                                        ; implicit-def: $vgpr92
	s_cbranch_vccz .LBB4_3738
; %bb.3725:                             ;   in Loop: Header=BB4_3436 Depth=3
	s_mov_b32 s16, 0
	s_and_saveexec_b32 s23, s22
	s_xor_b32 s22, exec_lo, s23
	s_cbranch_execz .LBB4_4650
; %bb.3726:                             ;   in Loop: Header=BB4_3436 Depth=3
	v_cmp_eq_u16_sdwa s73, v22, v118 src0_sel:BYTE_0 src1_sel:DWORD
	s_mov_b32 s16, -1
	s_and_saveexec_b32 s23, s73
; %bb.3727:                             ;   in Loop: Header=BB4_3436 Depth=3
	s_xor_b32 s16, exec_lo, -1
; %bb.3728:                             ;   in Loop: Header=BB4_3436 Depth=3
	s_or_b32 exec_lo, exec_lo, s23
	s_and_b32 s16, s16, exec_lo
	s_or_saveexec_b32 s22, s22
	v_mov_b32_e32 v21, 0x7f800001
	s_xor_b32 exec_lo, exec_lo, s22
	s_cbranch_execnz .LBB4_4651
.LBB4_3729:                             ;   in Loop: Header=BB4_3436 Depth=3
	s_or_b32 exec_lo, exec_lo, s22
	s_and_saveexec_b32 s22, s16
	s_cbranch_execz .LBB4_3731
.LBB4_3730:                             ;   in Loop: Header=BB4_3436 Depth=3
	v_and_b32_e32 v21, 7, v22
	v_bfe_u32 v94, v22, 3, 4
	v_lshlrev_b32_e32 v95, 24, v22
	v_ffbh_u32_e32 v92, v21
	v_cmp_eq_u32_e32 vcc_lo, 0, v94
	v_min_u32_e32 v92, 32, v92
	v_subrev_nc_u32_e32 v93, 28, v92
	v_sub_nc_u32_e32 v92, 29, v92
	v_lshlrev_b32_e32 v93, v93, v22
	v_cndmask_b32_e32 v92, v94, v92, vcc_lo
	v_and_b32_e32 v93, 7, v93
	v_lshl_add_u32 v92, v92, 23, 0x3b800000
	v_cndmask_b32_e32 v21, v21, v93, vcc_lo
	v_and_b32_e32 v93, 0x80000000, v95
	v_lshlrev_b32_e32 v21, 20, v21
	v_or3_b32 v21, v93, v92, v21
.LBB4_3731:                             ;   in Loop: Header=BB4_3436 Depth=3
	s_or_b32 exec_lo, exec_lo, s22
	v_cmp_gt_i16_sdwa s22, v18, v117 src0_sel:BYTE_0 src1_sel:DWORD
	s_mov_b32 s16, 0
	s_and_saveexec_b32 s23, s22
	s_xor_b32 s22, exec_lo, s23
	s_cbranch_execz .LBB4_4652
; %bb.3732:                             ;   in Loop: Header=BB4_3436 Depth=3
	v_cmp_eq_u16_sdwa s73, v18, v118 src0_sel:BYTE_0 src1_sel:DWORD
	s_mov_b32 s16, -1
	s_and_saveexec_b32 s23, s73
; %bb.3733:                             ;   in Loop: Header=BB4_3436 Depth=3
	s_xor_b32 s16, exec_lo, -1
; %bb.3734:                             ;   in Loop: Header=BB4_3436 Depth=3
	s_or_b32 exec_lo, exec_lo, s23
	s_and_b32 s16, s16, exec_lo
	s_or_saveexec_b32 s22, s22
	v_mov_b32_e32 v92, 0x7f800001
	s_xor_b32 exec_lo, exec_lo, s22
	s_cbranch_execnz .LBB4_4653
.LBB4_3735:                             ;   in Loop: Header=BB4_3436 Depth=3
	s_or_b32 exec_lo, exec_lo, s22
	s_and_saveexec_b32 s22, s16
	s_cbranch_execz .LBB4_3737
.LBB4_3736:                             ;   in Loop: Header=BB4_3436 Depth=3
	v_and_b32_e32 v92, 7, v18
	v_bfe_u32 v95, v18, 3, 4
	v_lshlrev_b32_e32 v104, 24, v18
	v_ffbh_u32_e32 v93, v92
	v_cmp_eq_u32_e32 vcc_lo, 0, v95
	v_min_u32_e32 v93, 32, v93
	v_subrev_nc_u32_e32 v94, 28, v93
	v_sub_nc_u32_e32 v93, 29, v93
	v_lshlrev_b32_e32 v94, v94, v18
	v_cndmask_b32_e32 v93, v95, v93, vcc_lo
	v_and_b32_e32 v94, 7, v94
	v_lshl_add_u32 v93, v93, 23, 0x3b800000
	v_cndmask_b32_e32 v92, v92, v94, vcc_lo
	v_and_b32_e32 v94, 0x80000000, v104
	v_lshlrev_b32_e32 v92, 20, v92
	v_or3_b32 v92, v94, v93, v92
.LBB4_3737:                             ;   in Loop: Header=BB4_3436 Depth=3
	s_or_b32 exec_lo, exec_lo, s22
	v_max_f32_e32 v92, v92, v92
	v_max_f32_e32 v21, v21, v21
	s_mov_b32 s16, 0
	v_max_f32_e32 v92, v21, v92
.LBB4_3738:                             ;   in Loop: Header=BB4_3436 Depth=3
	s_and_b32 vcc_lo, exec_lo, s16
	s_cbranch_vccz .LBB4_3752
; %bb.3739:                             ;   in Loop: Header=BB4_3436 Depth=3
	v_cmp_gt_i16_sdwa s22, v22, v117 src0_sel:BYTE_0 src1_sel:DWORD
	s_mov_b32 s16, 0
	s_and_saveexec_b32 s23, s22
	s_xor_b32 s22, exec_lo, s23
	s_cbranch_execz .LBB4_4654
; %bb.3740:                             ;   in Loop: Header=BB4_3436 Depth=3
	v_cmp_eq_u16_sdwa s73, v22, v118 src0_sel:BYTE_0 src1_sel:DWORD
	s_mov_b32 s16, -1
	s_and_saveexec_b32 s23, s73
; %bb.3741:                             ;   in Loop: Header=BB4_3436 Depth=3
	s_xor_b32 s16, exec_lo, -1
; %bb.3742:                             ;   in Loop: Header=BB4_3436 Depth=3
	s_or_b32 exec_lo, exec_lo, s23
	s_and_b32 s16, s16, exec_lo
	s_or_saveexec_b32 s22, s22
	v_mov_b32_e32 v21, 0x7f800001
	s_xor_b32 exec_lo, exec_lo, s22
	s_cbranch_execnz .LBB4_4655
.LBB4_3743:                             ;   in Loop: Header=BB4_3436 Depth=3
	s_or_b32 exec_lo, exec_lo, s22
	s_and_saveexec_b32 s22, s16
	s_cbranch_execz .LBB4_3745
.LBB4_3744:                             ;   in Loop: Header=BB4_3436 Depth=3
	v_and_b32_e32 v21, 7, v22
	v_bfe_u32 v94, v22, 3, 4
	v_lshlrev_b32_e32 v95, 24, v22
	v_ffbh_u32_e32 v92, v21
	v_cmp_eq_u32_e32 vcc_lo, 0, v94
	v_min_u32_e32 v92, 32, v92
	v_subrev_nc_u32_e32 v93, 28, v92
	v_sub_nc_u32_e32 v92, 29, v92
	v_lshlrev_b32_e32 v93, v93, v22
	v_cndmask_b32_e32 v92, v94, v92, vcc_lo
	v_and_b32_e32 v93, 7, v93
	v_lshl_add_u32 v92, v92, 23, 0x3b800000
	v_cndmask_b32_e32 v21, v21, v93, vcc_lo
	v_and_b32_e32 v93, 0x80000000, v95
	v_lshlrev_b32_e32 v21, 20, v21
	v_or3_b32 v21, v93, v92, v21
.LBB4_3745:                             ;   in Loop: Header=BB4_3436 Depth=3
	s_or_b32 exec_lo, exec_lo, s22
	v_cmp_gt_i16_sdwa s22, v18, v117 src0_sel:BYTE_0 src1_sel:DWORD
	s_mov_b32 s16, 0
	s_and_saveexec_b32 s23, s22
	s_xor_b32 s22, exec_lo, s23
	s_cbranch_execz .LBB4_4656
; %bb.3746:                             ;   in Loop: Header=BB4_3436 Depth=3
	v_cmp_eq_u16_sdwa s73, v18, v118 src0_sel:BYTE_0 src1_sel:DWORD
	s_mov_b32 s16, -1
	s_and_saveexec_b32 s23, s73
; %bb.3747:                             ;   in Loop: Header=BB4_3436 Depth=3
	s_xor_b32 s16, exec_lo, -1
; %bb.3748:                             ;   in Loop: Header=BB4_3436 Depth=3
	s_or_b32 exec_lo, exec_lo, s23
	s_and_b32 s16, s16, exec_lo
	s_or_saveexec_b32 s22, s22
	v_mov_b32_e32 v92, 0x7f800001
	s_xor_b32 exec_lo, exec_lo, s22
	s_cbranch_execnz .LBB4_4657
.LBB4_3749:                             ;   in Loop: Header=BB4_3436 Depth=3
	s_or_b32 exec_lo, exec_lo, s22
	s_and_saveexec_b32 s22, s16
	s_cbranch_execz .LBB4_3751
.LBB4_3750:                             ;   in Loop: Header=BB4_3436 Depth=3
	v_and_b32_e32 v92, 7, v18
	v_bfe_u32 v95, v18, 3, 4
	v_lshlrev_b32_e32 v104, 24, v18
	v_ffbh_u32_e32 v93, v92
	v_cmp_eq_u32_e32 vcc_lo, 0, v95
	v_min_u32_e32 v93, 32, v93
	v_subrev_nc_u32_e32 v94, 28, v93
	v_sub_nc_u32_e32 v93, 29, v93
	v_lshlrev_b32_e32 v94, v94, v18
	v_cndmask_b32_e32 v93, v95, v93, vcc_lo
	v_and_b32_e32 v94, 7, v94
	v_lshl_add_u32 v93, v93, 23, 0x3b800000
	v_cndmask_b32_e32 v92, v92, v94, vcc_lo
	v_and_b32_e32 v94, 0x80000000, v104
	v_lshlrev_b32_e32 v92, 20, v92
	v_or3_b32 v92, v94, v93, v92
.LBB4_3751:                             ;   in Loop: Header=BB4_3436 Depth=3
	s_or_b32 exec_lo, exec_lo, s22
	v_max_f32_e32 v92, v92, v92
	v_max_f32_e32 v21, v21, v21
	v_min_f32_e32 v92, v21, v92
.LBB4_3752:                             ;   in Loop: Header=BB4_3436 Depth=3
	v_and_b32_e32 v21, 0x7f800000, v92
	v_cmp_ne_u32_e32 vcc_lo, 0x7f800000, v21
	v_mov_b32_e32 v21, 0x80
	s_and_saveexec_b32 s22, vcc_lo
	s_cbranch_execz .LBB4_3760
; %bb.3753:                             ;   in Loop: Header=BB4_3436 Depth=3
	v_mov_b32_e32 v21, 0
	s_mov_b32 s23, exec_lo
	v_cmpx_ne_u32_e32 0, v92
	s_cbranch_execz .LBB4_3759
; %bb.3754:                             ;   in Loop: Header=BB4_3436 Depth=3
	v_bfe_u32 v21, v92, 23, 8
	v_and_b32_e32 v93, 0x7fffff, v92
	v_sub_nc_u32_e32 v94, 0x78, v21
	v_cmp_gt_u32_e32 vcc_lo, 0x79, v21
	v_or_b32_e32 v95, 0x800000, v93
	v_cndmask_b32_e32 v94, 0, v94, vcc_lo
	v_cmp_eq_u32_e32 vcc_lo, 0, v21
	v_add_nc_u32_e32 v21, 0xffffff89, v21
	v_cndmask_b32_e64 v94, v94, 0x77, vcc_lo
	v_cndmask_b32_e32 v93, v95, v93, vcc_lo
	v_cndmask_b32_e64 v21, v21, 0xffffff8a, vcc_lo
	v_lshl_add_u32 v95, 0x100000, v94, -1
	v_lshrrev_b32_e32 v104, v94, v93
	v_lshlrev_b32_e64 v106, v94, 0x80000
	v_add_nc_u32_e32 v94, v94, v21
	v_and_b32_e32 v93, v95, v93
	v_bfe_u32 v105, v104, 20, 1
	v_cmp_eq_u32_e64 s16, v93, v106
	v_add_nc_u32_e32 v95, -1, v105
	v_cndmask_b32_e64 v93, 0, v95, s16
	v_lshrrev_b32_e32 v95, 23, v104
	s_mov_b32 s16, exec_lo
	v_add_nc_u32_e32 v93, v93, v104
	v_xor_b32_e32 v95, 1, v95
	v_and_b32_e32 v21, 0xfffff, v93
	v_add_nc_u32_e32 v93, v21, v104
                                        ; implicit-def: $vgpr21
	v_cmpx_ne_u32_e64 v94, v95
	s_xor_b32 s16, exec_lo, s16
; %bb.3755:                             ;   in Loop: Header=BB4_3436 Depth=3
	v_cmp_lt_u32_e32 vcc_lo, 0xffffff, v93
	v_sub_nc_u32_e32 v21, v94, v95
	v_cndmask_b32_e64 v94, 0, 1, vcc_lo
	v_add_co_ci_u32_e64 v21, null, 0, v21, vcc_lo
	v_lshrrev_b32_e32 v93, v94, v93
; %bb.3756:                             ;   in Loop: Header=BB4_3436 Depth=3
	s_andn2_saveexec_b32 s16, s16
; %bb.3757:                             ;   in Loop: Header=BB4_3436 Depth=3
	v_bfe_u32 v21, v93, 23, 1
; %bb.3758:                             ;   in Loop: Header=BB4_3436 Depth=3
	s_or_b32 exec_lo, exec_lo, s16
	v_lshrrev_b32_e32 v93, 20, v93
	v_min_i32_e32 v94, 15, v21
	v_cmp_gt_i32_e32 vcc_lo, 16, v21
	v_and_b32_sdwa v92, v92, v118 dst_sel:DWORD dst_unused:UNUSED_PAD src0_sel:BYTE_3 src1_sel:DWORD
	v_lshlrev_b32_e32 v94, 3, v94
	v_cndmask_b32_e32 v93, 7, v93, vcc_lo
	v_and_b32_e32 v94, 0xf8, v94
	v_and_b32_e32 v95, 7, v93
	v_or_b32_e32 v21, v21, v93
	v_or3_b32 v92, v94, v92, v95
	v_cmp_ne_u32_e32 vcc_lo, 0, v21
	v_cndmask_b32_e32 v21, 0, v92, vcc_lo
.LBB4_3759:                             ;   in Loop: Header=BB4_3436 Depth=3
	s_or_b32 exec_lo, exec_lo, s23
.LBB4_3760:                             ;   in Loop: Header=BB4_3436 Depth=3
	s_or_b32 exec_lo, exec_lo, s22
	v_cmp_gt_i16_sdwa s22, v22, v117 src0_sel:BYTE_1 src1_sel:DWORD
	s_and_b32 vcc_lo, exec_lo, s19
	s_mov_b32 s16, -1
                                        ; implicit-def: $vgpr93
	s_cbranch_vccz .LBB4_3774
; %bb.3761:                             ;   in Loop: Header=BB4_3436 Depth=3
	s_mov_b32 s16, 0
	s_and_saveexec_b32 s23, s22
	s_xor_b32 s22, exec_lo, s23
	s_cbranch_execz .LBB4_4658
; %bb.3762:                             ;   in Loop: Header=BB4_3436 Depth=3
	v_cmp_eq_u16_sdwa s73, v22, v118 src0_sel:BYTE_1 src1_sel:DWORD
	s_mov_b32 s16, -1
	s_and_saveexec_b32 s23, s73
; %bb.3763:                             ;   in Loop: Header=BB4_3436 Depth=3
	s_xor_b32 s16, exec_lo, -1
; %bb.3764:                             ;   in Loop: Header=BB4_3436 Depth=3
	s_or_b32 exec_lo, exec_lo, s23
	s_and_b32 s16, s16, exec_lo
	s_or_saveexec_b32 s22, s22
	v_mov_b32_e32 v92, 0x7f800001
	s_xor_b32 exec_lo, exec_lo, s22
	s_cbranch_execnz .LBB4_4659
.LBB4_3765:                             ;   in Loop: Header=BB4_3436 Depth=3
	s_or_b32 exec_lo, exec_lo, s22
	s_and_saveexec_b32 s22, s16
	s_cbranch_execz .LBB4_3767
.LBB4_3766:                             ;   in Loop: Header=BB4_3436 Depth=3
	v_and_b32_sdwa v92, v119, v22 dst_sel:DWORD dst_unused:UNUSED_PAD src0_sel:DWORD src1_sel:BYTE_1
	v_and_b32_e32 v93, 7, v92
	v_bfe_u32 v104, v92, 3, 4
	v_ffbh_u32_e32 v94, v93
	v_cmp_eq_u32_e32 vcc_lo, 0, v104
	v_min_u32_e32 v94, 32, v94
	v_subrev_nc_u32_e32 v95, 28, v94
	v_sub_nc_u32_e32 v94, 29, v94
	v_lshlrev_b32_e32 v92, v95, v92
	v_lshlrev_b32_e32 v95, 16, v22
	v_cndmask_b32_e32 v94, v104, v94, vcc_lo
	v_and_b32_e32 v92, 7, v92
	v_lshl_add_u32 v94, v94, 23, 0x3b800000
	v_cndmask_b32_e32 v92, v93, v92, vcc_lo
	v_and_b32_e32 v93, 0x80000000, v95
	v_lshlrev_b32_e32 v92, 20, v92
	v_or3_b32 v92, v93, v94, v92
.LBB4_3767:                             ;   in Loop: Header=BB4_3436 Depth=3
	s_or_b32 exec_lo, exec_lo, s22
	v_cmp_gt_i16_sdwa s22, v18, v117 src0_sel:BYTE_1 src1_sel:DWORD
	s_mov_b32 s16, 0
	s_and_saveexec_b32 s23, s22
	s_xor_b32 s22, exec_lo, s23
	s_cbranch_execz .LBB4_4660
; %bb.3768:                             ;   in Loop: Header=BB4_3436 Depth=3
	v_cmp_eq_u16_sdwa s73, v18, v118 src0_sel:BYTE_1 src1_sel:DWORD
	s_mov_b32 s16, -1
	s_and_saveexec_b32 s23, s73
; %bb.3769:                             ;   in Loop: Header=BB4_3436 Depth=3
	s_xor_b32 s16, exec_lo, -1
; %bb.3770:                             ;   in Loop: Header=BB4_3436 Depth=3
	s_or_b32 exec_lo, exec_lo, s23
	s_and_b32 s16, s16, exec_lo
	s_or_saveexec_b32 s22, s22
	v_mov_b32_e32 v93, 0x7f800001
	s_xor_b32 exec_lo, exec_lo, s22
	s_cbranch_execnz .LBB4_4661
.LBB4_3771:                             ;   in Loop: Header=BB4_3436 Depth=3
	s_or_b32 exec_lo, exec_lo, s22
	s_and_saveexec_b32 s22, s16
	s_cbranch_execz .LBB4_3773
.LBB4_3772:                             ;   in Loop: Header=BB4_3436 Depth=3
	v_and_b32_sdwa v93, v119, v18 dst_sel:DWORD dst_unused:UNUSED_PAD src0_sel:DWORD src1_sel:BYTE_1
	v_and_b32_e32 v94, 7, v93
	v_bfe_u32 v105, v93, 3, 4
	v_ffbh_u32_e32 v95, v94
	v_cmp_eq_u32_e32 vcc_lo, 0, v105
	v_min_u32_e32 v95, 32, v95
	v_subrev_nc_u32_e32 v104, 28, v95
	v_sub_nc_u32_e32 v95, 29, v95
	v_lshlrev_b32_e32 v93, v104, v93
	v_lshlrev_b32_e32 v104, 16, v18
	v_cndmask_b32_e32 v95, v105, v95, vcc_lo
	v_and_b32_e32 v93, 7, v93
	v_lshl_add_u32 v95, v95, 23, 0x3b800000
	v_cndmask_b32_e32 v93, v94, v93, vcc_lo
	v_and_b32_e32 v94, 0x80000000, v104
	v_lshlrev_b32_e32 v93, 20, v93
	v_or3_b32 v93, v94, v95, v93
.LBB4_3773:                             ;   in Loop: Header=BB4_3436 Depth=3
	s_or_b32 exec_lo, exec_lo, s22
	v_max_f32_e32 v93, v93, v93
	v_max_f32_e32 v92, v92, v92
	s_mov_b32 s16, 0
	v_max_f32_e32 v93, v92, v93
.LBB4_3774:                             ;   in Loop: Header=BB4_3436 Depth=3
	s_and_b32 vcc_lo, exec_lo, s16
	s_cbranch_vccz .LBB4_3788
; %bb.3775:                             ;   in Loop: Header=BB4_3436 Depth=3
	v_cmp_gt_i16_sdwa s22, v22, v117 src0_sel:BYTE_1 src1_sel:DWORD
	s_mov_b32 s16, 0
	s_and_saveexec_b32 s23, s22
	s_xor_b32 s22, exec_lo, s23
	s_cbranch_execz .LBB4_4662
; %bb.3776:                             ;   in Loop: Header=BB4_3436 Depth=3
	v_cmp_eq_u16_sdwa s73, v22, v118 src0_sel:BYTE_1 src1_sel:DWORD
	s_mov_b32 s16, -1
	s_and_saveexec_b32 s23, s73
; %bb.3777:                             ;   in Loop: Header=BB4_3436 Depth=3
	s_xor_b32 s16, exec_lo, -1
; %bb.3778:                             ;   in Loop: Header=BB4_3436 Depth=3
	s_or_b32 exec_lo, exec_lo, s23
	s_and_b32 s16, s16, exec_lo
	s_or_saveexec_b32 s22, s22
	v_mov_b32_e32 v92, 0x7f800001
	s_xor_b32 exec_lo, exec_lo, s22
	s_cbranch_execnz .LBB4_4663
.LBB4_3779:                             ;   in Loop: Header=BB4_3436 Depth=3
	s_or_b32 exec_lo, exec_lo, s22
	s_and_saveexec_b32 s22, s16
	s_cbranch_execz .LBB4_3781
.LBB4_3780:                             ;   in Loop: Header=BB4_3436 Depth=3
	v_and_b32_sdwa v92, v119, v22 dst_sel:DWORD dst_unused:UNUSED_PAD src0_sel:DWORD src1_sel:BYTE_1
	v_and_b32_e32 v93, 7, v92
	v_bfe_u32 v104, v92, 3, 4
	v_ffbh_u32_e32 v94, v93
	v_cmp_eq_u32_e32 vcc_lo, 0, v104
	v_min_u32_e32 v94, 32, v94
	v_subrev_nc_u32_e32 v95, 28, v94
	v_sub_nc_u32_e32 v94, 29, v94
	v_lshlrev_b32_e32 v92, v95, v92
	v_lshlrev_b32_e32 v95, 16, v22
	v_cndmask_b32_e32 v94, v104, v94, vcc_lo
	v_and_b32_e32 v92, 7, v92
	v_lshl_add_u32 v94, v94, 23, 0x3b800000
	v_cndmask_b32_e32 v92, v93, v92, vcc_lo
	v_and_b32_e32 v93, 0x80000000, v95
	v_lshlrev_b32_e32 v92, 20, v92
	v_or3_b32 v92, v93, v94, v92
.LBB4_3781:                             ;   in Loop: Header=BB4_3436 Depth=3
	s_or_b32 exec_lo, exec_lo, s22
	v_cmp_gt_i16_sdwa s22, v18, v117 src0_sel:BYTE_1 src1_sel:DWORD
	s_mov_b32 s16, 0
	s_and_saveexec_b32 s23, s22
	s_xor_b32 s22, exec_lo, s23
	s_cbranch_execz .LBB4_4664
; %bb.3782:                             ;   in Loop: Header=BB4_3436 Depth=3
	v_cmp_eq_u16_sdwa s73, v18, v118 src0_sel:BYTE_1 src1_sel:DWORD
	s_mov_b32 s16, -1
	s_and_saveexec_b32 s23, s73
; %bb.3783:                             ;   in Loop: Header=BB4_3436 Depth=3
	s_xor_b32 s16, exec_lo, -1
; %bb.3784:                             ;   in Loop: Header=BB4_3436 Depth=3
	s_or_b32 exec_lo, exec_lo, s23
	s_and_b32 s16, s16, exec_lo
	s_or_saveexec_b32 s22, s22
	v_mov_b32_e32 v93, 0x7f800001
	s_xor_b32 exec_lo, exec_lo, s22
	s_cbranch_execnz .LBB4_4665
.LBB4_3785:                             ;   in Loop: Header=BB4_3436 Depth=3
	s_or_b32 exec_lo, exec_lo, s22
	s_and_saveexec_b32 s22, s16
	s_cbranch_execz .LBB4_3787
.LBB4_3786:                             ;   in Loop: Header=BB4_3436 Depth=3
	v_and_b32_sdwa v93, v119, v18 dst_sel:DWORD dst_unused:UNUSED_PAD src0_sel:DWORD src1_sel:BYTE_1
	v_and_b32_e32 v94, 7, v93
	v_bfe_u32 v105, v93, 3, 4
	v_ffbh_u32_e32 v95, v94
	v_cmp_eq_u32_e32 vcc_lo, 0, v105
	v_min_u32_e32 v95, 32, v95
	v_subrev_nc_u32_e32 v104, 28, v95
	v_sub_nc_u32_e32 v95, 29, v95
	v_lshlrev_b32_e32 v93, v104, v93
	v_lshlrev_b32_e32 v104, 16, v18
	v_cndmask_b32_e32 v95, v105, v95, vcc_lo
	v_and_b32_e32 v93, 7, v93
	v_lshl_add_u32 v95, v95, 23, 0x3b800000
	v_cndmask_b32_e32 v93, v94, v93, vcc_lo
	v_and_b32_e32 v94, 0x80000000, v104
	v_lshlrev_b32_e32 v93, 20, v93
	v_or3_b32 v93, v94, v95, v93
.LBB4_3787:                             ;   in Loop: Header=BB4_3436 Depth=3
	s_or_b32 exec_lo, exec_lo, s22
	v_max_f32_e32 v93, v93, v93
	v_max_f32_e32 v92, v92, v92
	v_min_f32_e32 v93, v92, v93
.LBB4_3788:                             ;   in Loop: Header=BB4_3436 Depth=3
	v_and_b32_e32 v92, 0x7f800000, v93
	v_cmp_ne_u32_e32 vcc_lo, 0x7f800000, v92
	v_mov_b32_e32 v92, 0x8000
	s_and_saveexec_b32 s22, vcc_lo
	s_cbranch_execz .LBB4_3796
; %bb.3789:                             ;   in Loop: Header=BB4_3436 Depth=3
	v_mov_b32_e32 v92, 0
	s_mov_b32 s23, exec_lo
	v_cmpx_ne_u32_e32 0, v93
	s_cbranch_execz .LBB4_3795
; %bb.3790:                             ;   in Loop: Header=BB4_3436 Depth=3
	v_bfe_u32 v92, v93, 23, 8
	v_and_b32_e32 v94, 0x7fffff, v93
	v_sub_nc_u32_e32 v95, 0x78, v92
	v_cmp_gt_u32_e32 vcc_lo, 0x79, v92
	v_or_b32_e32 v104, 0x800000, v94
	v_cndmask_b32_e32 v95, 0, v95, vcc_lo
	v_cmp_eq_u32_e32 vcc_lo, 0, v92
	v_add_nc_u32_e32 v92, 0xffffff89, v92
	v_cndmask_b32_e64 v95, v95, 0x77, vcc_lo
	v_cndmask_b32_e32 v94, v104, v94, vcc_lo
	v_cndmask_b32_e64 v92, v92, 0xffffff8a, vcc_lo
	v_lshl_add_u32 v104, 0x100000, v95, -1
	v_lshrrev_b32_e32 v105, v95, v94
	v_lshlrev_b32_e64 v107, v95, 0x80000
	v_add_nc_u32_e32 v95, v95, v92
	v_and_b32_e32 v94, v104, v94
	v_bfe_u32 v106, v105, 20, 1
	v_cmp_eq_u32_e64 s16, v94, v107
	v_add_nc_u32_e32 v104, -1, v106
	v_cndmask_b32_e64 v94, 0, v104, s16
	v_lshrrev_b32_e32 v104, 23, v105
	s_mov_b32 s16, exec_lo
	v_add_nc_u32_e32 v94, v94, v105
	v_xor_b32_e32 v104, 1, v104
	v_and_b32_e32 v92, 0xfffff, v94
	v_add_nc_u32_e32 v94, v92, v105
                                        ; implicit-def: $vgpr92
	v_cmpx_ne_u32_e64 v95, v104
	s_xor_b32 s16, exec_lo, s16
; %bb.3791:                             ;   in Loop: Header=BB4_3436 Depth=3
	v_cmp_lt_u32_e32 vcc_lo, 0xffffff, v94
	v_sub_nc_u32_e32 v92, v95, v104
	v_cndmask_b32_e64 v95, 0, 1, vcc_lo
	v_add_co_ci_u32_e64 v92, null, 0, v92, vcc_lo
	v_lshrrev_b32_e32 v94, v95, v94
; %bb.3792:                             ;   in Loop: Header=BB4_3436 Depth=3
	s_andn2_saveexec_b32 s16, s16
; %bb.3793:                             ;   in Loop: Header=BB4_3436 Depth=3
	v_bfe_u32 v92, v94, 23, 1
; %bb.3794:                             ;   in Loop: Header=BB4_3436 Depth=3
	s_or_b32 exec_lo, exec_lo, s16
	v_lshrrev_b32_e32 v94, 20, v94
	v_min_i32_e32 v95, 15, v92
	v_cmp_gt_i32_e32 vcc_lo, 16, v92
	v_and_b32_sdwa v93, v93, v118 dst_sel:DWORD dst_unused:UNUSED_PAD src0_sel:BYTE_3 src1_sel:DWORD
	v_lshlrev_b32_e32 v95, 3, v95
	v_cndmask_b32_e32 v94, 7, v94, vcc_lo
	v_and_b32_e32 v95, 0xf8, v95
	v_and_b32_e32 v104, 7, v94
	v_or_b32_e32 v92, v92, v94
	v_or3_b32 v93, v93, v95, v104
	v_cmp_ne_u32_e32 vcc_lo, 0, v92
	v_lshlrev_b32_e32 v93, 8, v93
	v_cndmask_b32_e32 v92, 0, v93, vcc_lo
.LBB4_3795:                             ;   in Loop: Header=BB4_3436 Depth=3
	s_or_b32 exec_lo, exec_lo, s23
.LBB4_3796:                             ;   in Loop: Header=BB4_3436 Depth=3
	s_or_b32 exec_lo, exec_lo, s22
	v_and_b32_sdwa v93, v22, v40 dst_sel:DWORD dst_unused:UNUSED_PAD src0_sel:WORD_1 src1_sel:DWORD
	s_and_b32 vcc_lo, exec_lo, s19
	s_mov_b32 s22, -1
                                        ; implicit-def: $vgpr94
	v_cmp_lt_i16_e64 s16, 0x7f, v93
	s_cbranch_vccz .LBB4_3810
; %bb.3797:                             ;   in Loop: Header=BB4_3436 Depth=3
	s_mov_b32 s22, 0
	s_and_saveexec_b32 s23, s16
	s_xor_b32 s16, exec_lo, s23
	s_cbranch_execz .LBB4_4666
; %bb.3798:                             ;   in Loop: Header=BB4_3436 Depth=3
	s_mov_b32 s22, -1
	s_mov_b32 s23, exec_lo
	v_cmpx_eq_u16_e32 0x80, v93
; %bb.3799:                             ;   in Loop: Header=BB4_3436 Depth=3
	s_xor_b32 s22, exec_lo, -1
; %bb.3800:                             ;   in Loop: Header=BB4_3436 Depth=3
	s_or_b32 exec_lo, exec_lo, s23
	s_and_b32 s22, s22, exec_lo
	s_or_saveexec_b32 s16, s16
	v_mov_b32_e32 v94, 0x7f800001
	s_xor_b32 exec_lo, exec_lo, s16
	s_cbranch_execnz .LBB4_4667
.LBB4_3801:                             ;   in Loop: Header=BB4_3436 Depth=3
	s_or_b32 exec_lo, exec_lo, s16
	s_and_saveexec_b32 s16, s22
	s_cbranch_execz .LBB4_3803
.LBB4_3802:                             ;   in Loop: Header=BB4_3436 Depth=3
	v_bfe_u32 v94, v22, 16, 3
	v_bfe_u32 v105, v22, 19, 4
	v_lshlrev_b32_sdwa v106, v41, v22 dst_sel:DWORD dst_unused:UNUSED_PAD src0_sel:DWORD src1_sel:WORD_1
	v_ffbh_u32_e32 v95, v94
	v_cmp_eq_u32_e32 vcc_lo, 0, v105
	v_min_u32_e32 v95, 32, v95
	v_subrev_nc_u32_e32 v104, 28, v95
	v_sub_nc_u32_e32 v95, 29, v95
	v_lshlrev_b32_sdwa v104, v104, v22 dst_sel:DWORD dst_unused:UNUSED_PAD src0_sel:DWORD src1_sel:WORD_1
	v_cndmask_b32_e32 v95, v105, v95, vcc_lo
	v_and_b32_e32 v104, 7, v104
	v_lshl_add_u32 v95, v95, 23, 0x3b800000
	v_cndmask_b32_e32 v94, v94, v104, vcc_lo
	v_and_b32_e32 v104, 0x80000000, v106
	v_lshlrev_b32_e32 v94, 20, v94
	v_or3_b32 v94, v104, v95, v94
.LBB4_3803:                             ;   in Loop: Header=BB4_3436 Depth=3
	s_or_b32 exec_lo, exec_lo, s16
	v_and_b32_sdwa v104, v18, v40 dst_sel:DWORD dst_unused:UNUSED_PAD src0_sel:WORD_1 src1_sel:DWORD
	s_mov_b32 s16, 0
	s_mov_b32 s22, exec_lo
	v_cmpx_lt_i16_e32 0x7f, v104
	s_xor_b32 s22, exec_lo, s22
	s_cbranch_execz .LBB4_4668
; %bb.3804:                             ;   in Loop: Header=BB4_3436 Depth=3
	s_mov_b32 s16, -1
	s_mov_b32 s23, exec_lo
	v_cmpx_eq_u16_e32 0x80, v104
; %bb.3805:                             ;   in Loop: Header=BB4_3436 Depth=3
	s_xor_b32 s16, exec_lo, -1
; %bb.3806:                             ;   in Loop: Header=BB4_3436 Depth=3
	s_or_b32 exec_lo, exec_lo, s23
	s_and_b32 s16, s16, exec_lo
                                        ; implicit-def: $vgpr104
	s_or_saveexec_b32 s22, s22
	v_mov_b32_e32 v95, 0x7f800001
	s_xor_b32 exec_lo, exec_lo, s22
	s_cbranch_execnz .LBB4_4669
.LBB4_3807:                             ;   in Loop: Header=BB4_3436 Depth=3
	s_or_b32 exec_lo, exec_lo, s22
	s_and_saveexec_b32 s22, s16
	s_cbranch_execz .LBB4_3809
.LBB4_3808:                             ;   in Loop: Header=BB4_3436 Depth=3
	v_bfe_u32 v95, v18, 16, 3
	v_bfe_u32 v106, v18, 19, 4
	v_lshlrev_b32_sdwa v107, v41, v18 dst_sel:DWORD dst_unused:UNUSED_PAD src0_sel:DWORD src1_sel:WORD_1
	v_ffbh_u32_e32 v104, v95
	v_cmp_eq_u32_e32 vcc_lo, 0, v106
	v_min_u32_e32 v104, 32, v104
	v_subrev_nc_u32_e32 v105, 28, v104
	v_sub_nc_u32_e32 v104, 29, v104
	v_lshlrev_b32_sdwa v105, v105, v18 dst_sel:DWORD dst_unused:UNUSED_PAD src0_sel:DWORD src1_sel:WORD_1
	v_cndmask_b32_e32 v104, v106, v104, vcc_lo
	v_and_b32_e32 v105, 7, v105
	v_lshl_add_u32 v104, v104, 23, 0x3b800000
	v_cndmask_b32_e32 v95, v95, v105, vcc_lo
	v_and_b32_e32 v105, 0x80000000, v107
	v_lshlrev_b32_e32 v95, 20, v95
	v_or3_b32 v95, v105, v104, v95
.LBB4_3809:                             ;   in Loop: Header=BB4_3436 Depth=3
	s_or_b32 exec_lo, exec_lo, s22
	v_max_f32_e32 v95, v95, v95
	v_max_f32_e32 v94, v94, v94
	s_mov_b32 s22, 0
	v_max_f32_e32 v94, v94, v95
.LBB4_3810:                             ;   in Loop: Header=BB4_3436 Depth=3
	s_and_b32 vcc_lo, exec_lo, s22
	s_cbranch_vccz .LBB4_3824
; %bb.3811:                             ;   in Loop: Header=BB4_3436 Depth=3
	s_mov_b32 s16, 0
	s_mov_b32 s22, exec_lo
	v_cmpx_lt_i16_e32 0x7f, v93
	s_xor_b32 s22, exec_lo, s22
	s_cbranch_execz .LBB4_4670
; %bb.3812:                             ;   in Loop: Header=BB4_3436 Depth=3
	s_mov_b32 s16, -1
	s_mov_b32 s23, exec_lo
	v_cmpx_eq_u16_e32 0x80, v93
; %bb.3813:                             ;   in Loop: Header=BB4_3436 Depth=3
	s_xor_b32 s16, exec_lo, -1
; %bb.3814:                             ;   in Loop: Header=BB4_3436 Depth=3
	s_or_b32 exec_lo, exec_lo, s23
	s_and_b32 s16, s16, exec_lo
                                        ; implicit-def: $vgpr93
	s_or_saveexec_b32 s22, s22
	v_mov_b32_e32 v94, 0x7f800001
	s_xor_b32 exec_lo, exec_lo, s22
	s_cbranch_execnz .LBB4_4671
.LBB4_3815:                             ;   in Loop: Header=BB4_3436 Depth=3
	s_or_b32 exec_lo, exec_lo, s22
	s_and_saveexec_b32 s22, s16
	s_cbranch_execz .LBB4_3817
.LBB4_3816:                             ;   in Loop: Header=BB4_3436 Depth=3
	v_bfe_u32 v93, v22, 16, 3
	v_bfe_u32 v104, v22, 19, 4
	v_lshlrev_b32_sdwa v105, v41, v22 dst_sel:DWORD dst_unused:UNUSED_PAD src0_sel:DWORD src1_sel:WORD_1
	v_ffbh_u32_e32 v94, v93
	v_cmp_eq_u32_e32 vcc_lo, 0, v104
	v_min_u32_e32 v94, 32, v94
	v_subrev_nc_u32_e32 v95, 28, v94
	v_sub_nc_u32_e32 v94, 29, v94
	v_lshlrev_b32_sdwa v95, v95, v22 dst_sel:DWORD dst_unused:UNUSED_PAD src0_sel:DWORD src1_sel:WORD_1
	v_cndmask_b32_e32 v94, v104, v94, vcc_lo
	v_and_b32_e32 v95, 7, v95
	v_lshl_add_u32 v94, v94, 23, 0x3b800000
	v_cndmask_b32_e32 v93, v93, v95, vcc_lo
	v_and_b32_e32 v95, 0x80000000, v105
	v_lshlrev_b32_e32 v93, 20, v93
	v_or3_b32 v94, v95, v94, v93
.LBB4_3817:                             ;   in Loop: Header=BB4_3436 Depth=3
	s_or_b32 exec_lo, exec_lo, s22
	v_and_b32_sdwa v95, v18, v40 dst_sel:DWORD dst_unused:UNUSED_PAD src0_sel:WORD_1 src1_sel:DWORD
	s_mov_b32 s16, 0
	s_mov_b32 s22, exec_lo
	v_cmpx_lt_i16_e32 0x7f, v95
	s_xor_b32 s22, exec_lo, s22
	s_cbranch_execz .LBB4_4672
; %bb.3818:                             ;   in Loop: Header=BB4_3436 Depth=3
	s_mov_b32 s16, -1
	s_mov_b32 s23, exec_lo
	v_cmpx_eq_u16_e32 0x80, v95
; %bb.3819:                             ;   in Loop: Header=BB4_3436 Depth=3
	s_xor_b32 s16, exec_lo, -1
; %bb.3820:                             ;   in Loop: Header=BB4_3436 Depth=3
	s_or_b32 exec_lo, exec_lo, s23
	s_and_b32 s16, s16, exec_lo
                                        ; implicit-def: $vgpr95
	s_or_saveexec_b32 s22, s22
	v_mov_b32_e32 v93, 0x7f800001
	s_xor_b32 exec_lo, exec_lo, s22
	s_cbranch_execnz .LBB4_4673
.LBB4_3821:                             ;   in Loop: Header=BB4_3436 Depth=3
	s_or_b32 exec_lo, exec_lo, s22
	s_and_saveexec_b32 s22, s16
	s_cbranch_execz .LBB4_3823
.LBB4_3822:                             ;   in Loop: Header=BB4_3436 Depth=3
	v_bfe_u32 v93, v18, 16, 3
	v_bfe_u32 v105, v18, 19, 4
	v_lshlrev_b32_sdwa v106, v41, v18 dst_sel:DWORD dst_unused:UNUSED_PAD src0_sel:DWORD src1_sel:WORD_1
	v_ffbh_u32_e32 v95, v93
	v_cmp_eq_u32_e32 vcc_lo, 0, v105
	v_min_u32_e32 v95, 32, v95
	v_subrev_nc_u32_e32 v104, 28, v95
	v_sub_nc_u32_e32 v95, 29, v95
	v_lshlrev_b32_sdwa v104, v104, v18 dst_sel:DWORD dst_unused:UNUSED_PAD src0_sel:DWORD src1_sel:WORD_1
	v_cndmask_b32_e32 v95, v105, v95, vcc_lo
	v_and_b32_e32 v104, 7, v104
	v_lshl_add_u32 v95, v95, 23, 0x3b800000
	v_cndmask_b32_e32 v93, v93, v104, vcc_lo
	v_and_b32_e32 v104, 0x80000000, v106
	v_lshlrev_b32_e32 v93, 20, v93
	v_or3_b32 v93, v104, v95, v93
.LBB4_3823:                             ;   in Loop: Header=BB4_3436 Depth=3
	s_or_b32 exec_lo, exec_lo, s22
	v_max_f32_e32 v93, v93, v93
	v_max_f32_e32 v94, v94, v94
	v_min_f32_e32 v94, v94, v93
.LBB4_3824:                             ;   in Loop: Header=BB4_3436 Depth=3
	v_and_b32_e32 v93, 0x7f800000, v94
	v_cmp_ne_u32_e32 vcc_lo, 0x7f800000, v93
	v_mov_b32_e32 v93, 0x80
	s_and_saveexec_b32 s22, vcc_lo
	s_cbranch_execz .LBB4_3832
; %bb.3825:                             ;   in Loop: Header=BB4_3436 Depth=3
	v_mov_b32_e32 v93, 0
	s_mov_b32 s23, exec_lo
	v_cmpx_ne_u32_e32 0, v94
	s_cbranch_execz .LBB4_3831
; %bb.3826:                             ;   in Loop: Header=BB4_3436 Depth=3
	v_bfe_u32 v93, v94, 23, 8
	v_and_b32_e32 v95, 0x7fffff, v94
	v_sub_nc_u32_e32 v104, 0x78, v93
	v_cmp_gt_u32_e32 vcc_lo, 0x79, v93
	v_or_b32_e32 v105, 0x800000, v95
	v_cndmask_b32_e32 v104, 0, v104, vcc_lo
	v_cmp_eq_u32_e32 vcc_lo, 0, v93
	v_add_nc_u32_e32 v93, 0xffffff89, v93
	v_cndmask_b32_e64 v104, v104, 0x77, vcc_lo
	v_cndmask_b32_e32 v95, v105, v95, vcc_lo
	v_cndmask_b32_e64 v93, v93, 0xffffff8a, vcc_lo
	v_lshl_add_u32 v105, 0x100000, v104, -1
	v_lshrrev_b32_e32 v106, v104, v95
	v_lshlrev_b32_e64 v108, v104, 0x80000
	v_add_nc_u32_e32 v104, v104, v93
	v_and_b32_e32 v95, v105, v95
	v_bfe_u32 v107, v106, 20, 1
	v_cmp_eq_u32_e64 s16, v95, v108
	v_add_nc_u32_e32 v105, -1, v107
	v_cndmask_b32_e64 v95, 0, v105, s16
	v_lshrrev_b32_e32 v105, 23, v106
	s_mov_b32 s16, exec_lo
	v_add_nc_u32_e32 v95, v95, v106
	v_xor_b32_e32 v105, 1, v105
	v_and_b32_e32 v93, 0xfffff, v95
	v_add_nc_u32_e32 v95, v93, v106
                                        ; implicit-def: $vgpr93
	v_cmpx_ne_u32_e64 v104, v105
	s_xor_b32 s16, exec_lo, s16
; %bb.3827:                             ;   in Loop: Header=BB4_3436 Depth=3
	v_cmp_lt_u32_e32 vcc_lo, 0xffffff, v95
	v_sub_nc_u32_e32 v93, v104, v105
	v_cndmask_b32_e64 v104, 0, 1, vcc_lo
	v_add_co_ci_u32_e64 v93, null, 0, v93, vcc_lo
	v_lshrrev_b32_e32 v95, v104, v95
; %bb.3828:                             ;   in Loop: Header=BB4_3436 Depth=3
	s_andn2_saveexec_b32 s16, s16
; %bb.3829:                             ;   in Loop: Header=BB4_3436 Depth=3
	v_bfe_u32 v93, v95, 23, 1
; %bb.3830:                             ;   in Loop: Header=BB4_3436 Depth=3
	s_or_b32 exec_lo, exec_lo, s16
	v_lshrrev_b32_e32 v95, 20, v95
	v_min_i32_e32 v104, 15, v93
	v_cmp_gt_i32_e32 vcc_lo, 16, v93
	v_and_b32_sdwa v94, v94, v118 dst_sel:DWORD dst_unused:UNUSED_PAD src0_sel:BYTE_3 src1_sel:DWORD
	v_lshlrev_b32_e32 v104, 3, v104
	v_cndmask_b32_e32 v95, 7, v95, vcc_lo
	v_and_b32_e32 v104, 0xf8, v104
	v_and_b32_e32 v105, 7, v95
	v_or_b32_e32 v93, v93, v95
	v_or3_b32 v94, v104, v94, v105
	v_cmp_ne_u32_e32 vcc_lo, 0, v93
	v_cndmask_b32_e32 v93, 0, v94, vcc_lo
.LBB4_3831:                             ;   in Loop: Header=BB4_3436 Depth=3
	s_or_b32 exec_lo, exec_lo, s23
.LBB4_3832:                             ;   in Loop: Header=BB4_3436 Depth=3
	s_or_b32 exec_lo, exec_lo, s22
	v_cmp_gt_i16_sdwa s22, v22, v117 src0_sel:BYTE_3 src1_sel:DWORD
	s_and_b32 vcc_lo, exec_lo, s19
	s_mov_b32 s16, -1
                                        ; implicit-def: $vgpr94
	s_cbranch_vccz .LBB4_3846
; %bb.3833:                             ;   in Loop: Header=BB4_3436 Depth=3
	s_mov_b32 s16, 0
	s_and_saveexec_b32 s23, s22
	s_xor_b32 s22, exec_lo, s23
	s_cbranch_execz .LBB4_4674
; %bb.3834:                             ;   in Loop: Header=BB4_3436 Depth=3
	v_cmp_eq_u16_sdwa s73, v22, v118 src0_sel:BYTE_3 src1_sel:DWORD
	s_mov_b32 s16, -1
	s_and_saveexec_b32 s23, s73
; %bb.3835:                             ;   in Loop: Header=BB4_3436 Depth=3
	s_xor_b32 s16, exec_lo, -1
; %bb.3836:                             ;   in Loop: Header=BB4_3436 Depth=3
	s_or_b32 exec_lo, exec_lo, s23
	s_and_b32 s16, s16, exec_lo
	s_or_saveexec_b32 s22, s22
	v_mov_b32_e32 v94, 0x7f800001
	s_xor_b32 exec_lo, exec_lo, s22
	s_cbranch_execnz .LBB4_4675
.LBB4_3837:                             ;   in Loop: Header=BB4_3436 Depth=3
	s_or_b32 exec_lo, exec_lo, s22
	s_and_saveexec_b32 s22, s16
	s_cbranch_execz .LBB4_3839
.LBB4_3838:                             ;   in Loop: Header=BB4_3436 Depth=3
	v_bfe_u32 v94, v22, 24, 3
	v_bfe_u32 v105, v22, 27, 4
	v_ffbh_u32_e32 v95, v94
	v_cmp_eq_u32_e32 vcc_lo, 0, v105
	v_min_u32_e32 v95, 32, v95
	v_subrev_nc_u32_e32 v104, 28, v95
	v_sub_nc_u32_e32 v95, 29, v95
	v_lshlrev_b32_sdwa v104, v104, v22 dst_sel:DWORD dst_unused:UNUSED_PAD src0_sel:DWORD src1_sel:BYTE_3
	v_cndmask_b32_e32 v95, v105, v95, vcc_lo
	v_and_b32_e32 v104, 7, v104
	v_lshl_add_u32 v95, v95, 23, 0x3b800000
	v_cndmask_b32_e32 v94, v94, v104, vcc_lo
	v_and_b32_e32 v104, 0x80000000, v22
	v_lshlrev_b32_e32 v94, 20, v94
	v_or3_b32 v94, v104, v95, v94
.LBB4_3839:                             ;   in Loop: Header=BB4_3436 Depth=3
	s_or_b32 exec_lo, exec_lo, s22
	v_cmp_gt_i16_sdwa s22, v18, v117 src0_sel:BYTE_3 src1_sel:DWORD
	s_mov_b32 s16, 0
	s_and_saveexec_b32 s23, s22
	s_xor_b32 s22, exec_lo, s23
	s_cbranch_execz .LBB4_4676
; %bb.3840:                             ;   in Loop: Header=BB4_3436 Depth=3
	v_cmp_eq_u16_sdwa s73, v18, v118 src0_sel:BYTE_3 src1_sel:DWORD
	s_mov_b32 s16, -1
	s_and_saveexec_b32 s23, s73
; %bb.3841:                             ;   in Loop: Header=BB4_3436 Depth=3
	s_xor_b32 s16, exec_lo, -1
; %bb.3842:                             ;   in Loop: Header=BB4_3436 Depth=3
	s_or_b32 exec_lo, exec_lo, s23
	s_and_b32 s16, s16, exec_lo
	s_or_saveexec_b32 s22, s22
	v_mov_b32_e32 v95, 0x7f800001
	s_xor_b32 exec_lo, exec_lo, s22
	s_cbranch_execnz .LBB4_4677
.LBB4_3843:                             ;   in Loop: Header=BB4_3436 Depth=3
	s_or_b32 exec_lo, exec_lo, s22
	s_and_saveexec_b32 s22, s16
	s_cbranch_execz .LBB4_3845
.LBB4_3844:                             ;   in Loop: Header=BB4_3436 Depth=3
	v_bfe_u32 v95, v18, 24, 3
	v_bfe_u32 v106, v18, 27, 4
	v_ffbh_u32_e32 v104, v95
	v_cmp_eq_u32_e32 vcc_lo, 0, v106
	v_min_u32_e32 v104, 32, v104
	v_subrev_nc_u32_e32 v105, 28, v104
	v_sub_nc_u32_e32 v104, 29, v104
	v_lshlrev_b32_sdwa v105, v105, v18 dst_sel:DWORD dst_unused:UNUSED_PAD src0_sel:DWORD src1_sel:BYTE_3
	v_cndmask_b32_e32 v104, v106, v104, vcc_lo
	v_and_b32_e32 v105, 7, v105
	v_lshl_add_u32 v104, v104, 23, 0x3b800000
	v_cndmask_b32_e32 v95, v95, v105, vcc_lo
	v_and_b32_e32 v105, 0x80000000, v18
	v_lshlrev_b32_e32 v95, 20, v95
	v_or3_b32 v95, v105, v104, v95
.LBB4_3845:                             ;   in Loop: Header=BB4_3436 Depth=3
	s_or_b32 exec_lo, exec_lo, s22
	v_max_f32_e32 v95, v95, v95
	v_max_f32_e32 v94, v94, v94
	s_mov_b32 s16, 0
	v_max_f32_e32 v94, v94, v95
.LBB4_3846:                             ;   in Loop: Header=BB4_3436 Depth=3
	s_and_b32 vcc_lo, exec_lo, s16
	s_cbranch_vccz .LBB4_3860
; %bb.3847:                             ;   in Loop: Header=BB4_3436 Depth=3
	v_cmp_gt_i16_sdwa s22, v22, v117 src0_sel:BYTE_3 src1_sel:DWORD
	s_mov_b32 s16, 0
	s_and_saveexec_b32 s23, s22
	s_xor_b32 s22, exec_lo, s23
	s_cbranch_execz .LBB4_4678
; %bb.3848:                             ;   in Loop: Header=BB4_3436 Depth=3
	v_cmp_eq_u16_sdwa s73, v22, v118 src0_sel:BYTE_3 src1_sel:DWORD
	s_mov_b32 s16, -1
	s_and_saveexec_b32 s23, s73
; %bb.3849:                             ;   in Loop: Header=BB4_3436 Depth=3
	s_xor_b32 s16, exec_lo, -1
; %bb.3850:                             ;   in Loop: Header=BB4_3436 Depth=3
	s_or_b32 exec_lo, exec_lo, s23
	s_and_b32 s16, s16, exec_lo
	s_or_saveexec_b32 s22, s22
	v_mov_b32_e32 v94, 0x7f800001
	s_xor_b32 exec_lo, exec_lo, s22
	s_cbranch_execnz .LBB4_4679
.LBB4_3851:                             ;   in Loop: Header=BB4_3436 Depth=3
	s_or_b32 exec_lo, exec_lo, s22
	s_and_saveexec_b32 s22, s16
	s_cbranch_execz .LBB4_3853
.LBB4_3852:                             ;   in Loop: Header=BB4_3436 Depth=3
	v_bfe_u32 v94, v22, 24, 3
	v_bfe_u32 v105, v22, 27, 4
	v_ffbh_u32_e32 v95, v94
	v_cmp_eq_u32_e32 vcc_lo, 0, v105
	v_min_u32_e32 v95, 32, v95
	v_subrev_nc_u32_e32 v104, 28, v95
	v_sub_nc_u32_e32 v95, 29, v95
	v_lshlrev_b32_sdwa v104, v104, v22 dst_sel:DWORD dst_unused:UNUSED_PAD src0_sel:DWORD src1_sel:BYTE_3
	v_cndmask_b32_e32 v95, v105, v95, vcc_lo
	v_and_b32_e32 v22, 0x80000000, v22
	v_and_b32_e32 v104, 7, v104
	v_lshl_add_u32 v95, v95, 23, 0x3b800000
	v_cndmask_b32_e32 v94, v94, v104, vcc_lo
	v_lshlrev_b32_e32 v94, 20, v94
	v_or3_b32 v94, v22, v95, v94
.LBB4_3853:                             ;   in Loop: Header=BB4_3436 Depth=3
	s_or_b32 exec_lo, exec_lo, s22
	v_cmp_gt_i16_sdwa s22, v18, v117 src0_sel:BYTE_3 src1_sel:DWORD
	s_mov_b32 s16, 0
	s_and_saveexec_b32 s23, s22
	s_xor_b32 s22, exec_lo, s23
	s_cbranch_execz .LBB4_4680
; %bb.3854:                             ;   in Loop: Header=BB4_3436 Depth=3
	v_cmp_eq_u16_sdwa s73, v18, v118 src0_sel:BYTE_3 src1_sel:DWORD
	s_mov_b32 s16, -1
	s_and_saveexec_b32 s23, s73
; %bb.3855:                             ;   in Loop: Header=BB4_3436 Depth=3
	s_xor_b32 s16, exec_lo, -1
; %bb.3856:                             ;   in Loop: Header=BB4_3436 Depth=3
	s_or_b32 exec_lo, exec_lo, s23
	s_and_b32 s16, s16, exec_lo
	s_or_saveexec_b32 s22, s22
	v_mov_b32_e32 v22, 0x7f800001
	s_xor_b32 exec_lo, exec_lo, s22
	s_cbranch_execnz .LBB4_4681
.LBB4_3857:                             ;   in Loop: Header=BB4_3436 Depth=3
	s_or_b32 exec_lo, exec_lo, s22
	s_and_saveexec_b32 s22, s16
	s_cbranch_execz .LBB4_3859
.LBB4_3858:                             ;   in Loop: Header=BB4_3436 Depth=3
	v_bfe_u32 v22, v18, 24, 3
	v_bfe_u32 v105, v18, 27, 4
	v_ffbh_u32_e32 v95, v22
	v_cmp_eq_u32_e32 vcc_lo, 0, v105
	v_min_u32_e32 v95, 32, v95
	v_subrev_nc_u32_e32 v104, 28, v95
	v_sub_nc_u32_e32 v95, 29, v95
	v_lshlrev_b32_sdwa v104, v104, v18 dst_sel:DWORD dst_unused:UNUSED_PAD src0_sel:DWORD src1_sel:BYTE_3
	v_cndmask_b32_e32 v95, v105, v95, vcc_lo
	v_and_b32_e32 v18, 0x80000000, v18
	v_and_b32_e32 v104, 7, v104
	v_lshl_add_u32 v95, v95, 23, 0x3b800000
	v_cndmask_b32_e32 v22, v22, v104, vcc_lo
	v_lshlrev_b32_e32 v22, 20, v22
	v_or3_b32 v22, v18, v95, v22
.LBB4_3859:                             ;   in Loop: Header=BB4_3436 Depth=3
	s_or_b32 exec_lo, exec_lo, s22
	v_max_f32_e32 v18, v22, v22
	v_max_f32_e32 v22, v94, v94
	v_min_f32_e32 v94, v22, v18
.LBB4_3860:                             ;   in Loop: Header=BB4_3436 Depth=3
	v_and_b32_e32 v18, 0x7f800000, v94
	v_cmp_ne_u32_e32 vcc_lo, 0x7f800000, v18
	v_mov_b32_e32 v18, 0x8000
	s_and_saveexec_b32 s22, vcc_lo
	s_cbranch_execz .LBB4_3868
; %bb.3861:                             ;   in Loop: Header=BB4_3436 Depth=3
	v_mov_b32_e32 v18, 0
	s_mov_b32 s23, exec_lo
	v_cmpx_ne_u32_e32 0, v94
	s_cbranch_execz .LBB4_3867
; %bb.3862:                             ;   in Loop: Header=BB4_3436 Depth=3
	v_bfe_u32 v18, v94, 23, 8
	v_and_b32_e32 v22, 0x7fffff, v94
	v_sub_nc_u32_e32 v95, 0x78, v18
	v_cmp_gt_u32_e32 vcc_lo, 0x79, v18
	v_or_b32_e32 v104, 0x800000, v22
	v_cndmask_b32_e32 v95, 0, v95, vcc_lo
	v_cmp_eq_u32_e32 vcc_lo, 0, v18
	v_add_nc_u32_e32 v18, 0xffffff89, v18
	v_cndmask_b32_e64 v95, v95, 0x77, vcc_lo
	v_cndmask_b32_e32 v22, v104, v22, vcc_lo
	v_cndmask_b32_e64 v18, v18, 0xffffff8a, vcc_lo
	v_lshl_add_u32 v104, 0x100000, v95, -1
	v_lshrrev_b32_e32 v105, v95, v22
	v_lshlrev_b32_e64 v107, v95, 0x80000
	v_add_nc_u32_e32 v95, v95, v18
	v_and_b32_e32 v22, v104, v22
	v_bfe_u32 v106, v105, 20, 1
	v_cmp_eq_u32_e64 s16, v22, v107
	v_add_nc_u32_e32 v104, -1, v106
	v_cndmask_b32_e64 v22, 0, v104, s16
	v_lshrrev_b32_e32 v104, 23, v105
	s_mov_b32 s16, exec_lo
	v_add_nc_u32_e32 v22, v22, v105
	v_xor_b32_e32 v104, 1, v104
	v_and_b32_e32 v18, 0xfffff, v22
	v_add_nc_u32_e32 v22, v18, v105
                                        ; implicit-def: $vgpr18
	v_cmpx_ne_u32_e64 v95, v104
	s_xor_b32 s16, exec_lo, s16
; %bb.3863:                             ;   in Loop: Header=BB4_3436 Depth=3
	v_cmp_lt_u32_e32 vcc_lo, 0xffffff, v22
	v_sub_nc_u32_e32 v18, v95, v104
	v_cndmask_b32_e64 v95, 0, 1, vcc_lo
	v_add_co_ci_u32_e64 v18, null, 0, v18, vcc_lo
	v_lshrrev_b32_e32 v22, v95, v22
; %bb.3864:                             ;   in Loop: Header=BB4_3436 Depth=3
	s_andn2_saveexec_b32 s16, s16
; %bb.3865:                             ;   in Loop: Header=BB4_3436 Depth=3
	v_bfe_u32 v18, v22, 23, 1
; %bb.3866:                             ;   in Loop: Header=BB4_3436 Depth=3
	s_or_b32 exec_lo, exec_lo, s16
	v_lshrrev_b32_e32 v22, 20, v22
	v_min_i32_e32 v95, 15, v18
	v_cmp_gt_i32_e32 vcc_lo, 16, v18
	v_and_b32_sdwa v94, v94, v118 dst_sel:DWORD dst_unused:UNUSED_PAD src0_sel:BYTE_3 src1_sel:DWORD
	v_lshlrev_b32_e32 v95, 3, v95
	v_cndmask_b32_e32 v22, 7, v22, vcc_lo
	v_and_b32_e32 v95, 0xf8, v95
	v_and_b32_e32 v104, 7, v22
	v_or_b32_e32 v18, v18, v22
	v_or3_b32 v94, v94, v95, v104
	v_cmp_ne_u32_e32 vcc_lo, 0, v18
	v_lshlrev_b32_e32 v22, 8, v94
	v_cndmask_b32_e32 v18, 0, v22, vcc_lo
.LBB4_3867:                             ;   in Loop: Header=BB4_3436 Depth=3
	s_or_b32 exec_lo, exec_lo, s23
.LBB4_3868:                             ;   in Loop: Header=BB4_3436 Depth=3
	s_or_b32 exec_lo, exec_lo, s22
	v_cmp_gt_i16_sdwa s22, v23, v117 src0_sel:BYTE_0 src1_sel:DWORD
	s_and_b32 vcc_lo, exec_lo, s19
	s_mov_b32 s16, -1
                                        ; implicit-def: $vgpr94
	s_cbranch_vccz .LBB4_3882
; %bb.3869:                             ;   in Loop: Header=BB4_3436 Depth=3
	s_mov_b32 s16, 0
	s_and_saveexec_b32 s23, s22
	s_xor_b32 s22, exec_lo, s23
	s_cbranch_execz .LBB4_4682
; %bb.3870:                             ;   in Loop: Header=BB4_3436 Depth=3
	v_cmp_eq_u16_sdwa s73, v23, v118 src0_sel:BYTE_0 src1_sel:DWORD
	s_mov_b32 s16, -1
	s_and_saveexec_b32 s23, s73
; %bb.3871:                             ;   in Loop: Header=BB4_3436 Depth=3
	s_xor_b32 s16, exec_lo, -1
; %bb.3872:                             ;   in Loop: Header=BB4_3436 Depth=3
	s_or_b32 exec_lo, exec_lo, s23
	s_and_b32 s16, s16, exec_lo
	s_or_saveexec_b32 s22, s22
	v_mov_b32_e32 v22, 0x7f800001
	s_xor_b32 exec_lo, exec_lo, s22
	s_cbranch_execnz .LBB4_4683
.LBB4_3873:                             ;   in Loop: Header=BB4_3436 Depth=3
	s_or_b32 exec_lo, exec_lo, s22
	s_and_saveexec_b32 s22, s16
	s_cbranch_execz .LBB4_3875
.LBB4_3874:                             ;   in Loop: Header=BB4_3436 Depth=3
	v_and_b32_e32 v22, 7, v23
	v_bfe_u32 v104, v23, 3, 4
	v_lshlrev_b32_e32 v105, 24, v23
	v_ffbh_u32_e32 v94, v22
	v_cmp_eq_u32_e32 vcc_lo, 0, v104
	v_min_u32_e32 v94, 32, v94
	v_subrev_nc_u32_e32 v95, 28, v94
	v_sub_nc_u32_e32 v94, 29, v94
	v_lshlrev_b32_e32 v95, v95, v23
	v_cndmask_b32_e32 v94, v104, v94, vcc_lo
	v_and_b32_e32 v95, 7, v95
	v_lshl_add_u32 v94, v94, 23, 0x3b800000
	v_cndmask_b32_e32 v22, v22, v95, vcc_lo
	v_and_b32_e32 v95, 0x80000000, v105
	v_lshlrev_b32_e32 v22, 20, v22
	v_or3_b32 v22, v95, v94, v22
.LBB4_3875:                             ;   in Loop: Header=BB4_3436 Depth=3
	s_or_b32 exec_lo, exec_lo, s22
	v_cmp_gt_i16_sdwa s22, v19, v117 src0_sel:BYTE_0 src1_sel:DWORD
	s_mov_b32 s16, 0
	s_and_saveexec_b32 s23, s22
	s_xor_b32 s22, exec_lo, s23
	s_cbranch_execz .LBB4_4684
; %bb.3876:                             ;   in Loop: Header=BB4_3436 Depth=3
	v_cmp_eq_u16_sdwa s73, v19, v118 src0_sel:BYTE_0 src1_sel:DWORD
	s_mov_b32 s16, -1
	s_and_saveexec_b32 s23, s73
; %bb.3877:                             ;   in Loop: Header=BB4_3436 Depth=3
	s_xor_b32 s16, exec_lo, -1
; %bb.3878:                             ;   in Loop: Header=BB4_3436 Depth=3
	s_or_b32 exec_lo, exec_lo, s23
	s_and_b32 s16, s16, exec_lo
	s_or_saveexec_b32 s22, s22
	v_mov_b32_e32 v94, 0x7f800001
	s_xor_b32 exec_lo, exec_lo, s22
	s_cbranch_execnz .LBB4_4685
.LBB4_3879:                             ;   in Loop: Header=BB4_3436 Depth=3
	s_or_b32 exec_lo, exec_lo, s22
	s_and_saveexec_b32 s22, s16
	s_cbranch_execz .LBB4_3881
.LBB4_3880:                             ;   in Loop: Header=BB4_3436 Depth=3
	v_and_b32_e32 v94, 7, v19
	v_bfe_u32 v105, v19, 3, 4
	v_lshlrev_b32_e32 v106, 24, v19
	v_ffbh_u32_e32 v95, v94
	v_cmp_eq_u32_e32 vcc_lo, 0, v105
	v_min_u32_e32 v95, 32, v95
	v_subrev_nc_u32_e32 v104, 28, v95
	v_sub_nc_u32_e32 v95, 29, v95
	v_lshlrev_b32_e32 v104, v104, v19
	v_cndmask_b32_e32 v95, v105, v95, vcc_lo
	v_and_b32_e32 v104, 7, v104
	v_lshl_add_u32 v95, v95, 23, 0x3b800000
	v_cndmask_b32_e32 v94, v94, v104, vcc_lo
	v_and_b32_e32 v104, 0x80000000, v106
	v_lshlrev_b32_e32 v94, 20, v94
	v_or3_b32 v94, v104, v95, v94
.LBB4_3881:                             ;   in Loop: Header=BB4_3436 Depth=3
	s_or_b32 exec_lo, exec_lo, s22
	v_max_f32_e32 v94, v94, v94
	v_max_f32_e32 v22, v22, v22
	s_mov_b32 s16, 0
	v_max_f32_e32 v94, v22, v94
.LBB4_3882:                             ;   in Loop: Header=BB4_3436 Depth=3
	s_and_b32 vcc_lo, exec_lo, s16
	s_cbranch_vccz .LBB4_3896
; %bb.3883:                             ;   in Loop: Header=BB4_3436 Depth=3
	v_cmp_gt_i16_sdwa s22, v23, v117 src0_sel:BYTE_0 src1_sel:DWORD
	s_mov_b32 s16, 0
	s_and_saveexec_b32 s23, s22
	s_xor_b32 s22, exec_lo, s23
	s_cbranch_execz .LBB4_4686
; %bb.3884:                             ;   in Loop: Header=BB4_3436 Depth=3
	v_cmp_eq_u16_sdwa s73, v23, v118 src0_sel:BYTE_0 src1_sel:DWORD
	s_mov_b32 s16, -1
	s_and_saveexec_b32 s23, s73
; %bb.3885:                             ;   in Loop: Header=BB4_3436 Depth=3
	s_xor_b32 s16, exec_lo, -1
; %bb.3886:                             ;   in Loop: Header=BB4_3436 Depth=3
	s_or_b32 exec_lo, exec_lo, s23
	s_and_b32 s16, s16, exec_lo
	s_or_saveexec_b32 s22, s22
	v_mov_b32_e32 v22, 0x7f800001
	s_xor_b32 exec_lo, exec_lo, s22
	s_cbranch_execnz .LBB4_4687
.LBB4_3887:                             ;   in Loop: Header=BB4_3436 Depth=3
	s_or_b32 exec_lo, exec_lo, s22
	s_and_saveexec_b32 s22, s16
	s_cbranch_execz .LBB4_3889
.LBB4_3888:                             ;   in Loop: Header=BB4_3436 Depth=3
	v_and_b32_e32 v22, 7, v23
	v_bfe_u32 v104, v23, 3, 4
	v_lshlrev_b32_e32 v105, 24, v23
	v_ffbh_u32_e32 v94, v22
	v_cmp_eq_u32_e32 vcc_lo, 0, v104
	v_min_u32_e32 v94, 32, v94
	v_subrev_nc_u32_e32 v95, 28, v94
	v_sub_nc_u32_e32 v94, 29, v94
	v_lshlrev_b32_e32 v95, v95, v23
	v_cndmask_b32_e32 v94, v104, v94, vcc_lo
	v_and_b32_e32 v95, 7, v95
	v_lshl_add_u32 v94, v94, 23, 0x3b800000
	v_cndmask_b32_e32 v22, v22, v95, vcc_lo
	v_and_b32_e32 v95, 0x80000000, v105
	v_lshlrev_b32_e32 v22, 20, v22
	v_or3_b32 v22, v95, v94, v22
.LBB4_3889:                             ;   in Loop: Header=BB4_3436 Depth=3
	s_or_b32 exec_lo, exec_lo, s22
	v_cmp_gt_i16_sdwa s22, v19, v117 src0_sel:BYTE_0 src1_sel:DWORD
	s_mov_b32 s16, 0
	s_and_saveexec_b32 s23, s22
	s_xor_b32 s22, exec_lo, s23
	s_cbranch_execz .LBB4_4688
; %bb.3890:                             ;   in Loop: Header=BB4_3436 Depth=3
	v_cmp_eq_u16_sdwa s73, v19, v118 src0_sel:BYTE_0 src1_sel:DWORD
	s_mov_b32 s16, -1
	s_and_saveexec_b32 s23, s73
; %bb.3891:                             ;   in Loop: Header=BB4_3436 Depth=3
	s_xor_b32 s16, exec_lo, -1
; %bb.3892:                             ;   in Loop: Header=BB4_3436 Depth=3
	s_or_b32 exec_lo, exec_lo, s23
	s_and_b32 s16, s16, exec_lo
	s_or_saveexec_b32 s22, s22
	v_mov_b32_e32 v94, 0x7f800001
	s_xor_b32 exec_lo, exec_lo, s22
	s_cbranch_execnz .LBB4_4689
.LBB4_3893:                             ;   in Loop: Header=BB4_3436 Depth=3
	s_or_b32 exec_lo, exec_lo, s22
	s_and_saveexec_b32 s22, s16
	s_cbranch_execz .LBB4_3895
.LBB4_3894:                             ;   in Loop: Header=BB4_3436 Depth=3
	v_and_b32_e32 v94, 7, v19
	v_bfe_u32 v105, v19, 3, 4
	v_lshlrev_b32_e32 v106, 24, v19
	v_ffbh_u32_e32 v95, v94
	v_cmp_eq_u32_e32 vcc_lo, 0, v105
	v_min_u32_e32 v95, 32, v95
	v_subrev_nc_u32_e32 v104, 28, v95
	v_sub_nc_u32_e32 v95, 29, v95
	v_lshlrev_b32_e32 v104, v104, v19
	v_cndmask_b32_e32 v95, v105, v95, vcc_lo
	v_and_b32_e32 v104, 7, v104
	v_lshl_add_u32 v95, v95, 23, 0x3b800000
	v_cndmask_b32_e32 v94, v94, v104, vcc_lo
	v_and_b32_e32 v104, 0x80000000, v106
	v_lshlrev_b32_e32 v94, 20, v94
	v_or3_b32 v94, v104, v95, v94
.LBB4_3895:                             ;   in Loop: Header=BB4_3436 Depth=3
	s_or_b32 exec_lo, exec_lo, s22
	v_max_f32_e32 v94, v94, v94
	v_max_f32_e32 v22, v22, v22
	v_min_f32_e32 v94, v22, v94
.LBB4_3896:                             ;   in Loop: Header=BB4_3436 Depth=3
	v_and_b32_e32 v22, 0x7f800000, v94
	v_cmp_ne_u32_e32 vcc_lo, 0x7f800000, v22
	v_mov_b32_e32 v22, 0x80
	s_and_saveexec_b32 s22, vcc_lo
	s_cbranch_execz .LBB4_3904
; %bb.3897:                             ;   in Loop: Header=BB4_3436 Depth=3
	v_mov_b32_e32 v22, 0
	s_mov_b32 s23, exec_lo
	v_cmpx_ne_u32_e32 0, v94
	s_cbranch_execz .LBB4_3903
; %bb.3898:                             ;   in Loop: Header=BB4_3436 Depth=3
	v_bfe_u32 v22, v94, 23, 8
	v_and_b32_e32 v95, 0x7fffff, v94
	v_sub_nc_u32_e32 v104, 0x78, v22
	v_cmp_gt_u32_e32 vcc_lo, 0x79, v22
	v_or_b32_e32 v105, 0x800000, v95
	v_cndmask_b32_e32 v104, 0, v104, vcc_lo
	v_cmp_eq_u32_e32 vcc_lo, 0, v22
	v_add_nc_u32_e32 v22, 0xffffff89, v22
	v_cndmask_b32_e64 v104, v104, 0x77, vcc_lo
	v_cndmask_b32_e32 v95, v105, v95, vcc_lo
	v_cndmask_b32_e64 v22, v22, 0xffffff8a, vcc_lo
	v_lshl_add_u32 v105, 0x100000, v104, -1
	v_lshrrev_b32_e32 v106, v104, v95
	v_lshlrev_b32_e64 v108, v104, 0x80000
	v_add_nc_u32_e32 v104, v104, v22
	v_and_b32_e32 v95, v105, v95
	v_bfe_u32 v107, v106, 20, 1
	v_cmp_eq_u32_e64 s16, v95, v108
	v_add_nc_u32_e32 v105, -1, v107
	v_cndmask_b32_e64 v95, 0, v105, s16
	v_lshrrev_b32_e32 v105, 23, v106
	s_mov_b32 s16, exec_lo
	v_add_nc_u32_e32 v95, v95, v106
	v_xor_b32_e32 v105, 1, v105
	v_and_b32_e32 v22, 0xfffff, v95
	v_add_nc_u32_e32 v95, v22, v106
                                        ; implicit-def: $vgpr22
	v_cmpx_ne_u32_e64 v104, v105
	s_xor_b32 s16, exec_lo, s16
; %bb.3899:                             ;   in Loop: Header=BB4_3436 Depth=3
	v_cmp_lt_u32_e32 vcc_lo, 0xffffff, v95
	v_sub_nc_u32_e32 v22, v104, v105
	v_cndmask_b32_e64 v104, 0, 1, vcc_lo
	v_add_co_ci_u32_e64 v22, null, 0, v22, vcc_lo
	v_lshrrev_b32_e32 v95, v104, v95
; %bb.3900:                             ;   in Loop: Header=BB4_3436 Depth=3
	s_andn2_saveexec_b32 s16, s16
; %bb.3901:                             ;   in Loop: Header=BB4_3436 Depth=3
	v_bfe_u32 v22, v95, 23, 1
; %bb.3902:                             ;   in Loop: Header=BB4_3436 Depth=3
	s_or_b32 exec_lo, exec_lo, s16
	v_lshrrev_b32_e32 v95, 20, v95
	v_min_i32_e32 v104, 15, v22
	v_cmp_gt_i32_e32 vcc_lo, 16, v22
	v_and_b32_sdwa v94, v94, v118 dst_sel:DWORD dst_unused:UNUSED_PAD src0_sel:BYTE_3 src1_sel:DWORD
	v_lshlrev_b32_e32 v104, 3, v104
	v_cndmask_b32_e32 v95, 7, v95, vcc_lo
	v_and_b32_e32 v104, 0xf8, v104
	v_and_b32_e32 v105, 7, v95
	v_or_b32_e32 v22, v22, v95
	v_or3_b32 v94, v104, v94, v105
	v_cmp_ne_u32_e32 vcc_lo, 0, v22
	v_cndmask_b32_e32 v22, 0, v94, vcc_lo
.LBB4_3903:                             ;   in Loop: Header=BB4_3436 Depth=3
	s_or_b32 exec_lo, exec_lo, s23
.LBB4_3904:                             ;   in Loop: Header=BB4_3436 Depth=3
	s_or_b32 exec_lo, exec_lo, s22
	v_cmp_gt_i16_sdwa s22, v23, v117 src0_sel:BYTE_1 src1_sel:DWORD
	s_and_b32 vcc_lo, exec_lo, s19
	s_mov_b32 s16, -1
                                        ; implicit-def: $vgpr95
	s_cbranch_vccz .LBB4_3918
; %bb.3905:                             ;   in Loop: Header=BB4_3436 Depth=3
	s_mov_b32 s16, 0
	s_and_saveexec_b32 s23, s22
	s_xor_b32 s22, exec_lo, s23
	s_cbranch_execz .LBB4_4690
; %bb.3906:                             ;   in Loop: Header=BB4_3436 Depth=3
	v_cmp_eq_u16_sdwa s73, v23, v118 src0_sel:BYTE_1 src1_sel:DWORD
	s_mov_b32 s16, -1
	s_and_saveexec_b32 s23, s73
; %bb.3907:                             ;   in Loop: Header=BB4_3436 Depth=3
	s_xor_b32 s16, exec_lo, -1
; %bb.3908:                             ;   in Loop: Header=BB4_3436 Depth=3
	s_or_b32 exec_lo, exec_lo, s23
	s_and_b32 s16, s16, exec_lo
	s_or_saveexec_b32 s22, s22
	v_mov_b32_e32 v94, 0x7f800001
	s_xor_b32 exec_lo, exec_lo, s22
	s_cbranch_execnz .LBB4_4691
.LBB4_3909:                             ;   in Loop: Header=BB4_3436 Depth=3
	s_or_b32 exec_lo, exec_lo, s22
	s_and_saveexec_b32 s22, s16
	s_cbranch_execz .LBB4_3911
.LBB4_3910:                             ;   in Loop: Header=BB4_3436 Depth=3
	v_and_b32_sdwa v94, v119, v23 dst_sel:DWORD dst_unused:UNUSED_PAD src0_sel:DWORD src1_sel:BYTE_1
	v_and_b32_e32 v95, 7, v94
	v_bfe_u32 v106, v94, 3, 4
	v_ffbh_u32_e32 v104, v95
	v_cmp_eq_u32_e32 vcc_lo, 0, v106
	v_min_u32_e32 v104, 32, v104
	v_subrev_nc_u32_e32 v105, 28, v104
	v_sub_nc_u32_e32 v104, 29, v104
	v_lshlrev_b32_e32 v94, v105, v94
	v_lshlrev_b32_e32 v105, 16, v23
	v_cndmask_b32_e32 v104, v106, v104, vcc_lo
	v_and_b32_e32 v94, 7, v94
	v_lshl_add_u32 v104, v104, 23, 0x3b800000
	v_cndmask_b32_e32 v94, v95, v94, vcc_lo
	v_and_b32_e32 v95, 0x80000000, v105
	v_lshlrev_b32_e32 v94, 20, v94
	v_or3_b32 v94, v95, v104, v94
.LBB4_3911:                             ;   in Loop: Header=BB4_3436 Depth=3
	s_or_b32 exec_lo, exec_lo, s22
	v_cmp_gt_i16_sdwa s22, v19, v117 src0_sel:BYTE_1 src1_sel:DWORD
	s_mov_b32 s16, 0
	s_and_saveexec_b32 s23, s22
	s_xor_b32 s22, exec_lo, s23
	s_cbranch_execz .LBB4_4692
; %bb.3912:                             ;   in Loop: Header=BB4_3436 Depth=3
	v_cmp_eq_u16_sdwa s73, v19, v118 src0_sel:BYTE_1 src1_sel:DWORD
	s_mov_b32 s16, -1
	s_and_saveexec_b32 s23, s73
; %bb.3913:                             ;   in Loop: Header=BB4_3436 Depth=3
	s_xor_b32 s16, exec_lo, -1
; %bb.3914:                             ;   in Loop: Header=BB4_3436 Depth=3
	s_or_b32 exec_lo, exec_lo, s23
	s_and_b32 s16, s16, exec_lo
	s_or_saveexec_b32 s22, s22
	v_mov_b32_e32 v95, 0x7f800001
	s_xor_b32 exec_lo, exec_lo, s22
	s_cbranch_execnz .LBB4_4693
.LBB4_3915:                             ;   in Loop: Header=BB4_3436 Depth=3
	s_or_b32 exec_lo, exec_lo, s22
	s_and_saveexec_b32 s22, s16
	s_cbranch_execz .LBB4_3917
.LBB4_3916:                             ;   in Loop: Header=BB4_3436 Depth=3
	v_and_b32_sdwa v95, v119, v19 dst_sel:DWORD dst_unused:UNUSED_PAD src0_sel:DWORD src1_sel:BYTE_1
	v_and_b32_e32 v104, 7, v95
	v_bfe_u32 v107, v95, 3, 4
	v_ffbh_u32_e32 v105, v104
	v_cmp_eq_u32_e32 vcc_lo, 0, v107
	v_min_u32_e32 v105, 32, v105
	v_subrev_nc_u32_e32 v106, 28, v105
	v_sub_nc_u32_e32 v105, 29, v105
	v_lshlrev_b32_e32 v95, v106, v95
	v_lshlrev_b32_e32 v106, 16, v19
	v_cndmask_b32_e32 v105, v107, v105, vcc_lo
	v_and_b32_e32 v95, 7, v95
	v_lshl_add_u32 v105, v105, 23, 0x3b800000
	v_cndmask_b32_e32 v95, v104, v95, vcc_lo
	v_and_b32_e32 v104, 0x80000000, v106
	v_lshlrev_b32_e32 v95, 20, v95
	v_or3_b32 v95, v104, v105, v95
.LBB4_3917:                             ;   in Loop: Header=BB4_3436 Depth=3
	s_or_b32 exec_lo, exec_lo, s22
	v_max_f32_e32 v95, v95, v95
	v_max_f32_e32 v94, v94, v94
	s_mov_b32 s16, 0
	v_max_f32_e32 v95, v94, v95
.LBB4_3918:                             ;   in Loop: Header=BB4_3436 Depth=3
	s_and_b32 vcc_lo, exec_lo, s16
	s_cbranch_vccz .LBB4_3932
; %bb.3919:                             ;   in Loop: Header=BB4_3436 Depth=3
	v_cmp_gt_i16_sdwa s22, v23, v117 src0_sel:BYTE_1 src1_sel:DWORD
	s_mov_b32 s16, 0
	s_and_saveexec_b32 s23, s22
	s_xor_b32 s22, exec_lo, s23
	s_cbranch_execz .LBB4_4694
; %bb.3920:                             ;   in Loop: Header=BB4_3436 Depth=3
	v_cmp_eq_u16_sdwa s73, v23, v118 src0_sel:BYTE_1 src1_sel:DWORD
	s_mov_b32 s16, -1
	s_and_saveexec_b32 s23, s73
; %bb.3921:                             ;   in Loop: Header=BB4_3436 Depth=3
	s_xor_b32 s16, exec_lo, -1
; %bb.3922:                             ;   in Loop: Header=BB4_3436 Depth=3
	s_or_b32 exec_lo, exec_lo, s23
	s_and_b32 s16, s16, exec_lo
	s_or_saveexec_b32 s22, s22
	v_mov_b32_e32 v94, 0x7f800001
	s_xor_b32 exec_lo, exec_lo, s22
	s_cbranch_execnz .LBB4_4695
.LBB4_3923:                             ;   in Loop: Header=BB4_3436 Depth=3
	s_or_b32 exec_lo, exec_lo, s22
	s_and_saveexec_b32 s22, s16
	s_cbranch_execz .LBB4_3925
.LBB4_3924:                             ;   in Loop: Header=BB4_3436 Depth=3
	v_and_b32_sdwa v94, v119, v23 dst_sel:DWORD dst_unused:UNUSED_PAD src0_sel:DWORD src1_sel:BYTE_1
	v_and_b32_e32 v95, 7, v94
	v_bfe_u32 v106, v94, 3, 4
	v_ffbh_u32_e32 v104, v95
	v_cmp_eq_u32_e32 vcc_lo, 0, v106
	v_min_u32_e32 v104, 32, v104
	v_subrev_nc_u32_e32 v105, 28, v104
	v_sub_nc_u32_e32 v104, 29, v104
	v_lshlrev_b32_e32 v94, v105, v94
	v_lshlrev_b32_e32 v105, 16, v23
	v_cndmask_b32_e32 v104, v106, v104, vcc_lo
	v_and_b32_e32 v94, 7, v94
	v_lshl_add_u32 v104, v104, 23, 0x3b800000
	v_cndmask_b32_e32 v94, v95, v94, vcc_lo
	v_and_b32_e32 v95, 0x80000000, v105
	v_lshlrev_b32_e32 v94, 20, v94
	v_or3_b32 v94, v95, v104, v94
.LBB4_3925:                             ;   in Loop: Header=BB4_3436 Depth=3
	s_or_b32 exec_lo, exec_lo, s22
	v_cmp_gt_i16_sdwa s22, v19, v117 src0_sel:BYTE_1 src1_sel:DWORD
	s_mov_b32 s16, 0
	s_and_saveexec_b32 s23, s22
	s_xor_b32 s22, exec_lo, s23
	s_cbranch_execz .LBB4_4696
; %bb.3926:                             ;   in Loop: Header=BB4_3436 Depth=3
	v_cmp_eq_u16_sdwa s73, v19, v118 src0_sel:BYTE_1 src1_sel:DWORD
	s_mov_b32 s16, -1
	s_and_saveexec_b32 s23, s73
; %bb.3927:                             ;   in Loop: Header=BB4_3436 Depth=3
	s_xor_b32 s16, exec_lo, -1
; %bb.3928:                             ;   in Loop: Header=BB4_3436 Depth=3
	s_or_b32 exec_lo, exec_lo, s23
	s_and_b32 s16, s16, exec_lo
	s_or_saveexec_b32 s22, s22
	v_mov_b32_e32 v95, 0x7f800001
	s_xor_b32 exec_lo, exec_lo, s22
	s_cbranch_execnz .LBB4_4697
.LBB4_3929:                             ;   in Loop: Header=BB4_3436 Depth=3
	s_or_b32 exec_lo, exec_lo, s22
	s_and_saveexec_b32 s22, s16
	s_cbranch_execz .LBB4_3931
.LBB4_3930:                             ;   in Loop: Header=BB4_3436 Depth=3
	v_and_b32_sdwa v95, v119, v19 dst_sel:DWORD dst_unused:UNUSED_PAD src0_sel:DWORD src1_sel:BYTE_1
	v_and_b32_e32 v104, 7, v95
	v_bfe_u32 v107, v95, 3, 4
	v_ffbh_u32_e32 v105, v104
	v_cmp_eq_u32_e32 vcc_lo, 0, v107
	v_min_u32_e32 v105, 32, v105
	v_subrev_nc_u32_e32 v106, 28, v105
	v_sub_nc_u32_e32 v105, 29, v105
	v_lshlrev_b32_e32 v95, v106, v95
	v_lshlrev_b32_e32 v106, 16, v19
	v_cndmask_b32_e32 v105, v107, v105, vcc_lo
	v_and_b32_e32 v95, 7, v95
	v_lshl_add_u32 v105, v105, 23, 0x3b800000
	v_cndmask_b32_e32 v95, v104, v95, vcc_lo
	v_and_b32_e32 v104, 0x80000000, v106
	v_lshlrev_b32_e32 v95, 20, v95
	v_or3_b32 v95, v104, v105, v95
.LBB4_3931:                             ;   in Loop: Header=BB4_3436 Depth=3
	s_or_b32 exec_lo, exec_lo, s22
	v_max_f32_e32 v95, v95, v95
	v_max_f32_e32 v94, v94, v94
	v_min_f32_e32 v95, v94, v95
.LBB4_3932:                             ;   in Loop: Header=BB4_3436 Depth=3
	v_and_b32_e32 v94, 0x7f800000, v95
	v_cmp_ne_u32_e32 vcc_lo, 0x7f800000, v94
	v_mov_b32_e32 v94, 0x8000
	s_and_saveexec_b32 s22, vcc_lo
	s_cbranch_execz .LBB4_3940
; %bb.3933:                             ;   in Loop: Header=BB4_3436 Depth=3
	v_mov_b32_e32 v94, 0
	s_mov_b32 s23, exec_lo
	v_cmpx_ne_u32_e32 0, v95
	s_cbranch_execz .LBB4_3939
; %bb.3934:                             ;   in Loop: Header=BB4_3436 Depth=3
	v_bfe_u32 v94, v95, 23, 8
	v_and_b32_e32 v104, 0x7fffff, v95
	v_sub_nc_u32_e32 v105, 0x78, v94
	v_cmp_gt_u32_e32 vcc_lo, 0x79, v94
	v_or_b32_e32 v106, 0x800000, v104
	v_cndmask_b32_e32 v105, 0, v105, vcc_lo
	v_cmp_eq_u32_e32 vcc_lo, 0, v94
	v_add_nc_u32_e32 v94, 0xffffff89, v94
	v_cndmask_b32_e64 v105, v105, 0x77, vcc_lo
	v_cndmask_b32_e32 v104, v106, v104, vcc_lo
	v_cndmask_b32_e64 v94, v94, 0xffffff8a, vcc_lo
	v_lshl_add_u32 v106, 0x100000, v105, -1
	v_lshrrev_b32_e32 v107, v105, v104
	v_lshlrev_b32_e64 v109, v105, 0x80000
	v_add_nc_u32_e32 v105, v105, v94
	v_and_b32_e32 v104, v106, v104
	v_bfe_u32 v108, v107, 20, 1
	v_cmp_eq_u32_e64 s16, v104, v109
	v_add_nc_u32_e32 v106, -1, v108
	v_cndmask_b32_e64 v104, 0, v106, s16
	v_lshrrev_b32_e32 v106, 23, v107
	s_mov_b32 s16, exec_lo
	v_add_nc_u32_e32 v104, v104, v107
	v_xor_b32_e32 v106, 1, v106
	v_and_b32_e32 v94, 0xfffff, v104
	v_add_nc_u32_e32 v104, v94, v107
                                        ; implicit-def: $vgpr94
	v_cmpx_ne_u32_e64 v105, v106
	s_xor_b32 s16, exec_lo, s16
; %bb.3935:                             ;   in Loop: Header=BB4_3436 Depth=3
	v_cmp_lt_u32_e32 vcc_lo, 0xffffff, v104
	v_sub_nc_u32_e32 v94, v105, v106
	v_cndmask_b32_e64 v105, 0, 1, vcc_lo
	v_add_co_ci_u32_e64 v94, null, 0, v94, vcc_lo
	v_lshrrev_b32_e32 v104, v105, v104
; %bb.3936:                             ;   in Loop: Header=BB4_3436 Depth=3
	s_andn2_saveexec_b32 s16, s16
; %bb.3937:                             ;   in Loop: Header=BB4_3436 Depth=3
	v_bfe_u32 v94, v104, 23, 1
; %bb.3938:                             ;   in Loop: Header=BB4_3436 Depth=3
	s_or_b32 exec_lo, exec_lo, s16
	v_lshrrev_b32_e32 v104, 20, v104
	v_min_i32_e32 v105, 15, v94
	v_cmp_gt_i32_e32 vcc_lo, 16, v94
	v_and_b32_sdwa v95, v95, v118 dst_sel:DWORD dst_unused:UNUSED_PAD src0_sel:BYTE_3 src1_sel:DWORD
	v_lshlrev_b32_e32 v105, 3, v105
	v_cndmask_b32_e32 v104, 7, v104, vcc_lo
	v_and_b32_e32 v105, 0xf8, v105
	v_and_b32_e32 v106, 7, v104
	v_or_b32_e32 v94, v94, v104
	v_or3_b32 v95, v95, v105, v106
	v_cmp_ne_u32_e32 vcc_lo, 0, v94
	v_lshlrev_b32_e32 v95, 8, v95
	v_cndmask_b32_e32 v94, 0, v95, vcc_lo
.LBB4_3939:                             ;   in Loop: Header=BB4_3436 Depth=3
	s_or_b32 exec_lo, exec_lo, s23
.LBB4_3940:                             ;   in Loop: Header=BB4_3436 Depth=3
	s_or_b32 exec_lo, exec_lo, s22
	v_and_b32_sdwa v95, v23, v40 dst_sel:DWORD dst_unused:UNUSED_PAD src0_sel:WORD_1 src1_sel:DWORD
	s_and_b32 vcc_lo, exec_lo, s19
	s_mov_b32 s22, -1
                                        ; implicit-def: $vgpr104
	v_cmp_lt_i16_e64 s16, 0x7f, v95
	s_cbranch_vccz .LBB4_3954
; %bb.3941:                             ;   in Loop: Header=BB4_3436 Depth=3
	s_mov_b32 s22, 0
	s_and_saveexec_b32 s23, s16
	s_xor_b32 s16, exec_lo, s23
	s_cbranch_execz .LBB4_4698
; %bb.3942:                             ;   in Loop: Header=BB4_3436 Depth=3
	s_mov_b32 s22, -1
	s_mov_b32 s23, exec_lo
	v_cmpx_eq_u16_e32 0x80, v95
; %bb.3943:                             ;   in Loop: Header=BB4_3436 Depth=3
	s_xor_b32 s22, exec_lo, -1
; %bb.3944:                             ;   in Loop: Header=BB4_3436 Depth=3
	s_or_b32 exec_lo, exec_lo, s23
	s_and_b32 s22, s22, exec_lo
	s_or_saveexec_b32 s16, s16
	v_mov_b32_e32 v104, 0x7f800001
	s_xor_b32 exec_lo, exec_lo, s16
	s_cbranch_execnz .LBB4_4699
.LBB4_3945:                             ;   in Loop: Header=BB4_3436 Depth=3
	s_or_b32 exec_lo, exec_lo, s16
	s_and_saveexec_b32 s16, s22
	s_cbranch_execz .LBB4_3947
.LBB4_3946:                             ;   in Loop: Header=BB4_3436 Depth=3
	v_bfe_u32 v104, v23, 16, 3
	v_bfe_u32 v107, v23, 19, 4
	v_lshlrev_b32_sdwa v108, v41, v23 dst_sel:DWORD dst_unused:UNUSED_PAD src0_sel:DWORD src1_sel:WORD_1
	v_ffbh_u32_e32 v105, v104
	v_cmp_eq_u32_e32 vcc_lo, 0, v107
	v_min_u32_e32 v105, 32, v105
	v_subrev_nc_u32_e32 v106, 28, v105
	v_sub_nc_u32_e32 v105, 29, v105
	v_lshlrev_b32_sdwa v106, v106, v23 dst_sel:DWORD dst_unused:UNUSED_PAD src0_sel:DWORD src1_sel:WORD_1
	v_cndmask_b32_e32 v105, v107, v105, vcc_lo
	v_and_b32_e32 v106, 7, v106
	v_lshl_add_u32 v105, v105, 23, 0x3b800000
	v_cndmask_b32_e32 v104, v104, v106, vcc_lo
	v_and_b32_e32 v106, 0x80000000, v108
	v_lshlrev_b32_e32 v104, 20, v104
	v_or3_b32 v104, v106, v105, v104
.LBB4_3947:                             ;   in Loop: Header=BB4_3436 Depth=3
	s_or_b32 exec_lo, exec_lo, s16
	v_and_b32_sdwa v106, v19, v40 dst_sel:DWORD dst_unused:UNUSED_PAD src0_sel:WORD_1 src1_sel:DWORD
	s_mov_b32 s16, 0
	s_mov_b32 s22, exec_lo
	v_cmpx_lt_i16_e32 0x7f, v106
	s_xor_b32 s22, exec_lo, s22
	s_cbranch_execz .LBB4_4700
; %bb.3948:                             ;   in Loop: Header=BB4_3436 Depth=3
	s_mov_b32 s16, -1
	s_mov_b32 s23, exec_lo
	v_cmpx_eq_u16_e32 0x80, v106
; %bb.3949:                             ;   in Loop: Header=BB4_3436 Depth=3
	s_xor_b32 s16, exec_lo, -1
; %bb.3950:                             ;   in Loop: Header=BB4_3436 Depth=3
	s_or_b32 exec_lo, exec_lo, s23
	s_and_b32 s16, s16, exec_lo
                                        ; implicit-def: $vgpr106
	s_or_saveexec_b32 s22, s22
	v_mov_b32_e32 v105, 0x7f800001
	s_xor_b32 exec_lo, exec_lo, s22
	s_cbranch_execnz .LBB4_4701
.LBB4_3951:                             ;   in Loop: Header=BB4_3436 Depth=3
	s_or_b32 exec_lo, exec_lo, s22
	s_and_saveexec_b32 s22, s16
	s_cbranch_execz .LBB4_3953
.LBB4_3952:                             ;   in Loop: Header=BB4_3436 Depth=3
	v_bfe_u32 v105, v19, 16, 3
	v_bfe_u32 v108, v19, 19, 4
	v_lshlrev_b32_sdwa v109, v41, v19 dst_sel:DWORD dst_unused:UNUSED_PAD src0_sel:DWORD src1_sel:WORD_1
	v_ffbh_u32_e32 v106, v105
	v_cmp_eq_u32_e32 vcc_lo, 0, v108
	v_min_u32_e32 v106, 32, v106
	v_subrev_nc_u32_e32 v107, 28, v106
	v_sub_nc_u32_e32 v106, 29, v106
	v_lshlrev_b32_sdwa v107, v107, v19 dst_sel:DWORD dst_unused:UNUSED_PAD src0_sel:DWORD src1_sel:WORD_1
	v_cndmask_b32_e32 v106, v108, v106, vcc_lo
	v_and_b32_e32 v107, 7, v107
	v_lshl_add_u32 v106, v106, 23, 0x3b800000
	v_cndmask_b32_e32 v105, v105, v107, vcc_lo
	v_and_b32_e32 v107, 0x80000000, v109
	v_lshlrev_b32_e32 v105, 20, v105
	v_or3_b32 v105, v107, v106, v105
.LBB4_3953:                             ;   in Loop: Header=BB4_3436 Depth=3
	s_or_b32 exec_lo, exec_lo, s22
	v_max_f32_e32 v105, v105, v105
	v_max_f32_e32 v104, v104, v104
	s_mov_b32 s22, 0
	v_max_f32_e32 v104, v104, v105
.LBB4_3954:                             ;   in Loop: Header=BB4_3436 Depth=3
	s_and_b32 vcc_lo, exec_lo, s22
	s_cbranch_vccz .LBB4_3968
; %bb.3955:                             ;   in Loop: Header=BB4_3436 Depth=3
	s_mov_b32 s16, 0
	s_mov_b32 s22, exec_lo
	v_cmpx_lt_i16_e32 0x7f, v95
	s_xor_b32 s22, exec_lo, s22
	s_cbranch_execz .LBB4_4702
; %bb.3956:                             ;   in Loop: Header=BB4_3436 Depth=3
	s_mov_b32 s16, -1
	s_mov_b32 s23, exec_lo
	v_cmpx_eq_u16_e32 0x80, v95
; %bb.3957:                             ;   in Loop: Header=BB4_3436 Depth=3
	s_xor_b32 s16, exec_lo, -1
; %bb.3958:                             ;   in Loop: Header=BB4_3436 Depth=3
	s_or_b32 exec_lo, exec_lo, s23
	s_and_b32 s16, s16, exec_lo
                                        ; implicit-def: $vgpr95
	s_or_saveexec_b32 s22, s22
	v_mov_b32_e32 v104, 0x7f800001
	s_xor_b32 exec_lo, exec_lo, s22
	s_cbranch_execnz .LBB4_4703
.LBB4_3959:                             ;   in Loop: Header=BB4_3436 Depth=3
	s_or_b32 exec_lo, exec_lo, s22
	s_and_saveexec_b32 s22, s16
	s_cbranch_execz .LBB4_3961
.LBB4_3960:                             ;   in Loop: Header=BB4_3436 Depth=3
	v_bfe_u32 v95, v23, 16, 3
	v_bfe_u32 v106, v23, 19, 4
	v_lshlrev_b32_sdwa v107, v41, v23 dst_sel:DWORD dst_unused:UNUSED_PAD src0_sel:DWORD src1_sel:WORD_1
	v_ffbh_u32_e32 v104, v95
	v_cmp_eq_u32_e32 vcc_lo, 0, v106
	v_min_u32_e32 v104, 32, v104
	v_subrev_nc_u32_e32 v105, 28, v104
	v_sub_nc_u32_e32 v104, 29, v104
	v_lshlrev_b32_sdwa v105, v105, v23 dst_sel:DWORD dst_unused:UNUSED_PAD src0_sel:DWORD src1_sel:WORD_1
	v_cndmask_b32_e32 v104, v106, v104, vcc_lo
	v_and_b32_e32 v105, 7, v105
	v_lshl_add_u32 v104, v104, 23, 0x3b800000
	v_cndmask_b32_e32 v95, v95, v105, vcc_lo
	v_and_b32_e32 v105, 0x80000000, v107
	v_lshlrev_b32_e32 v95, 20, v95
	v_or3_b32 v104, v105, v104, v95
.LBB4_3961:                             ;   in Loop: Header=BB4_3436 Depth=3
	s_or_b32 exec_lo, exec_lo, s22
	v_and_b32_sdwa v105, v19, v40 dst_sel:DWORD dst_unused:UNUSED_PAD src0_sel:WORD_1 src1_sel:DWORD
	s_mov_b32 s16, 0
	s_mov_b32 s22, exec_lo
	v_cmpx_lt_i16_e32 0x7f, v105
	s_xor_b32 s22, exec_lo, s22
	s_cbranch_execz .LBB4_4704
; %bb.3962:                             ;   in Loop: Header=BB4_3436 Depth=3
	s_mov_b32 s16, -1
	s_mov_b32 s23, exec_lo
	v_cmpx_eq_u16_e32 0x80, v105
; %bb.3963:                             ;   in Loop: Header=BB4_3436 Depth=3
	s_xor_b32 s16, exec_lo, -1
; %bb.3964:                             ;   in Loop: Header=BB4_3436 Depth=3
	s_or_b32 exec_lo, exec_lo, s23
	s_and_b32 s16, s16, exec_lo
                                        ; implicit-def: $vgpr105
	s_or_saveexec_b32 s22, s22
	v_mov_b32_e32 v95, 0x7f800001
	s_xor_b32 exec_lo, exec_lo, s22
	s_cbranch_execnz .LBB4_4705
.LBB4_3965:                             ;   in Loop: Header=BB4_3436 Depth=3
	s_or_b32 exec_lo, exec_lo, s22
	s_and_saveexec_b32 s22, s16
	s_cbranch_execz .LBB4_3967
.LBB4_3966:                             ;   in Loop: Header=BB4_3436 Depth=3
	v_bfe_u32 v95, v19, 16, 3
	v_bfe_u32 v107, v19, 19, 4
	v_lshlrev_b32_sdwa v108, v41, v19 dst_sel:DWORD dst_unused:UNUSED_PAD src0_sel:DWORD src1_sel:WORD_1
	v_ffbh_u32_e32 v105, v95
	v_cmp_eq_u32_e32 vcc_lo, 0, v107
	v_min_u32_e32 v105, 32, v105
	v_subrev_nc_u32_e32 v106, 28, v105
	v_sub_nc_u32_e32 v105, 29, v105
	v_lshlrev_b32_sdwa v106, v106, v19 dst_sel:DWORD dst_unused:UNUSED_PAD src0_sel:DWORD src1_sel:WORD_1
	v_cndmask_b32_e32 v105, v107, v105, vcc_lo
	v_and_b32_e32 v106, 7, v106
	v_lshl_add_u32 v105, v105, 23, 0x3b800000
	v_cndmask_b32_e32 v95, v95, v106, vcc_lo
	v_and_b32_e32 v106, 0x80000000, v108
	v_lshlrev_b32_e32 v95, 20, v95
	v_or3_b32 v95, v106, v105, v95
.LBB4_3967:                             ;   in Loop: Header=BB4_3436 Depth=3
	s_or_b32 exec_lo, exec_lo, s22
	v_max_f32_e32 v95, v95, v95
	v_max_f32_e32 v104, v104, v104
	v_min_f32_e32 v104, v104, v95
.LBB4_3968:                             ;   in Loop: Header=BB4_3436 Depth=3
	v_and_b32_e32 v95, 0x7f800000, v104
	v_cmp_ne_u32_e32 vcc_lo, 0x7f800000, v95
	v_mov_b32_e32 v95, 0x80
	s_and_saveexec_b32 s22, vcc_lo
	s_cbranch_execz .LBB4_3976
; %bb.3969:                             ;   in Loop: Header=BB4_3436 Depth=3
	v_mov_b32_e32 v95, 0
	s_mov_b32 s23, exec_lo
	v_cmpx_ne_u32_e32 0, v104
	s_cbranch_execz .LBB4_3975
; %bb.3970:                             ;   in Loop: Header=BB4_3436 Depth=3
	v_bfe_u32 v95, v104, 23, 8
	v_and_b32_e32 v105, 0x7fffff, v104
	v_sub_nc_u32_e32 v106, 0x78, v95
	v_cmp_gt_u32_e32 vcc_lo, 0x79, v95
	v_or_b32_e32 v107, 0x800000, v105
	v_cndmask_b32_e32 v106, 0, v106, vcc_lo
	v_cmp_eq_u32_e32 vcc_lo, 0, v95
	v_add_nc_u32_e32 v95, 0xffffff89, v95
	v_cndmask_b32_e64 v106, v106, 0x77, vcc_lo
	v_cndmask_b32_e32 v105, v107, v105, vcc_lo
	v_cndmask_b32_e64 v95, v95, 0xffffff8a, vcc_lo
	v_lshl_add_u32 v107, 0x100000, v106, -1
	v_lshrrev_b32_e32 v108, v106, v105
	v_lshlrev_b32_e64 v110, v106, 0x80000
	v_add_nc_u32_e32 v106, v106, v95
	v_and_b32_e32 v105, v107, v105
	v_bfe_u32 v109, v108, 20, 1
	v_cmp_eq_u32_e64 s16, v105, v110
	v_add_nc_u32_e32 v107, -1, v109
	v_cndmask_b32_e64 v105, 0, v107, s16
	v_lshrrev_b32_e32 v107, 23, v108
	s_mov_b32 s16, exec_lo
	v_add_nc_u32_e32 v105, v105, v108
	v_xor_b32_e32 v107, 1, v107
	v_and_b32_e32 v95, 0xfffff, v105
	v_add_nc_u32_e32 v105, v95, v108
                                        ; implicit-def: $vgpr95
	v_cmpx_ne_u32_e64 v106, v107
	s_xor_b32 s16, exec_lo, s16
; %bb.3971:                             ;   in Loop: Header=BB4_3436 Depth=3
	v_cmp_lt_u32_e32 vcc_lo, 0xffffff, v105
	v_sub_nc_u32_e32 v95, v106, v107
	v_cndmask_b32_e64 v106, 0, 1, vcc_lo
	v_add_co_ci_u32_e64 v95, null, 0, v95, vcc_lo
	v_lshrrev_b32_e32 v105, v106, v105
; %bb.3972:                             ;   in Loop: Header=BB4_3436 Depth=3
	s_andn2_saveexec_b32 s16, s16
; %bb.3973:                             ;   in Loop: Header=BB4_3436 Depth=3
	v_bfe_u32 v95, v105, 23, 1
; %bb.3974:                             ;   in Loop: Header=BB4_3436 Depth=3
	s_or_b32 exec_lo, exec_lo, s16
	v_lshrrev_b32_e32 v105, 20, v105
	v_min_i32_e32 v106, 15, v95
	v_cmp_gt_i32_e32 vcc_lo, 16, v95
	v_and_b32_sdwa v104, v104, v118 dst_sel:DWORD dst_unused:UNUSED_PAD src0_sel:BYTE_3 src1_sel:DWORD
	v_lshlrev_b32_e32 v106, 3, v106
	v_cndmask_b32_e32 v105, 7, v105, vcc_lo
	v_and_b32_e32 v106, 0xf8, v106
	v_and_b32_e32 v107, 7, v105
	v_or_b32_e32 v95, v95, v105
	v_or3_b32 v104, v106, v104, v107
	v_cmp_ne_u32_e32 vcc_lo, 0, v95
	v_cndmask_b32_e32 v95, 0, v104, vcc_lo
.LBB4_3975:                             ;   in Loop: Header=BB4_3436 Depth=3
	s_or_b32 exec_lo, exec_lo, s23
.LBB4_3976:                             ;   in Loop: Header=BB4_3436 Depth=3
	s_or_b32 exec_lo, exec_lo, s22
	v_cmp_gt_i16_sdwa s22, v23, v117 src0_sel:BYTE_3 src1_sel:DWORD
	s_and_b32 vcc_lo, exec_lo, s19
	s_mov_b32 s16, -1
                                        ; implicit-def: $vgpr104
	s_cbranch_vccz .LBB4_3990
; %bb.3977:                             ;   in Loop: Header=BB4_3436 Depth=3
	s_mov_b32 s16, 0
	s_and_saveexec_b32 s23, s22
	s_xor_b32 s22, exec_lo, s23
	s_cbranch_execz .LBB4_4706
; %bb.3978:                             ;   in Loop: Header=BB4_3436 Depth=3
	v_cmp_eq_u16_sdwa s73, v23, v118 src0_sel:BYTE_3 src1_sel:DWORD
	s_mov_b32 s16, -1
	s_and_saveexec_b32 s23, s73
; %bb.3979:                             ;   in Loop: Header=BB4_3436 Depth=3
	s_xor_b32 s16, exec_lo, -1
; %bb.3980:                             ;   in Loop: Header=BB4_3436 Depth=3
	s_or_b32 exec_lo, exec_lo, s23
	s_and_b32 s16, s16, exec_lo
	s_or_saveexec_b32 s22, s22
	v_mov_b32_e32 v104, 0x7f800001
	s_xor_b32 exec_lo, exec_lo, s22
	s_cbranch_execnz .LBB4_4707
.LBB4_3981:                             ;   in Loop: Header=BB4_3436 Depth=3
	s_or_b32 exec_lo, exec_lo, s22
	s_and_saveexec_b32 s22, s16
	s_cbranch_execz .LBB4_3983
.LBB4_3982:                             ;   in Loop: Header=BB4_3436 Depth=3
	v_bfe_u32 v104, v23, 24, 3
	v_bfe_u32 v107, v23, 27, 4
	v_ffbh_u32_e32 v105, v104
	v_cmp_eq_u32_e32 vcc_lo, 0, v107
	v_min_u32_e32 v105, 32, v105
	v_subrev_nc_u32_e32 v106, 28, v105
	v_sub_nc_u32_e32 v105, 29, v105
	v_lshlrev_b32_sdwa v106, v106, v23 dst_sel:DWORD dst_unused:UNUSED_PAD src0_sel:DWORD src1_sel:BYTE_3
	v_cndmask_b32_e32 v105, v107, v105, vcc_lo
	v_and_b32_e32 v106, 7, v106
	v_lshl_add_u32 v105, v105, 23, 0x3b800000
	v_cndmask_b32_e32 v104, v104, v106, vcc_lo
	v_and_b32_e32 v106, 0x80000000, v23
	v_lshlrev_b32_e32 v104, 20, v104
	v_or3_b32 v104, v106, v105, v104
.LBB4_3983:                             ;   in Loop: Header=BB4_3436 Depth=3
	s_or_b32 exec_lo, exec_lo, s22
	v_cmp_gt_i16_sdwa s22, v19, v117 src0_sel:BYTE_3 src1_sel:DWORD
	s_mov_b32 s16, 0
	s_and_saveexec_b32 s23, s22
	s_xor_b32 s22, exec_lo, s23
	s_cbranch_execz .LBB4_4708
; %bb.3984:                             ;   in Loop: Header=BB4_3436 Depth=3
	v_cmp_eq_u16_sdwa s73, v19, v118 src0_sel:BYTE_3 src1_sel:DWORD
	s_mov_b32 s16, -1
	s_and_saveexec_b32 s23, s73
; %bb.3985:                             ;   in Loop: Header=BB4_3436 Depth=3
	s_xor_b32 s16, exec_lo, -1
; %bb.3986:                             ;   in Loop: Header=BB4_3436 Depth=3
	s_or_b32 exec_lo, exec_lo, s23
	s_and_b32 s16, s16, exec_lo
	s_or_saveexec_b32 s22, s22
	v_mov_b32_e32 v105, 0x7f800001
	s_xor_b32 exec_lo, exec_lo, s22
	s_cbranch_execnz .LBB4_4709
.LBB4_3987:                             ;   in Loop: Header=BB4_3436 Depth=3
	s_or_b32 exec_lo, exec_lo, s22
	s_and_saveexec_b32 s22, s16
	s_cbranch_execz .LBB4_3989
.LBB4_3988:                             ;   in Loop: Header=BB4_3436 Depth=3
	v_bfe_u32 v105, v19, 24, 3
	v_bfe_u32 v108, v19, 27, 4
	v_ffbh_u32_e32 v106, v105
	v_cmp_eq_u32_e32 vcc_lo, 0, v108
	v_min_u32_e32 v106, 32, v106
	v_subrev_nc_u32_e32 v107, 28, v106
	v_sub_nc_u32_e32 v106, 29, v106
	v_lshlrev_b32_sdwa v107, v107, v19 dst_sel:DWORD dst_unused:UNUSED_PAD src0_sel:DWORD src1_sel:BYTE_3
	v_cndmask_b32_e32 v106, v108, v106, vcc_lo
	v_and_b32_e32 v107, 7, v107
	v_lshl_add_u32 v106, v106, 23, 0x3b800000
	v_cndmask_b32_e32 v105, v105, v107, vcc_lo
	v_and_b32_e32 v107, 0x80000000, v19
	v_lshlrev_b32_e32 v105, 20, v105
	v_or3_b32 v105, v107, v106, v105
.LBB4_3989:                             ;   in Loop: Header=BB4_3436 Depth=3
	s_or_b32 exec_lo, exec_lo, s22
	v_max_f32_e32 v105, v105, v105
	v_max_f32_e32 v104, v104, v104
	s_mov_b32 s16, 0
	v_max_f32_e32 v104, v104, v105
.LBB4_3990:                             ;   in Loop: Header=BB4_3436 Depth=3
	s_and_b32 vcc_lo, exec_lo, s16
	s_cbranch_vccz .LBB4_4004
; %bb.3991:                             ;   in Loop: Header=BB4_3436 Depth=3
	v_cmp_gt_i16_sdwa s22, v23, v117 src0_sel:BYTE_3 src1_sel:DWORD
	s_mov_b32 s16, 0
	s_and_saveexec_b32 s23, s22
	s_xor_b32 s22, exec_lo, s23
	s_cbranch_execz .LBB4_4710
; %bb.3992:                             ;   in Loop: Header=BB4_3436 Depth=3
	v_cmp_eq_u16_sdwa s73, v23, v118 src0_sel:BYTE_3 src1_sel:DWORD
	s_mov_b32 s16, -1
	s_and_saveexec_b32 s23, s73
; %bb.3993:                             ;   in Loop: Header=BB4_3436 Depth=3
	s_xor_b32 s16, exec_lo, -1
; %bb.3994:                             ;   in Loop: Header=BB4_3436 Depth=3
	s_or_b32 exec_lo, exec_lo, s23
	s_and_b32 s16, s16, exec_lo
	s_or_saveexec_b32 s22, s22
	v_mov_b32_e32 v104, 0x7f800001
	s_xor_b32 exec_lo, exec_lo, s22
	s_cbranch_execnz .LBB4_4711
.LBB4_3995:                             ;   in Loop: Header=BB4_3436 Depth=3
	s_or_b32 exec_lo, exec_lo, s22
	s_and_saveexec_b32 s22, s16
	s_cbranch_execz .LBB4_3997
.LBB4_3996:                             ;   in Loop: Header=BB4_3436 Depth=3
	v_bfe_u32 v104, v23, 24, 3
	v_bfe_u32 v107, v23, 27, 4
	v_ffbh_u32_e32 v105, v104
	v_cmp_eq_u32_e32 vcc_lo, 0, v107
	v_min_u32_e32 v105, 32, v105
	v_subrev_nc_u32_e32 v106, 28, v105
	v_sub_nc_u32_e32 v105, 29, v105
	v_lshlrev_b32_sdwa v106, v106, v23 dst_sel:DWORD dst_unused:UNUSED_PAD src0_sel:DWORD src1_sel:BYTE_3
	v_cndmask_b32_e32 v105, v107, v105, vcc_lo
	v_and_b32_e32 v23, 0x80000000, v23
	v_and_b32_e32 v106, 7, v106
	v_lshl_add_u32 v105, v105, 23, 0x3b800000
	v_cndmask_b32_e32 v104, v104, v106, vcc_lo
	v_lshlrev_b32_e32 v104, 20, v104
	v_or3_b32 v104, v23, v105, v104
.LBB4_3997:                             ;   in Loop: Header=BB4_3436 Depth=3
	s_or_b32 exec_lo, exec_lo, s22
	v_cmp_gt_i16_sdwa s22, v19, v117 src0_sel:BYTE_3 src1_sel:DWORD
	s_mov_b32 s16, 0
	s_and_saveexec_b32 s23, s22
	s_xor_b32 s22, exec_lo, s23
	s_cbranch_execz .LBB4_4712
; %bb.3998:                             ;   in Loop: Header=BB4_3436 Depth=3
	v_cmp_eq_u16_sdwa s73, v19, v118 src0_sel:BYTE_3 src1_sel:DWORD
	s_mov_b32 s16, -1
	s_and_saveexec_b32 s23, s73
; %bb.3999:                             ;   in Loop: Header=BB4_3436 Depth=3
	s_xor_b32 s16, exec_lo, -1
; %bb.4000:                             ;   in Loop: Header=BB4_3436 Depth=3
	s_or_b32 exec_lo, exec_lo, s23
	s_and_b32 s16, s16, exec_lo
	s_or_saveexec_b32 s22, s22
	v_mov_b32_e32 v23, 0x7f800001
	s_xor_b32 exec_lo, exec_lo, s22
	s_cbranch_execnz .LBB4_4713
.LBB4_4001:                             ;   in Loop: Header=BB4_3436 Depth=3
	s_or_b32 exec_lo, exec_lo, s22
	s_and_saveexec_b32 s22, s16
	s_cbranch_execz .LBB4_4003
.LBB4_4002:                             ;   in Loop: Header=BB4_3436 Depth=3
	v_bfe_u32 v23, v19, 24, 3
	v_bfe_u32 v107, v19, 27, 4
	v_ffbh_u32_e32 v105, v23
	v_cmp_eq_u32_e32 vcc_lo, 0, v107
	v_min_u32_e32 v105, 32, v105
	v_subrev_nc_u32_e32 v106, 28, v105
	v_sub_nc_u32_e32 v105, 29, v105
	v_lshlrev_b32_sdwa v106, v106, v19 dst_sel:DWORD dst_unused:UNUSED_PAD src0_sel:DWORD src1_sel:BYTE_3
	v_cndmask_b32_e32 v105, v107, v105, vcc_lo
	v_and_b32_e32 v19, 0x80000000, v19
	v_and_b32_e32 v106, 7, v106
	v_lshl_add_u32 v105, v105, 23, 0x3b800000
	v_cndmask_b32_e32 v23, v23, v106, vcc_lo
	v_lshlrev_b32_e32 v23, 20, v23
	v_or3_b32 v23, v19, v105, v23
.LBB4_4003:                             ;   in Loop: Header=BB4_3436 Depth=3
	s_or_b32 exec_lo, exec_lo, s22
	v_max_f32_e32 v19, v23, v23
	v_max_f32_e32 v23, v104, v104
	v_min_f32_e32 v104, v23, v19
.LBB4_4004:                             ;   in Loop: Header=BB4_3436 Depth=3
	v_and_b32_e32 v19, 0x7f800000, v104
	v_cmp_ne_u32_e32 vcc_lo, 0x7f800000, v19
	v_mov_b32_e32 v19, 0x8000
	s_and_saveexec_b32 s22, vcc_lo
	s_cbranch_execz .LBB4_4012
; %bb.4005:                             ;   in Loop: Header=BB4_3436 Depth=3
	v_mov_b32_e32 v19, 0
	s_mov_b32 s23, exec_lo
	v_cmpx_ne_u32_e32 0, v104
	s_cbranch_execz .LBB4_4011
; %bb.4006:                             ;   in Loop: Header=BB4_3436 Depth=3
	v_bfe_u32 v19, v104, 23, 8
	v_and_b32_e32 v23, 0x7fffff, v104
	v_sub_nc_u32_e32 v105, 0x78, v19
	v_cmp_gt_u32_e32 vcc_lo, 0x79, v19
	v_or_b32_e32 v106, 0x800000, v23
	v_cndmask_b32_e32 v105, 0, v105, vcc_lo
	v_cmp_eq_u32_e32 vcc_lo, 0, v19
	v_add_nc_u32_e32 v19, 0xffffff89, v19
	v_cndmask_b32_e64 v105, v105, 0x77, vcc_lo
	v_cndmask_b32_e32 v23, v106, v23, vcc_lo
	v_cndmask_b32_e64 v19, v19, 0xffffff8a, vcc_lo
	v_lshl_add_u32 v106, 0x100000, v105, -1
	v_lshrrev_b32_e32 v107, v105, v23
	v_lshlrev_b32_e64 v109, v105, 0x80000
	v_add_nc_u32_e32 v105, v105, v19
	v_and_b32_e32 v23, v106, v23
	v_bfe_u32 v108, v107, 20, 1
	v_cmp_eq_u32_e64 s16, v23, v109
	v_add_nc_u32_e32 v106, -1, v108
	v_cndmask_b32_e64 v23, 0, v106, s16
	v_lshrrev_b32_e32 v106, 23, v107
	s_mov_b32 s16, exec_lo
	v_add_nc_u32_e32 v23, v23, v107
	v_xor_b32_e32 v106, 1, v106
	v_and_b32_e32 v19, 0xfffff, v23
	v_add_nc_u32_e32 v23, v19, v107
                                        ; implicit-def: $vgpr19
	v_cmpx_ne_u32_e64 v105, v106
	s_xor_b32 s16, exec_lo, s16
; %bb.4007:                             ;   in Loop: Header=BB4_3436 Depth=3
	v_cmp_lt_u32_e32 vcc_lo, 0xffffff, v23
	v_sub_nc_u32_e32 v19, v105, v106
	v_cndmask_b32_e64 v105, 0, 1, vcc_lo
	v_add_co_ci_u32_e64 v19, null, 0, v19, vcc_lo
	v_lshrrev_b32_e32 v23, v105, v23
; %bb.4008:                             ;   in Loop: Header=BB4_3436 Depth=3
	s_andn2_saveexec_b32 s16, s16
; %bb.4009:                             ;   in Loop: Header=BB4_3436 Depth=3
	v_bfe_u32 v19, v23, 23, 1
; %bb.4010:                             ;   in Loop: Header=BB4_3436 Depth=3
	s_or_b32 exec_lo, exec_lo, s16
	v_lshrrev_b32_e32 v23, 20, v23
	v_min_i32_e32 v105, 15, v19
	v_cmp_gt_i32_e32 vcc_lo, 16, v19
	v_and_b32_sdwa v104, v104, v118 dst_sel:DWORD dst_unused:UNUSED_PAD src0_sel:BYTE_3 src1_sel:DWORD
	v_lshlrev_b32_e32 v105, 3, v105
	v_cndmask_b32_e32 v23, 7, v23, vcc_lo
	v_and_b32_e32 v105, 0xf8, v105
	v_and_b32_e32 v106, 7, v23
	v_or_b32_e32 v19, v19, v23
	v_or3_b32 v104, v104, v105, v106
	v_cmp_ne_u32_e32 vcc_lo, 0, v19
	v_lshlrev_b32_e32 v23, 8, v104
	v_cndmask_b32_e32 v19, 0, v23, vcc_lo
.LBB4_4011:                             ;   in Loop: Header=BB4_3436 Depth=3
	s_or_b32 exec_lo, exec_lo, s23
.LBB4_4012:                             ;   in Loop: Header=BB4_3436 Depth=3
	s_or_b32 exec_lo, exec_lo, s22
	v_cmp_gt_i16_sdwa s22, v12, v117 src0_sel:BYTE_0 src1_sel:DWORD
	s_andn2_b32 vcc_lo, exec_lo, s19
	s_mov_b32 s16, -1
                                        ; implicit-def: $vgpr104
	s_cbranch_vccnz .LBB4_4026
; %bb.4013:                             ;   in Loop: Header=BB4_3436 Depth=3
	s_mov_b32 s16, 0
	s_and_saveexec_b32 s23, s22
	s_xor_b32 s22, exec_lo, s23
	s_cbranch_execz .LBB4_4714
; %bb.4014:                             ;   in Loop: Header=BB4_3436 Depth=3
	v_cmp_eq_u16_sdwa s73, v12, v118 src0_sel:BYTE_0 src1_sel:DWORD
	s_mov_b32 s16, -1
	s_and_saveexec_b32 s23, s73
; %bb.4015:                             ;   in Loop: Header=BB4_3436 Depth=3
	s_xor_b32 s16, exec_lo, -1
; %bb.4016:                             ;   in Loop: Header=BB4_3436 Depth=3
	s_or_b32 exec_lo, exec_lo, s23
	s_and_b32 s16, s16, exec_lo
	s_or_saveexec_b32 s22, s22
	v_mov_b32_e32 v23, 0x7f800001
	s_xor_b32 exec_lo, exec_lo, s22
	s_cbranch_execnz .LBB4_4715
.LBB4_4017:                             ;   in Loop: Header=BB4_3436 Depth=3
	s_or_b32 exec_lo, exec_lo, s22
	s_and_saveexec_b32 s22, s16
	s_cbranch_execz .LBB4_4019
.LBB4_4018:                             ;   in Loop: Header=BB4_3436 Depth=3
	v_and_b32_e32 v23, 7, v12
	v_bfe_u32 v106, v12, 3, 4
	v_lshlrev_b32_e32 v107, 24, v12
	v_ffbh_u32_e32 v104, v23
	v_cmp_eq_u32_e32 vcc_lo, 0, v106
	v_min_u32_e32 v104, 32, v104
	v_subrev_nc_u32_e32 v105, 28, v104
	v_sub_nc_u32_e32 v104, 29, v104
	v_lshlrev_b32_e32 v105, v105, v12
	v_cndmask_b32_e32 v104, v106, v104, vcc_lo
	v_and_b32_e32 v105, 7, v105
	v_lshl_add_u32 v104, v104, 23, 0x3b800000
	v_cndmask_b32_e32 v23, v23, v105, vcc_lo
	v_and_b32_e32 v105, 0x80000000, v107
	v_lshlrev_b32_e32 v23, 20, v23
	v_or3_b32 v23, v105, v104, v23
.LBB4_4019:                             ;   in Loop: Header=BB4_3436 Depth=3
	s_or_b32 exec_lo, exec_lo, s22
	s_waitcnt vmcnt(0)
	v_cmp_gt_i16_sdwa s22, v8, v117 src0_sel:BYTE_0 src1_sel:DWORD
	s_mov_b32 s16, 0
	s_and_saveexec_b32 s23, s22
	s_xor_b32 s22, exec_lo, s23
	s_cbranch_execz .LBB4_4716
; %bb.4020:                             ;   in Loop: Header=BB4_3436 Depth=3
	v_cmp_eq_u16_sdwa s73, v8, v118 src0_sel:BYTE_0 src1_sel:DWORD
	s_mov_b32 s16, -1
	s_and_saveexec_b32 s23, s73
; %bb.4021:                             ;   in Loop: Header=BB4_3436 Depth=3
	s_xor_b32 s16, exec_lo, -1
; %bb.4022:                             ;   in Loop: Header=BB4_3436 Depth=3
	s_or_b32 exec_lo, exec_lo, s23
	s_and_b32 s16, s16, exec_lo
	s_or_saveexec_b32 s22, s22
	v_mov_b32_e32 v104, 0x7f800001
	s_xor_b32 exec_lo, exec_lo, s22
	s_cbranch_execnz .LBB4_4717
.LBB4_4023:                             ;   in Loop: Header=BB4_3436 Depth=3
	s_or_b32 exec_lo, exec_lo, s22
	s_and_saveexec_b32 s22, s16
	s_cbranch_execz .LBB4_4025
.LBB4_4024:                             ;   in Loop: Header=BB4_3436 Depth=3
	v_and_b32_e32 v104, 7, v8
	v_bfe_u32 v107, v8, 3, 4
	v_lshlrev_b32_e32 v108, 24, v8
	v_ffbh_u32_e32 v105, v104
	v_cmp_eq_u32_e32 vcc_lo, 0, v107
	v_min_u32_e32 v105, 32, v105
	v_subrev_nc_u32_e32 v106, 28, v105
	v_sub_nc_u32_e32 v105, 29, v105
	v_lshlrev_b32_e32 v106, v106, v8
	v_cndmask_b32_e32 v105, v107, v105, vcc_lo
	v_and_b32_e32 v106, 7, v106
	v_lshl_add_u32 v105, v105, 23, 0x3b800000
	v_cndmask_b32_e32 v104, v104, v106, vcc_lo
	v_and_b32_e32 v106, 0x80000000, v108
	v_lshlrev_b32_e32 v104, 20, v104
	v_or3_b32 v104, v106, v105, v104
.LBB4_4025:                             ;   in Loop: Header=BB4_3436 Depth=3
	s_or_b32 exec_lo, exec_lo, s22
	v_max_f32_e32 v104, v104, v104
	v_max_f32_e32 v23, v23, v23
	s_mov_b32 s16, 0
	v_max_f32_e32 v104, v23, v104
.LBB4_4026:                             ;   in Loop: Header=BB4_3436 Depth=3
	s_and_b32 vcc_lo, exec_lo, s16
	s_cbranch_vccz .LBB4_4040
; %bb.4027:                             ;   in Loop: Header=BB4_3436 Depth=3
	v_cmp_gt_i16_sdwa s22, v12, v117 src0_sel:BYTE_0 src1_sel:DWORD
	s_mov_b32 s16, 0
	s_and_saveexec_b32 s23, s22
	s_xor_b32 s22, exec_lo, s23
	s_cbranch_execz .LBB4_4718
; %bb.4028:                             ;   in Loop: Header=BB4_3436 Depth=3
	v_cmp_eq_u16_sdwa s73, v12, v118 src0_sel:BYTE_0 src1_sel:DWORD
	s_mov_b32 s16, -1
	s_and_saveexec_b32 s23, s73
; %bb.4029:                             ;   in Loop: Header=BB4_3436 Depth=3
	s_xor_b32 s16, exec_lo, -1
; %bb.4030:                             ;   in Loop: Header=BB4_3436 Depth=3
	s_or_b32 exec_lo, exec_lo, s23
	s_and_b32 s16, s16, exec_lo
	s_or_saveexec_b32 s22, s22
	v_mov_b32_e32 v23, 0x7f800001
	s_xor_b32 exec_lo, exec_lo, s22
	s_cbranch_execnz .LBB4_4719
.LBB4_4031:                             ;   in Loop: Header=BB4_3436 Depth=3
	s_or_b32 exec_lo, exec_lo, s22
	s_and_saveexec_b32 s22, s16
	s_cbranch_execz .LBB4_4033
.LBB4_4032:                             ;   in Loop: Header=BB4_3436 Depth=3
	v_and_b32_e32 v23, 7, v12
	v_bfe_u32 v106, v12, 3, 4
	v_lshlrev_b32_e32 v107, 24, v12
	v_ffbh_u32_e32 v104, v23
	v_cmp_eq_u32_e32 vcc_lo, 0, v106
	v_min_u32_e32 v104, 32, v104
	v_subrev_nc_u32_e32 v105, 28, v104
	v_sub_nc_u32_e32 v104, 29, v104
	v_lshlrev_b32_e32 v105, v105, v12
	v_cndmask_b32_e32 v104, v106, v104, vcc_lo
	v_and_b32_e32 v105, 7, v105
	v_lshl_add_u32 v104, v104, 23, 0x3b800000
	v_cndmask_b32_e32 v23, v23, v105, vcc_lo
	v_and_b32_e32 v105, 0x80000000, v107
	v_lshlrev_b32_e32 v23, 20, v23
	v_or3_b32 v23, v105, v104, v23
.LBB4_4033:                             ;   in Loop: Header=BB4_3436 Depth=3
	s_or_b32 exec_lo, exec_lo, s22
	s_waitcnt vmcnt(0)
	v_cmp_gt_i16_sdwa s22, v8, v117 src0_sel:BYTE_0 src1_sel:DWORD
	s_mov_b32 s16, 0
	s_and_saveexec_b32 s23, s22
	s_xor_b32 s22, exec_lo, s23
	s_cbranch_execz .LBB4_4720
; %bb.4034:                             ;   in Loop: Header=BB4_3436 Depth=3
	v_cmp_eq_u16_sdwa s73, v8, v118 src0_sel:BYTE_0 src1_sel:DWORD
	s_mov_b32 s16, -1
	s_and_saveexec_b32 s23, s73
; %bb.4035:                             ;   in Loop: Header=BB4_3436 Depth=3
	s_xor_b32 s16, exec_lo, -1
; %bb.4036:                             ;   in Loop: Header=BB4_3436 Depth=3
	s_or_b32 exec_lo, exec_lo, s23
	s_and_b32 s16, s16, exec_lo
	s_or_saveexec_b32 s22, s22
	v_mov_b32_e32 v104, 0x7f800001
	s_xor_b32 exec_lo, exec_lo, s22
	s_cbranch_execnz .LBB4_4721
.LBB4_4037:                             ;   in Loop: Header=BB4_3436 Depth=3
	s_or_b32 exec_lo, exec_lo, s22
	s_and_saveexec_b32 s22, s16
	s_cbranch_execz .LBB4_4039
.LBB4_4038:                             ;   in Loop: Header=BB4_3436 Depth=3
	v_and_b32_e32 v104, 7, v8
	v_bfe_u32 v107, v8, 3, 4
	v_lshlrev_b32_e32 v108, 24, v8
	v_ffbh_u32_e32 v105, v104
	v_cmp_eq_u32_e32 vcc_lo, 0, v107
	v_min_u32_e32 v105, 32, v105
	v_subrev_nc_u32_e32 v106, 28, v105
	v_sub_nc_u32_e32 v105, 29, v105
	v_lshlrev_b32_e32 v106, v106, v8
	v_cndmask_b32_e32 v105, v107, v105, vcc_lo
	v_and_b32_e32 v106, 7, v106
	v_lshl_add_u32 v105, v105, 23, 0x3b800000
	v_cndmask_b32_e32 v104, v104, v106, vcc_lo
	v_and_b32_e32 v106, 0x80000000, v108
	v_lshlrev_b32_e32 v104, 20, v104
	v_or3_b32 v104, v106, v105, v104
.LBB4_4039:                             ;   in Loop: Header=BB4_3436 Depth=3
	s_or_b32 exec_lo, exec_lo, s22
	v_max_f32_e32 v104, v104, v104
	v_max_f32_e32 v23, v23, v23
	v_min_f32_e32 v104, v23, v104
.LBB4_4040:                             ;   in Loop: Header=BB4_3436 Depth=3
	v_and_b32_e32 v23, 0x7f800000, v104
	v_cmp_ne_u32_e32 vcc_lo, 0x7f800000, v23
	v_mov_b32_e32 v23, 0x80
	s_and_saveexec_b32 s22, vcc_lo
	s_cbranch_execz .LBB4_4048
; %bb.4041:                             ;   in Loop: Header=BB4_3436 Depth=3
	v_mov_b32_e32 v23, 0
	s_mov_b32 s23, exec_lo
	v_cmpx_ne_u32_e32 0, v104
	s_cbranch_execz .LBB4_4047
; %bb.4042:                             ;   in Loop: Header=BB4_3436 Depth=3
	v_bfe_u32 v23, v104, 23, 8
	v_and_b32_e32 v105, 0x7fffff, v104
	v_sub_nc_u32_e32 v106, 0x78, v23
	v_cmp_gt_u32_e32 vcc_lo, 0x79, v23
	v_or_b32_e32 v107, 0x800000, v105
	v_cndmask_b32_e32 v106, 0, v106, vcc_lo
	v_cmp_eq_u32_e32 vcc_lo, 0, v23
	v_add_nc_u32_e32 v23, 0xffffff89, v23
	v_cndmask_b32_e64 v106, v106, 0x77, vcc_lo
	v_cndmask_b32_e32 v105, v107, v105, vcc_lo
	v_cndmask_b32_e64 v23, v23, 0xffffff8a, vcc_lo
	v_lshl_add_u32 v107, 0x100000, v106, -1
	v_lshrrev_b32_e32 v108, v106, v105
	v_lshlrev_b32_e64 v110, v106, 0x80000
	v_add_nc_u32_e32 v106, v106, v23
	v_and_b32_e32 v105, v107, v105
	v_bfe_u32 v109, v108, 20, 1
	v_cmp_eq_u32_e64 s16, v105, v110
	v_add_nc_u32_e32 v107, -1, v109
	v_cndmask_b32_e64 v105, 0, v107, s16
	v_lshrrev_b32_e32 v107, 23, v108
	s_mov_b32 s16, exec_lo
	v_add_nc_u32_e32 v105, v105, v108
	v_xor_b32_e32 v107, 1, v107
	v_and_b32_e32 v23, 0xfffff, v105
	v_add_nc_u32_e32 v105, v23, v108
                                        ; implicit-def: $vgpr23
	v_cmpx_ne_u32_e64 v106, v107
	s_xor_b32 s16, exec_lo, s16
; %bb.4043:                             ;   in Loop: Header=BB4_3436 Depth=3
	v_cmp_lt_u32_e32 vcc_lo, 0xffffff, v105
	v_sub_nc_u32_e32 v23, v106, v107
	v_cndmask_b32_e64 v106, 0, 1, vcc_lo
	v_add_co_ci_u32_e64 v23, null, 0, v23, vcc_lo
	v_lshrrev_b32_e32 v105, v106, v105
; %bb.4044:                             ;   in Loop: Header=BB4_3436 Depth=3
	s_andn2_saveexec_b32 s16, s16
; %bb.4045:                             ;   in Loop: Header=BB4_3436 Depth=3
	v_bfe_u32 v23, v105, 23, 1
; %bb.4046:                             ;   in Loop: Header=BB4_3436 Depth=3
	s_or_b32 exec_lo, exec_lo, s16
	v_lshrrev_b32_e32 v105, 20, v105
	v_min_i32_e32 v106, 15, v23
	v_cmp_gt_i32_e32 vcc_lo, 16, v23
	v_and_b32_sdwa v104, v104, v118 dst_sel:DWORD dst_unused:UNUSED_PAD src0_sel:BYTE_3 src1_sel:DWORD
	v_lshlrev_b32_e32 v106, 3, v106
	v_cndmask_b32_e32 v105, 7, v105, vcc_lo
	v_and_b32_e32 v106, 0xf8, v106
	v_and_b32_e32 v107, 7, v105
	v_or_b32_e32 v23, v23, v105
	v_or3_b32 v104, v106, v104, v107
	v_cmp_ne_u32_e32 vcc_lo, 0, v23
	v_cndmask_b32_e32 v23, 0, v104, vcc_lo
.LBB4_4047:                             ;   in Loop: Header=BB4_3436 Depth=3
	s_or_b32 exec_lo, exec_lo, s23
.LBB4_4048:                             ;   in Loop: Header=BB4_3436 Depth=3
	s_or_b32 exec_lo, exec_lo, s22
	v_cmp_gt_i16_sdwa s22, v12, v117 src0_sel:BYTE_1 src1_sel:DWORD
	s_andn2_b32 vcc_lo, exec_lo, s19
	s_mov_b32 s16, -1
                                        ; implicit-def: $vgpr105
	s_cbranch_vccnz .LBB4_4062
; %bb.4049:                             ;   in Loop: Header=BB4_3436 Depth=3
	s_mov_b32 s16, 0
	s_and_saveexec_b32 s23, s22
	s_xor_b32 s22, exec_lo, s23
	s_cbranch_execz .LBB4_4722
; %bb.4050:                             ;   in Loop: Header=BB4_3436 Depth=3
	v_cmp_eq_u16_sdwa s73, v12, v118 src0_sel:BYTE_1 src1_sel:DWORD
	s_mov_b32 s16, -1
	s_and_saveexec_b32 s23, s73
; %bb.4051:                             ;   in Loop: Header=BB4_3436 Depth=3
	s_xor_b32 s16, exec_lo, -1
; %bb.4052:                             ;   in Loop: Header=BB4_3436 Depth=3
	s_or_b32 exec_lo, exec_lo, s23
	s_and_b32 s16, s16, exec_lo
	s_or_saveexec_b32 s22, s22
	v_mov_b32_e32 v104, 0x7f800001
	s_xor_b32 exec_lo, exec_lo, s22
	s_cbranch_execnz .LBB4_4723
.LBB4_4053:                             ;   in Loop: Header=BB4_3436 Depth=3
	s_or_b32 exec_lo, exec_lo, s22
	s_and_saveexec_b32 s22, s16
	s_cbranch_execz .LBB4_4055
.LBB4_4054:                             ;   in Loop: Header=BB4_3436 Depth=3
	v_and_b32_sdwa v104, v119, v12 dst_sel:DWORD dst_unused:UNUSED_PAD src0_sel:DWORD src1_sel:BYTE_1
	v_and_b32_e32 v105, 7, v104
	v_bfe_u32 v108, v104, 3, 4
	v_ffbh_u32_e32 v106, v105
	v_cmp_eq_u32_e32 vcc_lo, 0, v108
	v_min_u32_e32 v106, 32, v106
	v_subrev_nc_u32_e32 v107, 28, v106
	v_sub_nc_u32_e32 v106, 29, v106
	v_lshlrev_b32_e32 v104, v107, v104
	v_lshlrev_b32_e32 v107, 16, v12
	v_cndmask_b32_e32 v106, v108, v106, vcc_lo
	v_and_b32_e32 v104, 7, v104
	v_lshl_add_u32 v106, v106, 23, 0x3b800000
	v_cndmask_b32_e32 v104, v105, v104, vcc_lo
	v_and_b32_e32 v105, 0x80000000, v107
	v_lshlrev_b32_e32 v104, 20, v104
	v_or3_b32 v104, v105, v106, v104
.LBB4_4055:                             ;   in Loop: Header=BB4_3436 Depth=3
	s_or_b32 exec_lo, exec_lo, s22
	s_waitcnt vmcnt(0)
	v_cmp_gt_i16_sdwa s22, v8, v117 src0_sel:BYTE_1 src1_sel:DWORD
	s_mov_b32 s16, 0
	s_and_saveexec_b32 s23, s22
	s_xor_b32 s22, exec_lo, s23
	s_cbranch_execz .LBB4_4724
; %bb.4056:                             ;   in Loop: Header=BB4_3436 Depth=3
	v_cmp_eq_u16_sdwa s73, v8, v118 src0_sel:BYTE_1 src1_sel:DWORD
	s_mov_b32 s16, -1
	s_and_saveexec_b32 s23, s73
; %bb.4057:                             ;   in Loop: Header=BB4_3436 Depth=3
	s_xor_b32 s16, exec_lo, -1
; %bb.4058:                             ;   in Loop: Header=BB4_3436 Depth=3
	s_or_b32 exec_lo, exec_lo, s23
	s_and_b32 s16, s16, exec_lo
	s_or_saveexec_b32 s22, s22
	v_mov_b32_e32 v105, 0x7f800001
	s_xor_b32 exec_lo, exec_lo, s22
	s_cbranch_execnz .LBB4_4725
.LBB4_4059:                             ;   in Loop: Header=BB4_3436 Depth=3
	s_or_b32 exec_lo, exec_lo, s22
	s_and_saveexec_b32 s22, s16
	s_cbranch_execz .LBB4_4061
.LBB4_4060:                             ;   in Loop: Header=BB4_3436 Depth=3
	v_and_b32_sdwa v105, v119, v8 dst_sel:DWORD dst_unused:UNUSED_PAD src0_sel:DWORD src1_sel:BYTE_1
	v_and_b32_e32 v106, 7, v105
	v_bfe_u32 v109, v105, 3, 4
	v_ffbh_u32_e32 v107, v106
	v_cmp_eq_u32_e32 vcc_lo, 0, v109
	v_min_u32_e32 v107, 32, v107
	v_subrev_nc_u32_e32 v108, 28, v107
	v_sub_nc_u32_e32 v107, 29, v107
	v_lshlrev_b32_e32 v105, v108, v105
	v_lshlrev_b32_e32 v108, 16, v8
	v_cndmask_b32_e32 v107, v109, v107, vcc_lo
	v_and_b32_e32 v105, 7, v105
	v_lshl_add_u32 v107, v107, 23, 0x3b800000
	v_cndmask_b32_e32 v105, v106, v105, vcc_lo
	v_and_b32_e32 v106, 0x80000000, v108
	v_lshlrev_b32_e32 v105, 20, v105
	v_or3_b32 v105, v106, v107, v105
.LBB4_4061:                             ;   in Loop: Header=BB4_3436 Depth=3
	s_or_b32 exec_lo, exec_lo, s22
	v_max_f32_e32 v105, v105, v105
	v_max_f32_e32 v104, v104, v104
	s_mov_b32 s16, 0
	v_max_f32_e32 v105, v104, v105
.LBB4_4062:                             ;   in Loop: Header=BB4_3436 Depth=3
	s_and_b32 vcc_lo, exec_lo, s16
	s_cbranch_vccz .LBB4_4076
; %bb.4063:                             ;   in Loop: Header=BB4_3436 Depth=3
	v_cmp_gt_i16_sdwa s22, v12, v117 src0_sel:BYTE_1 src1_sel:DWORD
	s_mov_b32 s16, 0
	s_and_saveexec_b32 s23, s22
	s_xor_b32 s22, exec_lo, s23
	s_cbranch_execz .LBB4_4726
; %bb.4064:                             ;   in Loop: Header=BB4_3436 Depth=3
	v_cmp_eq_u16_sdwa s73, v12, v118 src0_sel:BYTE_1 src1_sel:DWORD
	s_mov_b32 s16, -1
	s_and_saveexec_b32 s23, s73
; %bb.4065:                             ;   in Loop: Header=BB4_3436 Depth=3
	s_xor_b32 s16, exec_lo, -1
; %bb.4066:                             ;   in Loop: Header=BB4_3436 Depth=3
	s_or_b32 exec_lo, exec_lo, s23
	s_and_b32 s16, s16, exec_lo
	s_or_saveexec_b32 s22, s22
	v_mov_b32_e32 v104, 0x7f800001
	s_xor_b32 exec_lo, exec_lo, s22
	s_cbranch_execnz .LBB4_4727
.LBB4_4067:                             ;   in Loop: Header=BB4_3436 Depth=3
	s_or_b32 exec_lo, exec_lo, s22
	s_and_saveexec_b32 s22, s16
	s_cbranch_execz .LBB4_4069
.LBB4_4068:                             ;   in Loop: Header=BB4_3436 Depth=3
	v_and_b32_sdwa v104, v119, v12 dst_sel:DWORD dst_unused:UNUSED_PAD src0_sel:DWORD src1_sel:BYTE_1
	v_and_b32_e32 v105, 7, v104
	v_bfe_u32 v108, v104, 3, 4
	v_ffbh_u32_e32 v106, v105
	v_cmp_eq_u32_e32 vcc_lo, 0, v108
	v_min_u32_e32 v106, 32, v106
	v_subrev_nc_u32_e32 v107, 28, v106
	v_sub_nc_u32_e32 v106, 29, v106
	v_lshlrev_b32_e32 v104, v107, v104
	v_lshlrev_b32_e32 v107, 16, v12
	v_cndmask_b32_e32 v106, v108, v106, vcc_lo
	v_and_b32_e32 v104, 7, v104
	v_lshl_add_u32 v106, v106, 23, 0x3b800000
	v_cndmask_b32_e32 v104, v105, v104, vcc_lo
	v_and_b32_e32 v105, 0x80000000, v107
	v_lshlrev_b32_e32 v104, 20, v104
	v_or3_b32 v104, v105, v106, v104
.LBB4_4069:                             ;   in Loop: Header=BB4_3436 Depth=3
	s_or_b32 exec_lo, exec_lo, s22
	s_waitcnt vmcnt(0)
	v_cmp_gt_i16_sdwa s22, v8, v117 src0_sel:BYTE_1 src1_sel:DWORD
	s_mov_b32 s16, 0
	s_and_saveexec_b32 s23, s22
	s_xor_b32 s22, exec_lo, s23
	s_cbranch_execz .LBB4_4728
; %bb.4070:                             ;   in Loop: Header=BB4_3436 Depth=3
	v_cmp_eq_u16_sdwa s73, v8, v118 src0_sel:BYTE_1 src1_sel:DWORD
	s_mov_b32 s16, -1
	s_and_saveexec_b32 s23, s73
; %bb.4071:                             ;   in Loop: Header=BB4_3436 Depth=3
	s_xor_b32 s16, exec_lo, -1
; %bb.4072:                             ;   in Loop: Header=BB4_3436 Depth=3
	s_or_b32 exec_lo, exec_lo, s23
	s_and_b32 s16, s16, exec_lo
	s_or_saveexec_b32 s22, s22
	v_mov_b32_e32 v105, 0x7f800001
	s_xor_b32 exec_lo, exec_lo, s22
	s_cbranch_execnz .LBB4_4729
.LBB4_4073:                             ;   in Loop: Header=BB4_3436 Depth=3
	s_or_b32 exec_lo, exec_lo, s22
	s_and_saveexec_b32 s22, s16
	s_cbranch_execz .LBB4_4075
.LBB4_4074:                             ;   in Loop: Header=BB4_3436 Depth=3
	v_and_b32_sdwa v105, v119, v8 dst_sel:DWORD dst_unused:UNUSED_PAD src0_sel:DWORD src1_sel:BYTE_1
	v_and_b32_e32 v106, 7, v105
	v_bfe_u32 v109, v105, 3, 4
	v_ffbh_u32_e32 v107, v106
	v_cmp_eq_u32_e32 vcc_lo, 0, v109
	v_min_u32_e32 v107, 32, v107
	v_subrev_nc_u32_e32 v108, 28, v107
	v_sub_nc_u32_e32 v107, 29, v107
	v_lshlrev_b32_e32 v105, v108, v105
	v_lshlrev_b32_e32 v108, 16, v8
	v_cndmask_b32_e32 v107, v109, v107, vcc_lo
	v_and_b32_e32 v105, 7, v105
	v_lshl_add_u32 v107, v107, 23, 0x3b800000
	v_cndmask_b32_e32 v105, v106, v105, vcc_lo
	v_and_b32_e32 v106, 0x80000000, v108
	v_lshlrev_b32_e32 v105, 20, v105
	v_or3_b32 v105, v106, v107, v105
.LBB4_4075:                             ;   in Loop: Header=BB4_3436 Depth=3
	s_or_b32 exec_lo, exec_lo, s22
	v_max_f32_e32 v105, v105, v105
	v_max_f32_e32 v104, v104, v104
	v_min_f32_e32 v105, v104, v105
.LBB4_4076:                             ;   in Loop: Header=BB4_3436 Depth=3
	v_and_b32_e32 v104, 0x7f800000, v105
	v_cmp_ne_u32_e32 vcc_lo, 0x7f800000, v104
	v_mov_b32_e32 v104, 0x8000
	s_and_saveexec_b32 s22, vcc_lo
	s_cbranch_execz .LBB4_4084
; %bb.4077:                             ;   in Loop: Header=BB4_3436 Depth=3
	v_mov_b32_e32 v104, 0
	s_mov_b32 s23, exec_lo
	v_cmpx_ne_u32_e32 0, v105
	s_cbranch_execz .LBB4_4083
; %bb.4078:                             ;   in Loop: Header=BB4_3436 Depth=3
	v_bfe_u32 v104, v105, 23, 8
	v_and_b32_e32 v106, 0x7fffff, v105
	v_sub_nc_u32_e32 v107, 0x78, v104
	v_cmp_gt_u32_e32 vcc_lo, 0x79, v104
	v_or_b32_e32 v108, 0x800000, v106
	v_cndmask_b32_e32 v107, 0, v107, vcc_lo
	v_cmp_eq_u32_e32 vcc_lo, 0, v104
	v_add_nc_u32_e32 v104, 0xffffff89, v104
	v_cndmask_b32_e64 v107, v107, 0x77, vcc_lo
	v_cndmask_b32_e32 v106, v108, v106, vcc_lo
	v_cndmask_b32_e64 v104, v104, 0xffffff8a, vcc_lo
	v_lshl_add_u32 v108, 0x100000, v107, -1
	v_lshrrev_b32_e32 v109, v107, v106
	v_lshlrev_b32_e64 v111, v107, 0x80000
	v_add_nc_u32_e32 v107, v107, v104
	v_and_b32_e32 v106, v108, v106
	v_bfe_u32 v110, v109, 20, 1
	v_cmp_eq_u32_e64 s16, v106, v111
	v_add_nc_u32_e32 v108, -1, v110
	v_cndmask_b32_e64 v106, 0, v108, s16
	v_lshrrev_b32_e32 v108, 23, v109
	s_mov_b32 s16, exec_lo
	v_add_nc_u32_e32 v106, v106, v109
	v_xor_b32_e32 v108, 1, v108
	v_and_b32_e32 v104, 0xfffff, v106
	v_add_nc_u32_e32 v106, v104, v109
                                        ; implicit-def: $vgpr104
	v_cmpx_ne_u32_e64 v107, v108
	s_xor_b32 s16, exec_lo, s16
; %bb.4079:                             ;   in Loop: Header=BB4_3436 Depth=3
	v_cmp_lt_u32_e32 vcc_lo, 0xffffff, v106
	v_sub_nc_u32_e32 v104, v107, v108
	v_cndmask_b32_e64 v107, 0, 1, vcc_lo
	v_add_co_ci_u32_e64 v104, null, 0, v104, vcc_lo
	v_lshrrev_b32_e32 v106, v107, v106
; %bb.4080:                             ;   in Loop: Header=BB4_3436 Depth=3
	s_andn2_saveexec_b32 s16, s16
; %bb.4081:                             ;   in Loop: Header=BB4_3436 Depth=3
	v_bfe_u32 v104, v106, 23, 1
; %bb.4082:                             ;   in Loop: Header=BB4_3436 Depth=3
	s_or_b32 exec_lo, exec_lo, s16
	v_lshrrev_b32_e32 v106, 20, v106
	v_min_i32_e32 v107, 15, v104
	v_cmp_gt_i32_e32 vcc_lo, 16, v104
	v_and_b32_sdwa v105, v105, v118 dst_sel:DWORD dst_unused:UNUSED_PAD src0_sel:BYTE_3 src1_sel:DWORD
	v_lshlrev_b32_e32 v107, 3, v107
	v_cndmask_b32_e32 v106, 7, v106, vcc_lo
	v_and_b32_e32 v107, 0xf8, v107
	v_and_b32_e32 v108, 7, v106
	v_or_b32_e32 v104, v104, v106
	v_or3_b32 v105, v105, v107, v108
	v_cmp_ne_u32_e32 vcc_lo, 0, v104
	v_lshlrev_b32_e32 v105, 8, v105
	v_cndmask_b32_e32 v104, 0, v105, vcc_lo
.LBB4_4083:                             ;   in Loop: Header=BB4_3436 Depth=3
	s_or_b32 exec_lo, exec_lo, s23
.LBB4_4084:                             ;   in Loop: Header=BB4_3436 Depth=3
	s_or_b32 exec_lo, exec_lo, s22
	v_and_b32_sdwa v105, v12, v40 dst_sel:DWORD dst_unused:UNUSED_PAD src0_sel:WORD_1 src1_sel:DWORD
	s_andn2_b32 vcc_lo, exec_lo, s19
	s_mov_b32 s22, -1
                                        ; implicit-def: $vgpr106
	v_cmp_lt_i16_e64 s16, 0x7f, v105
	s_cbranch_vccnz .LBB4_4098
; %bb.4085:                             ;   in Loop: Header=BB4_3436 Depth=3
	s_mov_b32 s22, 0
	s_and_saveexec_b32 s23, s16
	s_xor_b32 s16, exec_lo, s23
	s_cbranch_execz .LBB4_4730
; %bb.4086:                             ;   in Loop: Header=BB4_3436 Depth=3
	s_mov_b32 s22, -1
	s_mov_b32 s23, exec_lo
	v_cmpx_eq_u16_e32 0x80, v105
; %bb.4087:                             ;   in Loop: Header=BB4_3436 Depth=3
	s_xor_b32 s22, exec_lo, -1
; %bb.4088:                             ;   in Loop: Header=BB4_3436 Depth=3
	s_or_b32 exec_lo, exec_lo, s23
	s_and_b32 s22, s22, exec_lo
	s_or_saveexec_b32 s16, s16
	v_mov_b32_e32 v106, 0x7f800001
	s_xor_b32 exec_lo, exec_lo, s16
	s_cbranch_execnz .LBB4_4731
.LBB4_4089:                             ;   in Loop: Header=BB4_3436 Depth=3
	s_or_b32 exec_lo, exec_lo, s16
	s_and_saveexec_b32 s16, s22
	s_cbranch_execz .LBB4_4091
.LBB4_4090:                             ;   in Loop: Header=BB4_3436 Depth=3
	v_bfe_u32 v106, v12, 16, 3
	v_bfe_u32 v109, v12, 19, 4
	v_lshlrev_b32_sdwa v110, v41, v12 dst_sel:DWORD dst_unused:UNUSED_PAD src0_sel:DWORD src1_sel:WORD_1
	v_ffbh_u32_e32 v107, v106
	v_cmp_eq_u32_e32 vcc_lo, 0, v109
	v_min_u32_e32 v107, 32, v107
	v_subrev_nc_u32_e32 v108, 28, v107
	v_sub_nc_u32_e32 v107, 29, v107
	v_lshlrev_b32_sdwa v108, v108, v12 dst_sel:DWORD dst_unused:UNUSED_PAD src0_sel:DWORD src1_sel:WORD_1
	v_cndmask_b32_e32 v107, v109, v107, vcc_lo
	v_and_b32_e32 v108, 7, v108
	v_lshl_add_u32 v107, v107, 23, 0x3b800000
	v_cndmask_b32_e32 v106, v106, v108, vcc_lo
	v_and_b32_e32 v108, 0x80000000, v110
	v_lshlrev_b32_e32 v106, 20, v106
	v_or3_b32 v106, v108, v107, v106
.LBB4_4091:                             ;   in Loop: Header=BB4_3436 Depth=3
	s_or_b32 exec_lo, exec_lo, s16
	s_waitcnt vmcnt(0)
	v_and_b32_sdwa v108, v8, v40 dst_sel:DWORD dst_unused:UNUSED_PAD src0_sel:WORD_1 src1_sel:DWORD
	s_mov_b32 s16, 0
	s_mov_b32 s22, exec_lo
	v_cmpx_lt_i16_e32 0x7f, v108
	s_xor_b32 s22, exec_lo, s22
	s_cbranch_execz .LBB4_4732
; %bb.4092:                             ;   in Loop: Header=BB4_3436 Depth=3
	s_mov_b32 s16, -1
	s_mov_b32 s23, exec_lo
	v_cmpx_eq_u16_e32 0x80, v108
; %bb.4093:                             ;   in Loop: Header=BB4_3436 Depth=3
	s_xor_b32 s16, exec_lo, -1
; %bb.4094:                             ;   in Loop: Header=BB4_3436 Depth=3
	s_or_b32 exec_lo, exec_lo, s23
	s_and_b32 s16, s16, exec_lo
                                        ; implicit-def: $vgpr108
	s_or_saveexec_b32 s22, s22
	v_mov_b32_e32 v107, 0x7f800001
	s_xor_b32 exec_lo, exec_lo, s22
	s_cbranch_execnz .LBB4_4733
.LBB4_4095:                             ;   in Loop: Header=BB4_3436 Depth=3
	s_or_b32 exec_lo, exec_lo, s22
	s_and_saveexec_b32 s22, s16
	s_cbranch_execz .LBB4_4097
.LBB4_4096:                             ;   in Loop: Header=BB4_3436 Depth=3
	v_bfe_u32 v107, v8, 16, 3
	v_bfe_u32 v110, v8, 19, 4
	v_lshlrev_b32_sdwa v111, v41, v8 dst_sel:DWORD dst_unused:UNUSED_PAD src0_sel:DWORD src1_sel:WORD_1
	v_ffbh_u32_e32 v108, v107
	v_cmp_eq_u32_e32 vcc_lo, 0, v110
	v_min_u32_e32 v108, 32, v108
	v_subrev_nc_u32_e32 v109, 28, v108
	v_sub_nc_u32_e32 v108, 29, v108
	v_lshlrev_b32_sdwa v109, v109, v8 dst_sel:DWORD dst_unused:UNUSED_PAD src0_sel:DWORD src1_sel:WORD_1
	v_cndmask_b32_e32 v108, v110, v108, vcc_lo
	v_and_b32_e32 v109, 7, v109
	v_lshl_add_u32 v108, v108, 23, 0x3b800000
	v_cndmask_b32_e32 v107, v107, v109, vcc_lo
	v_and_b32_e32 v109, 0x80000000, v111
	v_lshlrev_b32_e32 v107, 20, v107
	v_or3_b32 v107, v109, v108, v107
.LBB4_4097:                             ;   in Loop: Header=BB4_3436 Depth=3
	s_or_b32 exec_lo, exec_lo, s22
	v_max_f32_e32 v107, v107, v107
	v_max_f32_e32 v106, v106, v106
	s_mov_b32 s22, 0
	v_max_f32_e32 v106, v106, v107
.LBB4_4098:                             ;   in Loop: Header=BB4_3436 Depth=3
	s_and_b32 vcc_lo, exec_lo, s22
	s_cbranch_vccz .LBB4_4112
; %bb.4099:                             ;   in Loop: Header=BB4_3436 Depth=3
	s_mov_b32 s16, 0
	s_mov_b32 s22, exec_lo
	v_cmpx_lt_i16_e32 0x7f, v105
	s_xor_b32 s22, exec_lo, s22
	s_cbranch_execz .LBB4_4734
; %bb.4100:                             ;   in Loop: Header=BB4_3436 Depth=3
	s_mov_b32 s16, -1
	s_mov_b32 s23, exec_lo
	v_cmpx_eq_u16_e32 0x80, v105
; %bb.4101:                             ;   in Loop: Header=BB4_3436 Depth=3
	s_xor_b32 s16, exec_lo, -1
; %bb.4102:                             ;   in Loop: Header=BB4_3436 Depth=3
	s_or_b32 exec_lo, exec_lo, s23
	s_and_b32 s16, s16, exec_lo
                                        ; implicit-def: $vgpr105
	s_or_saveexec_b32 s22, s22
	v_mov_b32_e32 v106, 0x7f800001
	s_xor_b32 exec_lo, exec_lo, s22
	s_cbranch_execnz .LBB4_4735
.LBB4_4103:                             ;   in Loop: Header=BB4_3436 Depth=3
	s_or_b32 exec_lo, exec_lo, s22
	s_and_saveexec_b32 s22, s16
	s_cbranch_execz .LBB4_4105
.LBB4_4104:                             ;   in Loop: Header=BB4_3436 Depth=3
	v_bfe_u32 v105, v12, 16, 3
	v_bfe_u32 v108, v12, 19, 4
	v_lshlrev_b32_sdwa v109, v41, v12 dst_sel:DWORD dst_unused:UNUSED_PAD src0_sel:DWORD src1_sel:WORD_1
	v_ffbh_u32_e32 v106, v105
	v_cmp_eq_u32_e32 vcc_lo, 0, v108
	v_min_u32_e32 v106, 32, v106
	v_subrev_nc_u32_e32 v107, 28, v106
	v_sub_nc_u32_e32 v106, 29, v106
	v_lshlrev_b32_sdwa v107, v107, v12 dst_sel:DWORD dst_unused:UNUSED_PAD src0_sel:DWORD src1_sel:WORD_1
	v_cndmask_b32_e32 v106, v108, v106, vcc_lo
	v_and_b32_e32 v107, 7, v107
	v_lshl_add_u32 v106, v106, 23, 0x3b800000
	v_cndmask_b32_e32 v105, v105, v107, vcc_lo
	v_and_b32_e32 v107, 0x80000000, v109
	v_lshlrev_b32_e32 v105, 20, v105
	v_or3_b32 v106, v107, v106, v105
.LBB4_4105:                             ;   in Loop: Header=BB4_3436 Depth=3
	s_or_b32 exec_lo, exec_lo, s22
	s_waitcnt vmcnt(0)
	v_and_b32_sdwa v107, v8, v40 dst_sel:DWORD dst_unused:UNUSED_PAD src0_sel:WORD_1 src1_sel:DWORD
	s_mov_b32 s16, 0
	s_mov_b32 s22, exec_lo
	v_cmpx_lt_i16_e32 0x7f, v107
	s_xor_b32 s22, exec_lo, s22
	s_cbranch_execz .LBB4_4736
; %bb.4106:                             ;   in Loop: Header=BB4_3436 Depth=3
	s_mov_b32 s16, -1
	s_mov_b32 s23, exec_lo
	v_cmpx_eq_u16_e32 0x80, v107
; %bb.4107:                             ;   in Loop: Header=BB4_3436 Depth=3
	s_xor_b32 s16, exec_lo, -1
; %bb.4108:                             ;   in Loop: Header=BB4_3436 Depth=3
	s_or_b32 exec_lo, exec_lo, s23
	s_and_b32 s16, s16, exec_lo
                                        ; implicit-def: $vgpr107
	s_or_saveexec_b32 s22, s22
	v_mov_b32_e32 v105, 0x7f800001
	s_xor_b32 exec_lo, exec_lo, s22
	s_cbranch_execnz .LBB4_4737
.LBB4_4109:                             ;   in Loop: Header=BB4_3436 Depth=3
	s_or_b32 exec_lo, exec_lo, s22
	s_and_saveexec_b32 s22, s16
	s_cbranch_execz .LBB4_4111
.LBB4_4110:                             ;   in Loop: Header=BB4_3436 Depth=3
	v_bfe_u32 v105, v8, 16, 3
	v_bfe_u32 v109, v8, 19, 4
	v_lshlrev_b32_sdwa v110, v41, v8 dst_sel:DWORD dst_unused:UNUSED_PAD src0_sel:DWORD src1_sel:WORD_1
	v_ffbh_u32_e32 v107, v105
	v_cmp_eq_u32_e32 vcc_lo, 0, v109
	v_min_u32_e32 v107, 32, v107
	v_subrev_nc_u32_e32 v108, 28, v107
	v_sub_nc_u32_e32 v107, 29, v107
	v_lshlrev_b32_sdwa v108, v108, v8 dst_sel:DWORD dst_unused:UNUSED_PAD src0_sel:DWORD src1_sel:WORD_1
	v_cndmask_b32_e32 v107, v109, v107, vcc_lo
	v_and_b32_e32 v108, 7, v108
	v_lshl_add_u32 v107, v107, 23, 0x3b800000
	v_cndmask_b32_e32 v105, v105, v108, vcc_lo
	v_and_b32_e32 v108, 0x80000000, v110
	v_lshlrev_b32_e32 v105, 20, v105
	v_or3_b32 v105, v108, v107, v105
.LBB4_4111:                             ;   in Loop: Header=BB4_3436 Depth=3
	s_or_b32 exec_lo, exec_lo, s22
	v_max_f32_e32 v105, v105, v105
	v_max_f32_e32 v106, v106, v106
	v_min_f32_e32 v106, v106, v105
.LBB4_4112:                             ;   in Loop: Header=BB4_3436 Depth=3
	v_and_b32_e32 v105, 0x7f800000, v106
	v_cmp_ne_u32_e32 vcc_lo, 0x7f800000, v105
	v_mov_b32_e32 v105, 0x80
	s_and_saveexec_b32 s22, vcc_lo
	s_cbranch_execz .LBB4_4120
; %bb.4113:                             ;   in Loop: Header=BB4_3436 Depth=3
	v_mov_b32_e32 v105, 0
	s_mov_b32 s23, exec_lo
	v_cmpx_ne_u32_e32 0, v106
	s_cbranch_execz .LBB4_4119
; %bb.4114:                             ;   in Loop: Header=BB4_3436 Depth=3
	v_bfe_u32 v105, v106, 23, 8
	v_and_b32_e32 v107, 0x7fffff, v106
	v_sub_nc_u32_e32 v108, 0x78, v105
	v_cmp_gt_u32_e32 vcc_lo, 0x79, v105
	v_or_b32_e32 v109, 0x800000, v107
	v_cndmask_b32_e32 v108, 0, v108, vcc_lo
	v_cmp_eq_u32_e32 vcc_lo, 0, v105
	v_add_nc_u32_e32 v105, 0xffffff89, v105
	v_cndmask_b32_e64 v108, v108, 0x77, vcc_lo
	v_cndmask_b32_e32 v107, v109, v107, vcc_lo
	v_cndmask_b32_e64 v105, v105, 0xffffff8a, vcc_lo
	v_lshl_add_u32 v109, 0x100000, v108, -1
	v_lshrrev_b32_e32 v110, v108, v107
	v_lshlrev_b32_e64 v120, v108, 0x80000
	v_add_nc_u32_e32 v108, v108, v105
	v_and_b32_e32 v107, v109, v107
	v_bfe_u32 v111, v110, 20, 1
	v_cmp_eq_u32_e64 s16, v107, v120
	v_add_nc_u32_e32 v109, -1, v111
	v_cndmask_b32_e64 v107, 0, v109, s16
	v_lshrrev_b32_e32 v109, 23, v110
	s_mov_b32 s16, exec_lo
	v_add_nc_u32_e32 v107, v107, v110
	v_xor_b32_e32 v109, 1, v109
	v_and_b32_e32 v105, 0xfffff, v107
	v_add_nc_u32_e32 v107, v105, v110
                                        ; implicit-def: $vgpr105
	v_cmpx_ne_u32_e64 v108, v109
	s_xor_b32 s16, exec_lo, s16
; %bb.4115:                             ;   in Loop: Header=BB4_3436 Depth=3
	v_cmp_lt_u32_e32 vcc_lo, 0xffffff, v107
	v_sub_nc_u32_e32 v105, v108, v109
	v_cndmask_b32_e64 v108, 0, 1, vcc_lo
	v_add_co_ci_u32_e64 v105, null, 0, v105, vcc_lo
	v_lshrrev_b32_e32 v107, v108, v107
; %bb.4116:                             ;   in Loop: Header=BB4_3436 Depth=3
	s_andn2_saveexec_b32 s16, s16
; %bb.4117:                             ;   in Loop: Header=BB4_3436 Depth=3
	v_bfe_u32 v105, v107, 23, 1
; %bb.4118:                             ;   in Loop: Header=BB4_3436 Depth=3
	s_or_b32 exec_lo, exec_lo, s16
	v_lshrrev_b32_e32 v107, 20, v107
	v_min_i32_e32 v108, 15, v105
	v_cmp_gt_i32_e32 vcc_lo, 16, v105
	v_and_b32_sdwa v106, v106, v118 dst_sel:DWORD dst_unused:UNUSED_PAD src0_sel:BYTE_3 src1_sel:DWORD
	v_lshlrev_b32_e32 v108, 3, v108
	v_cndmask_b32_e32 v107, 7, v107, vcc_lo
	v_and_b32_e32 v108, 0xf8, v108
	v_and_b32_e32 v109, 7, v107
	v_or_b32_e32 v105, v105, v107
	v_or3_b32 v106, v108, v106, v109
	v_cmp_ne_u32_e32 vcc_lo, 0, v105
	v_cndmask_b32_e32 v105, 0, v106, vcc_lo
.LBB4_4119:                             ;   in Loop: Header=BB4_3436 Depth=3
	s_or_b32 exec_lo, exec_lo, s23
.LBB4_4120:                             ;   in Loop: Header=BB4_3436 Depth=3
	s_or_b32 exec_lo, exec_lo, s22
	v_cmp_gt_i16_sdwa s22, v12, v117 src0_sel:BYTE_3 src1_sel:DWORD
	s_andn2_b32 vcc_lo, exec_lo, s19
	s_mov_b32 s16, -1
                                        ; implicit-def: $vgpr106
	s_cbranch_vccnz .LBB4_4134
; %bb.4121:                             ;   in Loop: Header=BB4_3436 Depth=3
	s_mov_b32 s16, 0
	s_and_saveexec_b32 s23, s22
	s_xor_b32 s22, exec_lo, s23
	s_cbranch_execz .LBB4_4738
; %bb.4122:                             ;   in Loop: Header=BB4_3436 Depth=3
	v_cmp_eq_u16_sdwa s73, v12, v118 src0_sel:BYTE_3 src1_sel:DWORD
	s_mov_b32 s16, -1
	s_and_saveexec_b32 s23, s73
; %bb.4123:                             ;   in Loop: Header=BB4_3436 Depth=3
	s_xor_b32 s16, exec_lo, -1
; %bb.4124:                             ;   in Loop: Header=BB4_3436 Depth=3
	s_or_b32 exec_lo, exec_lo, s23
	s_and_b32 s16, s16, exec_lo
	s_or_saveexec_b32 s22, s22
	v_mov_b32_e32 v106, 0x7f800001
	s_xor_b32 exec_lo, exec_lo, s22
	s_cbranch_execnz .LBB4_4739
.LBB4_4125:                             ;   in Loop: Header=BB4_3436 Depth=3
	s_or_b32 exec_lo, exec_lo, s22
	s_and_saveexec_b32 s22, s16
	s_cbranch_execz .LBB4_4127
.LBB4_4126:                             ;   in Loop: Header=BB4_3436 Depth=3
	v_bfe_u32 v106, v12, 24, 3
	v_bfe_u32 v109, v12, 27, 4
	v_ffbh_u32_e32 v107, v106
	v_cmp_eq_u32_e32 vcc_lo, 0, v109
	v_min_u32_e32 v107, 32, v107
	v_subrev_nc_u32_e32 v108, 28, v107
	v_sub_nc_u32_e32 v107, 29, v107
	v_lshlrev_b32_sdwa v108, v108, v12 dst_sel:DWORD dst_unused:UNUSED_PAD src0_sel:DWORD src1_sel:BYTE_3
	v_cndmask_b32_e32 v107, v109, v107, vcc_lo
	v_and_b32_e32 v108, 7, v108
	v_lshl_add_u32 v107, v107, 23, 0x3b800000
	v_cndmask_b32_e32 v106, v106, v108, vcc_lo
	v_and_b32_e32 v108, 0x80000000, v12
	v_lshlrev_b32_e32 v106, 20, v106
	v_or3_b32 v106, v108, v107, v106
.LBB4_4127:                             ;   in Loop: Header=BB4_3436 Depth=3
	s_or_b32 exec_lo, exec_lo, s22
	s_waitcnt vmcnt(0)
	v_cmp_gt_i16_sdwa s22, v8, v117 src0_sel:BYTE_3 src1_sel:DWORD
	s_mov_b32 s16, 0
	s_and_saveexec_b32 s23, s22
	s_xor_b32 s22, exec_lo, s23
	s_cbranch_execz .LBB4_4740
; %bb.4128:                             ;   in Loop: Header=BB4_3436 Depth=3
	v_cmp_eq_u16_sdwa s73, v8, v118 src0_sel:BYTE_3 src1_sel:DWORD
	s_mov_b32 s16, -1
	s_and_saveexec_b32 s23, s73
; %bb.4129:                             ;   in Loop: Header=BB4_3436 Depth=3
	s_xor_b32 s16, exec_lo, -1
; %bb.4130:                             ;   in Loop: Header=BB4_3436 Depth=3
	s_or_b32 exec_lo, exec_lo, s23
	s_and_b32 s16, s16, exec_lo
	s_or_saveexec_b32 s22, s22
	v_mov_b32_e32 v107, 0x7f800001
	s_xor_b32 exec_lo, exec_lo, s22
	s_cbranch_execnz .LBB4_4741
.LBB4_4131:                             ;   in Loop: Header=BB4_3436 Depth=3
	s_or_b32 exec_lo, exec_lo, s22
	s_and_saveexec_b32 s22, s16
	s_cbranch_execz .LBB4_4133
.LBB4_4132:                             ;   in Loop: Header=BB4_3436 Depth=3
	v_bfe_u32 v107, v8, 24, 3
	v_bfe_u32 v110, v8, 27, 4
	v_ffbh_u32_e32 v108, v107
	v_cmp_eq_u32_e32 vcc_lo, 0, v110
	v_min_u32_e32 v108, 32, v108
	v_subrev_nc_u32_e32 v109, 28, v108
	v_sub_nc_u32_e32 v108, 29, v108
	v_lshlrev_b32_sdwa v109, v109, v8 dst_sel:DWORD dst_unused:UNUSED_PAD src0_sel:DWORD src1_sel:BYTE_3
	v_cndmask_b32_e32 v108, v110, v108, vcc_lo
	v_and_b32_e32 v109, 7, v109
	v_lshl_add_u32 v108, v108, 23, 0x3b800000
	v_cndmask_b32_e32 v107, v107, v109, vcc_lo
	v_and_b32_e32 v109, 0x80000000, v8
	v_lshlrev_b32_e32 v107, 20, v107
	v_or3_b32 v107, v109, v108, v107
.LBB4_4133:                             ;   in Loop: Header=BB4_3436 Depth=3
	s_or_b32 exec_lo, exec_lo, s22
	v_max_f32_e32 v107, v107, v107
	v_max_f32_e32 v106, v106, v106
	s_mov_b32 s16, 0
	v_max_f32_e32 v106, v106, v107
.LBB4_4134:                             ;   in Loop: Header=BB4_3436 Depth=3
	s_and_b32 vcc_lo, exec_lo, s16
	s_cbranch_vccz .LBB4_4148
; %bb.4135:                             ;   in Loop: Header=BB4_3436 Depth=3
	v_cmp_gt_i16_sdwa s22, v12, v117 src0_sel:BYTE_3 src1_sel:DWORD
	s_mov_b32 s16, 0
	s_and_saveexec_b32 s23, s22
	s_xor_b32 s22, exec_lo, s23
	s_cbranch_execz .LBB4_4742
; %bb.4136:                             ;   in Loop: Header=BB4_3436 Depth=3
	v_cmp_eq_u16_sdwa s73, v12, v118 src0_sel:BYTE_3 src1_sel:DWORD
	s_mov_b32 s16, -1
	s_and_saveexec_b32 s23, s73
; %bb.4137:                             ;   in Loop: Header=BB4_3436 Depth=3
	s_xor_b32 s16, exec_lo, -1
; %bb.4138:                             ;   in Loop: Header=BB4_3436 Depth=3
	s_or_b32 exec_lo, exec_lo, s23
	s_and_b32 s16, s16, exec_lo
	s_or_saveexec_b32 s22, s22
	v_mov_b32_e32 v106, 0x7f800001
	s_xor_b32 exec_lo, exec_lo, s22
	s_cbranch_execnz .LBB4_4743
.LBB4_4139:                             ;   in Loop: Header=BB4_3436 Depth=3
	s_or_b32 exec_lo, exec_lo, s22
	s_and_saveexec_b32 s22, s16
	s_cbranch_execz .LBB4_4141
.LBB4_4140:                             ;   in Loop: Header=BB4_3436 Depth=3
	v_bfe_u32 v106, v12, 24, 3
	v_bfe_u32 v109, v12, 27, 4
	v_ffbh_u32_e32 v107, v106
	v_cmp_eq_u32_e32 vcc_lo, 0, v109
	v_min_u32_e32 v107, 32, v107
	v_subrev_nc_u32_e32 v108, 28, v107
	v_sub_nc_u32_e32 v107, 29, v107
	v_lshlrev_b32_sdwa v108, v108, v12 dst_sel:DWORD dst_unused:UNUSED_PAD src0_sel:DWORD src1_sel:BYTE_3
	v_cndmask_b32_e32 v107, v109, v107, vcc_lo
	v_and_b32_e32 v12, 0x80000000, v12
	v_and_b32_e32 v108, 7, v108
	v_lshl_add_u32 v107, v107, 23, 0x3b800000
	v_cndmask_b32_e32 v106, v106, v108, vcc_lo
	v_lshlrev_b32_e32 v106, 20, v106
	v_or3_b32 v106, v12, v107, v106
.LBB4_4141:                             ;   in Loop: Header=BB4_3436 Depth=3
	s_or_b32 exec_lo, exec_lo, s22
	s_waitcnt vmcnt(0)
	v_cmp_gt_i16_sdwa s22, v8, v117 src0_sel:BYTE_3 src1_sel:DWORD
	s_mov_b32 s16, 0
	s_and_saveexec_b32 s23, s22
	s_xor_b32 s22, exec_lo, s23
	s_cbranch_execz .LBB4_4744
; %bb.4142:                             ;   in Loop: Header=BB4_3436 Depth=3
	v_cmp_eq_u16_sdwa s73, v8, v118 src0_sel:BYTE_3 src1_sel:DWORD
	s_mov_b32 s16, -1
	s_and_saveexec_b32 s23, s73
; %bb.4143:                             ;   in Loop: Header=BB4_3436 Depth=3
	s_xor_b32 s16, exec_lo, -1
; %bb.4144:                             ;   in Loop: Header=BB4_3436 Depth=3
	s_or_b32 exec_lo, exec_lo, s23
	s_and_b32 s16, s16, exec_lo
	s_or_saveexec_b32 s22, s22
	v_mov_b32_e32 v12, 0x7f800001
	s_xor_b32 exec_lo, exec_lo, s22
	s_cbranch_execnz .LBB4_4745
.LBB4_4145:                             ;   in Loop: Header=BB4_3436 Depth=3
	s_or_b32 exec_lo, exec_lo, s22
	s_and_saveexec_b32 s22, s16
	s_cbranch_execz .LBB4_4147
.LBB4_4146:                             ;   in Loop: Header=BB4_3436 Depth=3
	v_bfe_u32 v12, v8, 24, 3
	v_bfe_u32 v109, v8, 27, 4
	v_ffbh_u32_e32 v107, v12
	v_cmp_eq_u32_e32 vcc_lo, 0, v109
	v_min_u32_e32 v107, 32, v107
	v_subrev_nc_u32_e32 v108, 28, v107
	v_sub_nc_u32_e32 v107, 29, v107
	v_lshlrev_b32_sdwa v108, v108, v8 dst_sel:DWORD dst_unused:UNUSED_PAD src0_sel:DWORD src1_sel:BYTE_3
	v_cndmask_b32_e32 v107, v109, v107, vcc_lo
	v_and_b32_e32 v8, 0x80000000, v8
	v_and_b32_e32 v108, 7, v108
	v_lshl_add_u32 v107, v107, 23, 0x3b800000
	v_cndmask_b32_e32 v12, v12, v108, vcc_lo
	v_lshlrev_b32_e32 v12, 20, v12
	v_or3_b32 v12, v8, v107, v12
.LBB4_4147:                             ;   in Loop: Header=BB4_3436 Depth=3
	s_or_b32 exec_lo, exec_lo, s22
	v_max_f32_e32 v8, v12, v12
	v_max_f32_e32 v12, v106, v106
	v_min_f32_e32 v106, v12, v8
.LBB4_4148:                             ;   in Loop: Header=BB4_3436 Depth=3
	s_waitcnt vmcnt(0)
	v_and_b32_e32 v8, 0x7f800000, v106
	v_cmp_ne_u32_e32 vcc_lo, 0x7f800000, v8
	v_mov_b32_e32 v8, 0x8000
	s_and_saveexec_b32 s22, vcc_lo
	s_cbranch_execz .LBB4_4156
; %bb.4149:                             ;   in Loop: Header=BB4_3436 Depth=3
	v_mov_b32_e32 v8, 0
	s_mov_b32 s23, exec_lo
	v_cmpx_ne_u32_e32 0, v106
	s_cbranch_execz .LBB4_4155
; %bb.4150:                             ;   in Loop: Header=BB4_3436 Depth=3
	v_bfe_u32 v8, v106, 23, 8
	v_and_b32_e32 v12, 0x7fffff, v106
	v_sub_nc_u32_e32 v107, 0x78, v8
	v_cmp_gt_u32_e32 vcc_lo, 0x79, v8
	v_or_b32_e32 v108, 0x800000, v12
	v_cndmask_b32_e32 v107, 0, v107, vcc_lo
	v_cmp_eq_u32_e32 vcc_lo, 0, v8
	v_add_nc_u32_e32 v8, 0xffffff89, v8
	v_cndmask_b32_e64 v107, v107, 0x77, vcc_lo
	v_cndmask_b32_e32 v12, v108, v12, vcc_lo
	v_cndmask_b32_e64 v8, v8, 0xffffff8a, vcc_lo
	v_lshl_add_u32 v108, 0x100000, v107, -1
	v_lshrrev_b32_e32 v109, v107, v12
	v_lshlrev_b32_e64 v111, v107, 0x80000
	v_add_nc_u32_e32 v107, v107, v8
	v_and_b32_e32 v12, v108, v12
	v_bfe_u32 v110, v109, 20, 1
	v_cmp_eq_u32_e64 s16, v12, v111
	v_add_nc_u32_e32 v108, -1, v110
	v_cndmask_b32_e64 v12, 0, v108, s16
	v_lshrrev_b32_e32 v108, 23, v109
	s_mov_b32 s16, exec_lo
	v_add_nc_u32_e32 v12, v12, v109
	v_xor_b32_e32 v108, 1, v108
	v_and_b32_e32 v8, 0xfffff, v12
	v_add_nc_u32_e32 v12, v8, v109
                                        ; implicit-def: $vgpr8
	v_cmpx_ne_u32_e64 v107, v108
	s_xor_b32 s16, exec_lo, s16
; %bb.4151:                             ;   in Loop: Header=BB4_3436 Depth=3
	v_cmp_lt_u32_e32 vcc_lo, 0xffffff, v12
	v_sub_nc_u32_e32 v8, v107, v108
	v_cndmask_b32_e64 v107, 0, 1, vcc_lo
	v_add_co_ci_u32_e64 v8, null, 0, v8, vcc_lo
	v_lshrrev_b32_e32 v12, v107, v12
; %bb.4152:                             ;   in Loop: Header=BB4_3436 Depth=3
	s_andn2_saveexec_b32 s16, s16
; %bb.4153:                             ;   in Loop: Header=BB4_3436 Depth=3
	v_bfe_u32 v8, v12, 23, 1
; %bb.4154:                             ;   in Loop: Header=BB4_3436 Depth=3
	s_or_b32 exec_lo, exec_lo, s16
	v_lshrrev_b32_e32 v12, 20, v12
	v_min_i32_e32 v107, 15, v8
	v_cmp_gt_i32_e32 vcc_lo, 16, v8
	v_and_b32_sdwa v106, v106, v118 dst_sel:DWORD dst_unused:UNUSED_PAD src0_sel:BYTE_3 src1_sel:DWORD
	v_lshlrev_b32_e32 v107, 3, v107
	v_cndmask_b32_e32 v12, 7, v12, vcc_lo
	v_and_b32_e32 v107, 0xf8, v107
	v_and_b32_e32 v108, 7, v12
	v_or_b32_e32 v8, v8, v12
	v_or3_b32 v106, v106, v107, v108
	v_cmp_ne_u32_e32 vcc_lo, 0, v8
	v_lshlrev_b32_e32 v12, 8, v106
	v_cndmask_b32_e32 v8, 0, v12, vcc_lo
.LBB4_4155:                             ;   in Loop: Header=BB4_3436 Depth=3
	s_or_b32 exec_lo, exec_lo, s23
.LBB4_4156:                             ;   in Loop: Header=BB4_3436 Depth=3
	s_or_b32 exec_lo, exec_lo, s22
	v_cmp_gt_i16_sdwa s22, v13, v117 src0_sel:BYTE_0 src1_sel:DWORD
	s_andn2_b32 vcc_lo, exec_lo, s19
	s_mov_b32 s16, -1
                                        ; implicit-def: $vgpr106
	s_cbranch_vccnz .LBB4_4170
; %bb.4157:                             ;   in Loop: Header=BB4_3436 Depth=3
	s_mov_b32 s16, 0
	s_and_saveexec_b32 s23, s22
	s_xor_b32 s22, exec_lo, s23
	s_cbranch_execz .LBB4_4746
; %bb.4158:                             ;   in Loop: Header=BB4_3436 Depth=3
	v_cmp_eq_u16_sdwa s73, v13, v118 src0_sel:BYTE_0 src1_sel:DWORD
	s_mov_b32 s16, -1
	s_and_saveexec_b32 s23, s73
; %bb.4159:                             ;   in Loop: Header=BB4_3436 Depth=3
	s_xor_b32 s16, exec_lo, -1
; %bb.4160:                             ;   in Loop: Header=BB4_3436 Depth=3
	s_or_b32 exec_lo, exec_lo, s23
	s_and_b32 s16, s16, exec_lo
	s_or_saveexec_b32 s22, s22
	v_mov_b32_e32 v12, 0x7f800001
	s_xor_b32 exec_lo, exec_lo, s22
	s_cbranch_execnz .LBB4_4747
.LBB4_4161:                             ;   in Loop: Header=BB4_3436 Depth=3
	s_or_b32 exec_lo, exec_lo, s22
	s_and_saveexec_b32 s22, s16
	s_cbranch_execz .LBB4_4163
.LBB4_4162:                             ;   in Loop: Header=BB4_3436 Depth=3
	v_and_b32_e32 v12, 7, v13
	v_bfe_u32 v108, v13, 3, 4
	v_lshlrev_b32_e32 v109, 24, v13
	v_ffbh_u32_e32 v106, v12
	v_cmp_eq_u32_e32 vcc_lo, 0, v108
	v_min_u32_e32 v106, 32, v106
	v_subrev_nc_u32_e32 v107, 28, v106
	v_sub_nc_u32_e32 v106, 29, v106
	v_lshlrev_b32_e32 v107, v107, v13
	v_cndmask_b32_e32 v106, v108, v106, vcc_lo
	v_and_b32_e32 v107, 7, v107
	v_lshl_add_u32 v106, v106, 23, 0x3b800000
	v_cndmask_b32_e32 v12, v12, v107, vcc_lo
	v_and_b32_e32 v107, 0x80000000, v109
	v_lshlrev_b32_e32 v12, 20, v12
	v_or3_b32 v12, v107, v106, v12
.LBB4_4163:                             ;   in Loop: Header=BB4_3436 Depth=3
	s_or_b32 exec_lo, exec_lo, s22
	v_cmp_gt_i16_sdwa s22, v9, v117 src0_sel:BYTE_0 src1_sel:DWORD
	s_mov_b32 s16, 0
	s_and_saveexec_b32 s23, s22
	s_xor_b32 s22, exec_lo, s23
	s_cbranch_execz .LBB4_4748
; %bb.4164:                             ;   in Loop: Header=BB4_3436 Depth=3
	v_cmp_eq_u16_sdwa s73, v9, v118 src0_sel:BYTE_0 src1_sel:DWORD
	s_mov_b32 s16, -1
	s_and_saveexec_b32 s23, s73
; %bb.4165:                             ;   in Loop: Header=BB4_3436 Depth=3
	s_xor_b32 s16, exec_lo, -1
; %bb.4166:                             ;   in Loop: Header=BB4_3436 Depth=3
	s_or_b32 exec_lo, exec_lo, s23
	s_and_b32 s16, s16, exec_lo
	s_or_saveexec_b32 s22, s22
	v_mov_b32_e32 v106, 0x7f800001
	s_xor_b32 exec_lo, exec_lo, s22
	s_cbranch_execnz .LBB4_4749
.LBB4_4167:                             ;   in Loop: Header=BB4_3436 Depth=3
	s_or_b32 exec_lo, exec_lo, s22
	s_and_saveexec_b32 s22, s16
	s_cbranch_execz .LBB4_4169
.LBB4_4168:                             ;   in Loop: Header=BB4_3436 Depth=3
	v_and_b32_e32 v106, 7, v9
	v_bfe_u32 v109, v9, 3, 4
	v_lshlrev_b32_e32 v110, 24, v9
	v_ffbh_u32_e32 v107, v106
	v_cmp_eq_u32_e32 vcc_lo, 0, v109
	v_min_u32_e32 v107, 32, v107
	v_subrev_nc_u32_e32 v108, 28, v107
	v_sub_nc_u32_e32 v107, 29, v107
	v_lshlrev_b32_e32 v108, v108, v9
	v_cndmask_b32_e32 v107, v109, v107, vcc_lo
	v_and_b32_e32 v108, 7, v108
	v_lshl_add_u32 v107, v107, 23, 0x3b800000
	v_cndmask_b32_e32 v106, v106, v108, vcc_lo
	v_and_b32_e32 v108, 0x80000000, v110
	v_lshlrev_b32_e32 v106, 20, v106
	v_or3_b32 v106, v108, v107, v106
.LBB4_4169:                             ;   in Loop: Header=BB4_3436 Depth=3
	s_or_b32 exec_lo, exec_lo, s22
	v_max_f32_e32 v106, v106, v106
	v_max_f32_e32 v12, v12, v12
	s_mov_b32 s16, 0
	v_max_f32_e32 v106, v12, v106
.LBB4_4170:                             ;   in Loop: Header=BB4_3436 Depth=3
	s_and_b32 vcc_lo, exec_lo, s16
	s_cbranch_vccz .LBB4_4184
; %bb.4171:                             ;   in Loop: Header=BB4_3436 Depth=3
	v_cmp_gt_i16_sdwa s22, v13, v117 src0_sel:BYTE_0 src1_sel:DWORD
	s_mov_b32 s16, 0
	s_and_saveexec_b32 s23, s22
	s_xor_b32 s22, exec_lo, s23
	s_cbranch_execz .LBB4_4750
; %bb.4172:                             ;   in Loop: Header=BB4_3436 Depth=3
	v_cmp_eq_u16_sdwa s73, v13, v118 src0_sel:BYTE_0 src1_sel:DWORD
	s_mov_b32 s16, -1
	s_and_saveexec_b32 s23, s73
; %bb.4173:                             ;   in Loop: Header=BB4_3436 Depth=3
	s_xor_b32 s16, exec_lo, -1
; %bb.4174:                             ;   in Loop: Header=BB4_3436 Depth=3
	s_or_b32 exec_lo, exec_lo, s23
	s_and_b32 s16, s16, exec_lo
	s_or_saveexec_b32 s22, s22
	v_mov_b32_e32 v12, 0x7f800001
	s_xor_b32 exec_lo, exec_lo, s22
	s_cbranch_execnz .LBB4_4751
.LBB4_4175:                             ;   in Loop: Header=BB4_3436 Depth=3
	s_or_b32 exec_lo, exec_lo, s22
	s_and_saveexec_b32 s22, s16
	s_cbranch_execz .LBB4_4177
.LBB4_4176:                             ;   in Loop: Header=BB4_3436 Depth=3
	v_and_b32_e32 v12, 7, v13
	v_bfe_u32 v108, v13, 3, 4
	v_lshlrev_b32_e32 v109, 24, v13
	v_ffbh_u32_e32 v106, v12
	v_cmp_eq_u32_e32 vcc_lo, 0, v108
	v_min_u32_e32 v106, 32, v106
	v_subrev_nc_u32_e32 v107, 28, v106
	v_sub_nc_u32_e32 v106, 29, v106
	v_lshlrev_b32_e32 v107, v107, v13
	v_cndmask_b32_e32 v106, v108, v106, vcc_lo
	v_and_b32_e32 v107, 7, v107
	v_lshl_add_u32 v106, v106, 23, 0x3b800000
	v_cndmask_b32_e32 v12, v12, v107, vcc_lo
	v_and_b32_e32 v107, 0x80000000, v109
	v_lshlrev_b32_e32 v12, 20, v12
	v_or3_b32 v12, v107, v106, v12
.LBB4_4177:                             ;   in Loop: Header=BB4_3436 Depth=3
	s_or_b32 exec_lo, exec_lo, s22
	v_cmp_gt_i16_sdwa s22, v9, v117 src0_sel:BYTE_0 src1_sel:DWORD
	s_mov_b32 s16, 0
	s_and_saveexec_b32 s23, s22
	s_xor_b32 s22, exec_lo, s23
	s_cbranch_execz .LBB4_4752
; %bb.4178:                             ;   in Loop: Header=BB4_3436 Depth=3
	v_cmp_eq_u16_sdwa s73, v9, v118 src0_sel:BYTE_0 src1_sel:DWORD
	s_mov_b32 s16, -1
	s_and_saveexec_b32 s23, s73
; %bb.4179:                             ;   in Loop: Header=BB4_3436 Depth=3
	s_xor_b32 s16, exec_lo, -1
; %bb.4180:                             ;   in Loop: Header=BB4_3436 Depth=3
	s_or_b32 exec_lo, exec_lo, s23
	s_and_b32 s16, s16, exec_lo
	s_or_saveexec_b32 s22, s22
	v_mov_b32_e32 v106, 0x7f800001
	s_xor_b32 exec_lo, exec_lo, s22
	s_cbranch_execnz .LBB4_4753
.LBB4_4181:                             ;   in Loop: Header=BB4_3436 Depth=3
	s_or_b32 exec_lo, exec_lo, s22
	s_and_saveexec_b32 s22, s16
	s_cbranch_execz .LBB4_4183
.LBB4_4182:                             ;   in Loop: Header=BB4_3436 Depth=3
	v_and_b32_e32 v106, 7, v9
	v_bfe_u32 v109, v9, 3, 4
	v_lshlrev_b32_e32 v110, 24, v9
	v_ffbh_u32_e32 v107, v106
	v_cmp_eq_u32_e32 vcc_lo, 0, v109
	v_min_u32_e32 v107, 32, v107
	v_subrev_nc_u32_e32 v108, 28, v107
	v_sub_nc_u32_e32 v107, 29, v107
	v_lshlrev_b32_e32 v108, v108, v9
	v_cndmask_b32_e32 v107, v109, v107, vcc_lo
	v_and_b32_e32 v108, 7, v108
	v_lshl_add_u32 v107, v107, 23, 0x3b800000
	v_cndmask_b32_e32 v106, v106, v108, vcc_lo
	v_and_b32_e32 v108, 0x80000000, v110
	v_lshlrev_b32_e32 v106, 20, v106
	v_or3_b32 v106, v108, v107, v106
.LBB4_4183:                             ;   in Loop: Header=BB4_3436 Depth=3
	s_or_b32 exec_lo, exec_lo, s22
	v_max_f32_e32 v106, v106, v106
	v_max_f32_e32 v12, v12, v12
	v_min_f32_e32 v106, v12, v106
.LBB4_4184:                             ;   in Loop: Header=BB4_3436 Depth=3
	v_and_b32_e32 v12, 0x7f800000, v106
	v_cmp_ne_u32_e32 vcc_lo, 0x7f800000, v12
	v_mov_b32_e32 v12, 0x80
	s_and_saveexec_b32 s22, vcc_lo
	s_cbranch_execz .LBB4_4192
; %bb.4185:                             ;   in Loop: Header=BB4_3436 Depth=3
	v_mov_b32_e32 v12, 0
	s_mov_b32 s23, exec_lo
	v_cmpx_ne_u32_e32 0, v106
	s_cbranch_execz .LBB4_4191
; %bb.4186:                             ;   in Loop: Header=BB4_3436 Depth=3
	v_bfe_u32 v12, v106, 23, 8
	v_and_b32_e32 v107, 0x7fffff, v106
	v_sub_nc_u32_e32 v108, 0x78, v12
	v_cmp_gt_u32_e32 vcc_lo, 0x79, v12
	v_or_b32_e32 v109, 0x800000, v107
	v_cndmask_b32_e32 v108, 0, v108, vcc_lo
	v_cmp_eq_u32_e32 vcc_lo, 0, v12
	v_add_nc_u32_e32 v12, 0xffffff89, v12
	v_cndmask_b32_e64 v108, v108, 0x77, vcc_lo
	v_cndmask_b32_e32 v107, v109, v107, vcc_lo
	v_cndmask_b32_e64 v12, v12, 0xffffff8a, vcc_lo
	v_lshl_add_u32 v109, 0x100000, v108, -1
	v_lshrrev_b32_e32 v110, v108, v107
	v_lshlrev_b32_e64 v120, v108, 0x80000
	v_add_nc_u32_e32 v108, v108, v12
	v_and_b32_e32 v107, v109, v107
	v_bfe_u32 v111, v110, 20, 1
	v_cmp_eq_u32_e64 s16, v107, v120
	v_add_nc_u32_e32 v109, -1, v111
	v_cndmask_b32_e64 v107, 0, v109, s16
	v_lshrrev_b32_e32 v109, 23, v110
	s_mov_b32 s16, exec_lo
	v_add_nc_u32_e32 v107, v107, v110
	v_xor_b32_e32 v109, 1, v109
	v_and_b32_e32 v12, 0xfffff, v107
	v_add_nc_u32_e32 v107, v12, v110
                                        ; implicit-def: $vgpr12
	v_cmpx_ne_u32_e64 v108, v109
	s_xor_b32 s16, exec_lo, s16
; %bb.4187:                             ;   in Loop: Header=BB4_3436 Depth=3
	v_cmp_lt_u32_e32 vcc_lo, 0xffffff, v107
	v_sub_nc_u32_e32 v12, v108, v109
	v_cndmask_b32_e64 v108, 0, 1, vcc_lo
	v_add_co_ci_u32_e64 v12, null, 0, v12, vcc_lo
	v_lshrrev_b32_e32 v107, v108, v107
; %bb.4188:                             ;   in Loop: Header=BB4_3436 Depth=3
	s_andn2_saveexec_b32 s16, s16
; %bb.4189:                             ;   in Loop: Header=BB4_3436 Depth=3
	v_bfe_u32 v12, v107, 23, 1
; %bb.4190:                             ;   in Loop: Header=BB4_3436 Depth=3
	s_or_b32 exec_lo, exec_lo, s16
	v_lshrrev_b32_e32 v107, 20, v107
	v_min_i32_e32 v108, 15, v12
	v_cmp_gt_i32_e32 vcc_lo, 16, v12
	v_and_b32_sdwa v106, v106, v118 dst_sel:DWORD dst_unused:UNUSED_PAD src0_sel:BYTE_3 src1_sel:DWORD
	v_lshlrev_b32_e32 v108, 3, v108
	v_cndmask_b32_e32 v107, 7, v107, vcc_lo
	v_and_b32_e32 v108, 0xf8, v108
	v_and_b32_e32 v109, 7, v107
	v_or_b32_e32 v12, v12, v107
	v_or3_b32 v106, v108, v106, v109
	v_cmp_ne_u32_e32 vcc_lo, 0, v12
	v_cndmask_b32_e32 v12, 0, v106, vcc_lo
.LBB4_4191:                             ;   in Loop: Header=BB4_3436 Depth=3
	s_or_b32 exec_lo, exec_lo, s23
.LBB4_4192:                             ;   in Loop: Header=BB4_3436 Depth=3
	s_or_b32 exec_lo, exec_lo, s22
	v_cmp_gt_i16_sdwa s22, v13, v117 src0_sel:BYTE_1 src1_sel:DWORD
	s_andn2_b32 vcc_lo, exec_lo, s19
	s_mov_b32 s16, -1
                                        ; implicit-def: $vgpr107
	s_cbranch_vccnz .LBB4_4206
; %bb.4193:                             ;   in Loop: Header=BB4_3436 Depth=3
	s_mov_b32 s16, 0
	s_and_saveexec_b32 s23, s22
	s_xor_b32 s22, exec_lo, s23
	s_cbranch_execz .LBB4_4754
; %bb.4194:                             ;   in Loop: Header=BB4_3436 Depth=3
	v_cmp_eq_u16_sdwa s73, v13, v118 src0_sel:BYTE_1 src1_sel:DWORD
	s_mov_b32 s16, -1
	s_and_saveexec_b32 s23, s73
; %bb.4195:                             ;   in Loop: Header=BB4_3436 Depth=3
	s_xor_b32 s16, exec_lo, -1
; %bb.4196:                             ;   in Loop: Header=BB4_3436 Depth=3
	s_or_b32 exec_lo, exec_lo, s23
	s_and_b32 s16, s16, exec_lo
	s_or_saveexec_b32 s22, s22
	v_mov_b32_e32 v106, 0x7f800001
	s_xor_b32 exec_lo, exec_lo, s22
	s_cbranch_execnz .LBB4_4755
.LBB4_4197:                             ;   in Loop: Header=BB4_3436 Depth=3
	s_or_b32 exec_lo, exec_lo, s22
	s_and_saveexec_b32 s22, s16
	s_cbranch_execz .LBB4_4199
.LBB4_4198:                             ;   in Loop: Header=BB4_3436 Depth=3
	v_and_b32_sdwa v106, v119, v13 dst_sel:DWORD dst_unused:UNUSED_PAD src0_sel:DWORD src1_sel:BYTE_1
	v_and_b32_e32 v107, 7, v106
	v_bfe_u32 v110, v106, 3, 4
	v_ffbh_u32_e32 v108, v107
	v_cmp_eq_u32_e32 vcc_lo, 0, v110
	v_min_u32_e32 v108, 32, v108
	v_subrev_nc_u32_e32 v109, 28, v108
	v_sub_nc_u32_e32 v108, 29, v108
	v_lshlrev_b32_e32 v106, v109, v106
	v_lshlrev_b32_e32 v109, 16, v13
	v_cndmask_b32_e32 v108, v110, v108, vcc_lo
	v_and_b32_e32 v106, 7, v106
	v_lshl_add_u32 v108, v108, 23, 0x3b800000
	v_cndmask_b32_e32 v106, v107, v106, vcc_lo
	v_and_b32_e32 v107, 0x80000000, v109
	v_lshlrev_b32_e32 v106, 20, v106
	v_or3_b32 v106, v107, v108, v106
.LBB4_4199:                             ;   in Loop: Header=BB4_3436 Depth=3
	s_or_b32 exec_lo, exec_lo, s22
	v_cmp_gt_i16_sdwa s22, v9, v117 src0_sel:BYTE_1 src1_sel:DWORD
	s_mov_b32 s16, 0
	s_and_saveexec_b32 s23, s22
	s_xor_b32 s22, exec_lo, s23
	s_cbranch_execz .LBB4_4756
; %bb.4200:                             ;   in Loop: Header=BB4_3436 Depth=3
	v_cmp_eq_u16_sdwa s73, v9, v118 src0_sel:BYTE_1 src1_sel:DWORD
	s_mov_b32 s16, -1
	s_and_saveexec_b32 s23, s73
; %bb.4201:                             ;   in Loop: Header=BB4_3436 Depth=3
	s_xor_b32 s16, exec_lo, -1
; %bb.4202:                             ;   in Loop: Header=BB4_3436 Depth=3
	s_or_b32 exec_lo, exec_lo, s23
	s_and_b32 s16, s16, exec_lo
	s_or_saveexec_b32 s22, s22
	v_mov_b32_e32 v107, 0x7f800001
	s_xor_b32 exec_lo, exec_lo, s22
	s_cbranch_execnz .LBB4_4757
.LBB4_4203:                             ;   in Loop: Header=BB4_3436 Depth=3
	s_or_b32 exec_lo, exec_lo, s22
	s_and_saveexec_b32 s22, s16
	s_cbranch_execz .LBB4_4205
.LBB4_4204:                             ;   in Loop: Header=BB4_3436 Depth=3
	v_and_b32_sdwa v107, v119, v9 dst_sel:DWORD dst_unused:UNUSED_PAD src0_sel:DWORD src1_sel:BYTE_1
	v_and_b32_e32 v108, 7, v107
	v_bfe_u32 v111, v107, 3, 4
	v_ffbh_u32_e32 v109, v108
	v_cmp_eq_u32_e32 vcc_lo, 0, v111
	v_min_u32_e32 v109, 32, v109
	v_subrev_nc_u32_e32 v110, 28, v109
	v_sub_nc_u32_e32 v109, 29, v109
	v_lshlrev_b32_e32 v107, v110, v107
	v_lshlrev_b32_e32 v110, 16, v9
	v_cndmask_b32_e32 v109, v111, v109, vcc_lo
	v_and_b32_e32 v107, 7, v107
	v_lshl_add_u32 v109, v109, 23, 0x3b800000
	v_cndmask_b32_e32 v107, v108, v107, vcc_lo
	v_and_b32_e32 v108, 0x80000000, v110
	v_lshlrev_b32_e32 v107, 20, v107
	v_or3_b32 v107, v108, v109, v107
.LBB4_4205:                             ;   in Loop: Header=BB4_3436 Depth=3
	s_or_b32 exec_lo, exec_lo, s22
	v_max_f32_e32 v107, v107, v107
	v_max_f32_e32 v106, v106, v106
	s_mov_b32 s16, 0
	v_max_f32_e32 v107, v106, v107
.LBB4_4206:                             ;   in Loop: Header=BB4_3436 Depth=3
	s_and_b32 vcc_lo, exec_lo, s16
	s_cbranch_vccz .LBB4_4220
; %bb.4207:                             ;   in Loop: Header=BB4_3436 Depth=3
	v_cmp_gt_i16_sdwa s22, v13, v117 src0_sel:BYTE_1 src1_sel:DWORD
	s_mov_b32 s16, 0
	s_and_saveexec_b32 s23, s22
	s_xor_b32 s22, exec_lo, s23
	s_cbranch_execz .LBB4_4758
; %bb.4208:                             ;   in Loop: Header=BB4_3436 Depth=3
	v_cmp_eq_u16_sdwa s73, v13, v118 src0_sel:BYTE_1 src1_sel:DWORD
	s_mov_b32 s16, -1
	s_and_saveexec_b32 s23, s73
; %bb.4209:                             ;   in Loop: Header=BB4_3436 Depth=3
	s_xor_b32 s16, exec_lo, -1
; %bb.4210:                             ;   in Loop: Header=BB4_3436 Depth=3
	s_or_b32 exec_lo, exec_lo, s23
	s_and_b32 s16, s16, exec_lo
	s_or_saveexec_b32 s22, s22
	v_mov_b32_e32 v106, 0x7f800001
	s_xor_b32 exec_lo, exec_lo, s22
	s_cbranch_execnz .LBB4_4759
.LBB4_4211:                             ;   in Loop: Header=BB4_3436 Depth=3
	s_or_b32 exec_lo, exec_lo, s22
	s_and_saveexec_b32 s22, s16
	s_cbranch_execz .LBB4_4213
.LBB4_4212:                             ;   in Loop: Header=BB4_3436 Depth=3
	v_and_b32_sdwa v106, v119, v13 dst_sel:DWORD dst_unused:UNUSED_PAD src0_sel:DWORD src1_sel:BYTE_1
	v_and_b32_e32 v107, 7, v106
	v_bfe_u32 v110, v106, 3, 4
	v_ffbh_u32_e32 v108, v107
	v_cmp_eq_u32_e32 vcc_lo, 0, v110
	v_min_u32_e32 v108, 32, v108
	v_subrev_nc_u32_e32 v109, 28, v108
	v_sub_nc_u32_e32 v108, 29, v108
	v_lshlrev_b32_e32 v106, v109, v106
	v_lshlrev_b32_e32 v109, 16, v13
	v_cndmask_b32_e32 v108, v110, v108, vcc_lo
	v_and_b32_e32 v106, 7, v106
	v_lshl_add_u32 v108, v108, 23, 0x3b800000
	v_cndmask_b32_e32 v106, v107, v106, vcc_lo
	v_and_b32_e32 v107, 0x80000000, v109
	v_lshlrev_b32_e32 v106, 20, v106
	v_or3_b32 v106, v107, v108, v106
.LBB4_4213:                             ;   in Loop: Header=BB4_3436 Depth=3
	s_or_b32 exec_lo, exec_lo, s22
	v_cmp_gt_i16_sdwa s22, v9, v117 src0_sel:BYTE_1 src1_sel:DWORD
	s_mov_b32 s16, 0
	s_and_saveexec_b32 s23, s22
	s_xor_b32 s22, exec_lo, s23
	s_cbranch_execz .LBB4_4760
; %bb.4214:                             ;   in Loop: Header=BB4_3436 Depth=3
	v_cmp_eq_u16_sdwa s73, v9, v118 src0_sel:BYTE_1 src1_sel:DWORD
	s_mov_b32 s16, -1
	s_and_saveexec_b32 s23, s73
; %bb.4215:                             ;   in Loop: Header=BB4_3436 Depth=3
	s_xor_b32 s16, exec_lo, -1
; %bb.4216:                             ;   in Loop: Header=BB4_3436 Depth=3
	s_or_b32 exec_lo, exec_lo, s23
	s_and_b32 s16, s16, exec_lo
	s_or_saveexec_b32 s22, s22
	v_mov_b32_e32 v107, 0x7f800001
	s_xor_b32 exec_lo, exec_lo, s22
	s_cbranch_execnz .LBB4_4761
.LBB4_4217:                             ;   in Loop: Header=BB4_3436 Depth=3
	s_or_b32 exec_lo, exec_lo, s22
	s_and_saveexec_b32 s22, s16
	s_cbranch_execz .LBB4_4219
.LBB4_4218:                             ;   in Loop: Header=BB4_3436 Depth=3
	v_and_b32_sdwa v107, v119, v9 dst_sel:DWORD dst_unused:UNUSED_PAD src0_sel:DWORD src1_sel:BYTE_1
	v_and_b32_e32 v108, 7, v107
	v_bfe_u32 v111, v107, 3, 4
	v_ffbh_u32_e32 v109, v108
	v_cmp_eq_u32_e32 vcc_lo, 0, v111
	v_min_u32_e32 v109, 32, v109
	v_subrev_nc_u32_e32 v110, 28, v109
	v_sub_nc_u32_e32 v109, 29, v109
	v_lshlrev_b32_e32 v107, v110, v107
	v_lshlrev_b32_e32 v110, 16, v9
	v_cndmask_b32_e32 v109, v111, v109, vcc_lo
	v_and_b32_e32 v107, 7, v107
	v_lshl_add_u32 v109, v109, 23, 0x3b800000
	v_cndmask_b32_e32 v107, v108, v107, vcc_lo
	v_and_b32_e32 v108, 0x80000000, v110
	v_lshlrev_b32_e32 v107, 20, v107
	v_or3_b32 v107, v108, v109, v107
.LBB4_4219:                             ;   in Loop: Header=BB4_3436 Depth=3
	s_or_b32 exec_lo, exec_lo, s22
	v_max_f32_e32 v107, v107, v107
	v_max_f32_e32 v106, v106, v106
	v_min_f32_e32 v107, v106, v107
.LBB4_4220:                             ;   in Loop: Header=BB4_3436 Depth=3
	v_and_b32_e32 v106, 0x7f800000, v107
	v_cmp_ne_u32_e32 vcc_lo, 0x7f800000, v106
	v_mov_b32_e32 v106, 0x8000
	s_and_saveexec_b32 s22, vcc_lo
	s_cbranch_execz .LBB4_4228
; %bb.4221:                             ;   in Loop: Header=BB4_3436 Depth=3
	v_mov_b32_e32 v106, 0
	s_mov_b32 s23, exec_lo
	v_cmpx_ne_u32_e32 0, v107
	s_cbranch_execz .LBB4_4227
; %bb.4222:                             ;   in Loop: Header=BB4_3436 Depth=3
	v_bfe_u32 v106, v107, 23, 8
	v_and_b32_e32 v108, 0x7fffff, v107
	v_sub_nc_u32_e32 v109, 0x78, v106
	v_cmp_gt_u32_e32 vcc_lo, 0x79, v106
	v_or_b32_e32 v110, 0x800000, v108
	v_cndmask_b32_e32 v109, 0, v109, vcc_lo
	v_cmp_eq_u32_e32 vcc_lo, 0, v106
	v_add_nc_u32_e32 v106, 0xffffff89, v106
	v_cndmask_b32_e64 v109, v109, 0x77, vcc_lo
	v_cndmask_b32_e32 v108, v110, v108, vcc_lo
	v_cndmask_b32_e64 v106, v106, 0xffffff8a, vcc_lo
	v_lshl_add_u32 v110, 0x100000, v109, -1
	v_lshrrev_b32_e32 v111, v109, v108
	v_lshlrev_b32_e64 v121, v109, 0x80000
	v_add_nc_u32_e32 v109, v109, v106
	v_and_b32_e32 v108, v110, v108
	v_bfe_u32 v120, v111, 20, 1
	v_cmp_eq_u32_e64 s16, v108, v121
	v_add_nc_u32_e32 v110, -1, v120
	v_cndmask_b32_e64 v108, 0, v110, s16
	v_lshrrev_b32_e32 v110, 23, v111
	s_mov_b32 s16, exec_lo
	v_add_nc_u32_e32 v108, v108, v111
	v_xor_b32_e32 v110, 1, v110
	v_and_b32_e32 v106, 0xfffff, v108
	v_add_nc_u32_e32 v108, v106, v111
                                        ; implicit-def: $vgpr106
	v_cmpx_ne_u32_e64 v109, v110
	s_xor_b32 s16, exec_lo, s16
; %bb.4223:                             ;   in Loop: Header=BB4_3436 Depth=3
	v_cmp_lt_u32_e32 vcc_lo, 0xffffff, v108
	v_sub_nc_u32_e32 v106, v109, v110
	v_cndmask_b32_e64 v109, 0, 1, vcc_lo
	v_add_co_ci_u32_e64 v106, null, 0, v106, vcc_lo
	v_lshrrev_b32_e32 v108, v109, v108
; %bb.4224:                             ;   in Loop: Header=BB4_3436 Depth=3
	s_andn2_saveexec_b32 s16, s16
; %bb.4225:                             ;   in Loop: Header=BB4_3436 Depth=3
	v_bfe_u32 v106, v108, 23, 1
; %bb.4226:                             ;   in Loop: Header=BB4_3436 Depth=3
	s_or_b32 exec_lo, exec_lo, s16
	v_lshrrev_b32_e32 v108, 20, v108
	v_min_i32_e32 v109, 15, v106
	v_cmp_gt_i32_e32 vcc_lo, 16, v106
	v_and_b32_sdwa v107, v107, v118 dst_sel:DWORD dst_unused:UNUSED_PAD src0_sel:BYTE_3 src1_sel:DWORD
	v_lshlrev_b32_e32 v109, 3, v109
	v_cndmask_b32_e32 v108, 7, v108, vcc_lo
	v_and_b32_e32 v109, 0xf8, v109
	v_and_b32_e32 v110, 7, v108
	v_or_b32_e32 v106, v106, v108
	v_or3_b32 v107, v107, v109, v110
	v_cmp_ne_u32_e32 vcc_lo, 0, v106
	v_lshlrev_b32_e32 v107, 8, v107
	v_cndmask_b32_e32 v106, 0, v107, vcc_lo
.LBB4_4227:                             ;   in Loop: Header=BB4_3436 Depth=3
	s_or_b32 exec_lo, exec_lo, s23
.LBB4_4228:                             ;   in Loop: Header=BB4_3436 Depth=3
	s_or_b32 exec_lo, exec_lo, s22
	v_and_b32_sdwa v107, v13, v40 dst_sel:DWORD dst_unused:UNUSED_PAD src0_sel:WORD_1 src1_sel:DWORD
	s_andn2_b32 vcc_lo, exec_lo, s19
	s_mov_b32 s22, -1
                                        ; implicit-def: $vgpr108
	v_cmp_lt_i16_e64 s16, 0x7f, v107
	s_cbranch_vccnz .LBB4_4242
; %bb.4229:                             ;   in Loop: Header=BB4_3436 Depth=3
	s_mov_b32 s22, 0
	s_and_saveexec_b32 s23, s16
	s_xor_b32 s16, exec_lo, s23
	s_cbranch_execz .LBB4_4762
; %bb.4230:                             ;   in Loop: Header=BB4_3436 Depth=3
	s_mov_b32 s22, -1
	s_mov_b32 s23, exec_lo
	v_cmpx_eq_u16_e32 0x80, v107
; %bb.4231:                             ;   in Loop: Header=BB4_3436 Depth=3
	s_xor_b32 s22, exec_lo, -1
; %bb.4232:                             ;   in Loop: Header=BB4_3436 Depth=3
	s_or_b32 exec_lo, exec_lo, s23
	s_and_b32 s22, s22, exec_lo
	s_or_saveexec_b32 s16, s16
	v_mov_b32_e32 v108, 0x7f800001
	s_xor_b32 exec_lo, exec_lo, s16
	s_cbranch_execnz .LBB4_4763
.LBB4_4233:                             ;   in Loop: Header=BB4_3436 Depth=3
	s_or_b32 exec_lo, exec_lo, s16
	s_and_saveexec_b32 s16, s22
	s_cbranch_execz .LBB4_4235
.LBB4_4234:                             ;   in Loop: Header=BB4_3436 Depth=3
	v_bfe_u32 v108, v13, 16, 3
	v_bfe_u32 v111, v13, 19, 4
	v_lshlrev_b32_sdwa v120, v41, v13 dst_sel:DWORD dst_unused:UNUSED_PAD src0_sel:DWORD src1_sel:WORD_1
	v_ffbh_u32_e32 v109, v108
	v_cmp_eq_u32_e32 vcc_lo, 0, v111
	v_min_u32_e32 v109, 32, v109
	v_subrev_nc_u32_e32 v110, 28, v109
	v_sub_nc_u32_e32 v109, 29, v109
	v_lshlrev_b32_sdwa v110, v110, v13 dst_sel:DWORD dst_unused:UNUSED_PAD src0_sel:DWORD src1_sel:WORD_1
	v_cndmask_b32_e32 v109, v111, v109, vcc_lo
	v_and_b32_e32 v110, 7, v110
	v_lshl_add_u32 v109, v109, 23, 0x3b800000
	v_cndmask_b32_e32 v108, v108, v110, vcc_lo
	v_and_b32_e32 v110, 0x80000000, v120
	v_lshlrev_b32_e32 v108, 20, v108
	v_or3_b32 v108, v110, v109, v108
.LBB4_4235:                             ;   in Loop: Header=BB4_3436 Depth=3
	s_or_b32 exec_lo, exec_lo, s16
	v_and_b32_sdwa v110, v9, v40 dst_sel:DWORD dst_unused:UNUSED_PAD src0_sel:WORD_1 src1_sel:DWORD
	s_mov_b32 s16, 0
	s_mov_b32 s22, exec_lo
	v_cmpx_lt_i16_e32 0x7f, v110
	s_xor_b32 s22, exec_lo, s22
	s_cbranch_execz .LBB4_4764
; %bb.4236:                             ;   in Loop: Header=BB4_3436 Depth=3
	s_mov_b32 s16, -1
	s_mov_b32 s23, exec_lo
	v_cmpx_eq_u16_e32 0x80, v110
; %bb.4237:                             ;   in Loop: Header=BB4_3436 Depth=3
	s_xor_b32 s16, exec_lo, -1
; %bb.4238:                             ;   in Loop: Header=BB4_3436 Depth=3
	s_or_b32 exec_lo, exec_lo, s23
	s_and_b32 s16, s16, exec_lo
                                        ; implicit-def: $vgpr110
	s_or_saveexec_b32 s22, s22
	v_mov_b32_e32 v109, 0x7f800001
	s_xor_b32 exec_lo, exec_lo, s22
	s_cbranch_execnz .LBB4_4765
.LBB4_4239:                             ;   in Loop: Header=BB4_3436 Depth=3
	s_or_b32 exec_lo, exec_lo, s22
	s_and_saveexec_b32 s22, s16
	s_cbranch_execz .LBB4_4241
.LBB4_4240:                             ;   in Loop: Header=BB4_3436 Depth=3
	v_bfe_u32 v109, v9, 16, 3
	v_bfe_u32 v120, v9, 19, 4
	v_lshlrev_b32_sdwa v121, v41, v9 dst_sel:DWORD dst_unused:UNUSED_PAD src0_sel:DWORD src1_sel:WORD_1
	v_ffbh_u32_e32 v110, v109
	v_cmp_eq_u32_e32 vcc_lo, 0, v120
	v_min_u32_e32 v110, 32, v110
	v_subrev_nc_u32_e32 v111, 28, v110
	v_sub_nc_u32_e32 v110, 29, v110
	v_lshlrev_b32_sdwa v111, v111, v9 dst_sel:DWORD dst_unused:UNUSED_PAD src0_sel:DWORD src1_sel:WORD_1
	v_cndmask_b32_e32 v110, v120, v110, vcc_lo
	v_and_b32_e32 v111, 7, v111
	v_lshl_add_u32 v110, v110, 23, 0x3b800000
	v_cndmask_b32_e32 v109, v109, v111, vcc_lo
	v_and_b32_e32 v111, 0x80000000, v121
	v_lshlrev_b32_e32 v109, 20, v109
	v_or3_b32 v109, v111, v110, v109
.LBB4_4241:                             ;   in Loop: Header=BB4_3436 Depth=3
	s_or_b32 exec_lo, exec_lo, s22
	v_max_f32_e32 v109, v109, v109
	v_max_f32_e32 v108, v108, v108
	s_mov_b32 s22, 0
	v_max_f32_e32 v108, v108, v109
.LBB4_4242:                             ;   in Loop: Header=BB4_3436 Depth=3
	s_and_b32 vcc_lo, exec_lo, s22
	s_cbranch_vccz .LBB4_4256
; %bb.4243:                             ;   in Loop: Header=BB4_3436 Depth=3
	s_mov_b32 s16, 0
	s_mov_b32 s22, exec_lo
	v_cmpx_lt_i16_e32 0x7f, v107
	s_xor_b32 s22, exec_lo, s22
	s_cbranch_execz .LBB4_4766
; %bb.4244:                             ;   in Loop: Header=BB4_3436 Depth=3
	s_mov_b32 s16, -1
	s_mov_b32 s23, exec_lo
	v_cmpx_eq_u16_e32 0x80, v107
; %bb.4245:                             ;   in Loop: Header=BB4_3436 Depth=3
	s_xor_b32 s16, exec_lo, -1
; %bb.4246:                             ;   in Loop: Header=BB4_3436 Depth=3
	s_or_b32 exec_lo, exec_lo, s23
	s_and_b32 s16, s16, exec_lo
                                        ; implicit-def: $vgpr107
	s_or_saveexec_b32 s22, s22
	v_mov_b32_e32 v108, 0x7f800001
	s_xor_b32 exec_lo, exec_lo, s22
	s_cbranch_execnz .LBB4_4767
.LBB4_4247:                             ;   in Loop: Header=BB4_3436 Depth=3
	s_or_b32 exec_lo, exec_lo, s22
	s_and_saveexec_b32 s22, s16
	s_cbranch_execz .LBB4_4249
.LBB4_4248:                             ;   in Loop: Header=BB4_3436 Depth=3
	v_bfe_u32 v107, v13, 16, 3
	v_bfe_u32 v110, v13, 19, 4
	v_lshlrev_b32_sdwa v111, v41, v13 dst_sel:DWORD dst_unused:UNUSED_PAD src0_sel:DWORD src1_sel:WORD_1
	v_ffbh_u32_e32 v108, v107
	v_cmp_eq_u32_e32 vcc_lo, 0, v110
	v_min_u32_e32 v108, 32, v108
	v_subrev_nc_u32_e32 v109, 28, v108
	v_sub_nc_u32_e32 v108, 29, v108
	v_lshlrev_b32_sdwa v109, v109, v13 dst_sel:DWORD dst_unused:UNUSED_PAD src0_sel:DWORD src1_sel:WORD_1
	v_cndmask_b32_e32 v108, v110, v108, vcc_lo
	v_and_b32_e32 v109, 7, v109
	v_lshl_add_u32 v108, v108, 23, 0x3b800000
	v_cndmask_b32_e32 v107, v107, v109, vcc_lo
	v_and_b32_e32 v109, 0x80000000, v111
	v_lshlrev_b32_e32 v107, 20, v107
	v_or3_b32 v108, v109, v108, v107
.LBB4_4249:                             ;   in Loop: Header=BB4_3436 Depth=3
	s_or_b32 exec_lo, exec_lo, s22
	v_and_b32_sdwa v109, v9, v40 dst_sel:DWORD dst_unused:UNUSED_PAD src0_sel:WORD_1 src1_sel:DWORD
	s_mov_b32 s16, 0
	s_mov_b32 s22, exec_lo
	v_cmpx_lt_i16_e32 0x7f, v109
	s_xor_b32 s22, exec_lo, s22
	s_cbranch_execz .LBB4_4768
; %bb.4250:                             ;   in Loop: Header=BB4_3436 Depth=3
	s_mov_b32 s16, -1
	s_mov_b32 s23, exec_lo
	v_cmpx_eq_u16_e32 0x80, v109
; %bb.4251:                             ;   in Loop: Header=BB4_3436 Depth=3
	s_xor_b32 s16, exec_lo, -1
; %bb.4252:                             ;   in Loop: Header=BB4_3436 Depth=3
	s_or_b32 exec_lo, exec_lo, s23
	s_and_b32 s16, s16, exec_lo
                                        ; implicit-def: $vgpr109
	s_or_saveexec_b32 s22, s22
	v_mov_b32_e32 v107, 0x7f800001
	s_xor_b32 exec_lo, exec_lo, s22
	s_cbranch_execnz .LBB4_4769
.LBB4_4253:                             ;   in Loop: Header=BB4_3436 Depth=3
	s_or_b32 exec_lo, exec_lo, s22
	s_and_saveexec_b32 s22, s16
	s_cbranch_execz .LBB4_4255
.LBB4_4254:                             ;   in Loop: Header=BB4_3436 Depth=3
	v_bfe_u32 v107, v9, 16, 3
	v_bfe_u32 v111, v9, 19, 4
	v_lshlrev_b32_sdwa v120, v41, v9 dst_sel:DWORD dst_unused:UNUSED_PAD src0_sel:DWORD src1_sel:WORD_1
	v_ffbh_u32_e32 v109, v107
	v_cmp_eq_u32_e32 vcc_lo, 0, v111
	v_min_u32_e32 v109, 32, v109
	v_subrev_nc_u32_e32 v110, 28, v109
	v_sub_nc_u32_e32 v109, 29, v109
	v_lshlrev_b32_sdwa v110, v110, v9 dst_sel:DWORD dst_unused:UNUSED_PAD src0_sel:DWORD src1_sel:WORD_1
	v_cndmask_b32_e32 v109, v111, v109, vcc_lo
	v_and_b32_e32 v110, 7, v110
	v_lshl_add_u32 v109, v109, 23, 0x3b800000
	v_cndmask_b32_e32 v107, v107, v110, vcc_lo
	v_and_b32_e32 v110, 0x80000000, v120
	v_lshlrev_b32_e32 v107, 20, v107
	v_or3_b32 v107, v110, v109, v107
.LBB4_4255:                             ;   in Loop: Header=BB4_3436 Depth=3
	s_or_b32 exec_lo, exec_lo, s22
	v_max_f32_e32 v107, v107, v107
	v_max_f32_e32 v108, v108, v108
	v_min_f32_e32 v108, v108, v107
.LBB4_4256:                             ;   in Loop: Header=BB4_3436 Depth=3
	v_and_b32_e32 v107, 0x7f800000, v108
	v_cmp_ne_u32_e32 vcc_lo, 0x7f800000, v107
	v_mov_b32_e32 v107, 0x80
	s_and_saveexec_b32 s22, vcc_lo
	s_cbranch_execz .LBB4_4264
; %bb.4257:                             ;   in Loop: Header=BB4_3436 Depth=3
	v_mov_b32_e32 v107, 0
	s_mov_b32 s23, exec_lo
	v_cmpx_ne_u32_e32 0, v108
	s_cbranch_execz .LBB4_4263
; %bb.4258:                             ;   in Loop: Header=BB4_3436 Depth=3
	v_bfe_u32 v107, v108, 23, 8
	v_and_b32_e32 v109, 0x7fffff, v108
	v_sub_nc_u32_e32 v110, 0x78, v107
	v_cmp_gt_u32_e32 vcc_lo, 0x79, v107
	v_or_b32_e32 v111, 0x800000, v109
	v_cndmask_b32_e32 v110, 0, v110, vcc_lo
	v_cmp_eq_u32_e32 vcc_lo, 0, v107
	v_add_nc_u32_e32 v107, 0xffffff89, v107
	v_cndmask_b32_e64 v110, v110, 0x77, vcc_lo
	v_cndmask_b32_e32 v109, v111, v109, vcc_lo
	v_cndmask_b32_e64 v107, v107, 0xffffff8a, vcc_lo
	v_lshl_add_u32 v111, 0x100000, v110, -1
	v_lshrrev_b32_e32 v120, v110, v109
	v_lshlrev_b32_e64 v122, v110, 0x80000
	v_add_nc_u32_e32 v110, v110, v107
	v_and_b32_e32 v109, v111, v109
	v_bfe_u32 v121, v120, 20, 1
	v_cmp_eq_u32_e64 s16, v109, v122
	v_add_nc_u32_e32 v111, -1, v121
	v_cndmask_b32_e64 v109, 0, v111, s16
	v_lshrrev_b32_e32 v111, 23, v120
	s_mov_b32 s16, exec_lo
	v_add_nc_u32_e32 v109, v109, v120
	v_xor_b32_e32 v111, 1, v111
	v_and_b32_e32 v107, 0xfffff, v109
	v_add_nc_u32_e32 v109, v107, v120
                                        ; implicit-def: $vgpr107
	v_cmpx_ne_u32_e64 v110, v111
	s_xor_b32 s16, exec_lo, s16
; %bb.4259:                             ;   in Loop: Header=BB4_3436 Depth=3
	v_cmp_lt_u32_e32 vcc_lo, 0xffffff, v109
	v_sub_nc_u32_e32 v107, v110, v111
	v_cndmask_b32_e64 v110, 0, 1, vcc_lo
	v_add_co_ci_u32_e64 v107, null, 0, v107, vcc_lo
	v_lshrrev_b32_e32 v109, v110, v109
; %bb.4260:                             ;   in Loop: Header=BB4_3436 Depth=3
	s_andn2_saveexec_b32 s16, s16
; %bb.4261:                             ;   in Loop: Header=BB4_3436 Depth=3
	v_bfe_u32 v107, v109, 23, 1
; %bb.4262:                             ;   in Loop: Header=BB4_3436 Depth=3
	s_or_b32 exec_lo, exec_lo, s16
	v_lshrrev_b32_e32 v109, 20, v109
	v_min_i32_e32 v110, 15, v107
	v_cmp_gt_i32_e32 vcc_lo, 16, v107
	v_and_b32_sdwa v108, v108, v118 dst_sel:DWORD dst_unused:UNUSED_PAD src0_sel:BYTE_3 src1_sel:DWORD
	v_lshlrev_b32_e32 v110, 3, v110
	v_cndmask_b32_e32 v109, 7, v109, vcc_lo
	v_and_b32_e32 v110, 0xf8, v110
	v_and_b32_e32 v111, 7, v109
	v_or_b32_e32 v107, v107, v109
	v_or3_b32 v108, v110, v108, v111
	v_cmp_ne_u32_e32 vcc_lo, 0, v107
	v_cndmask_b32_e32 v107, 0, v108, vcc_lo
.LBB4_4263:                             ;   in Loop: Header=BB4_3436 Depth=3
	s_or_b32 exec_lo, exec_lo, s23
.LBB4_4264:                             ;   in Loop: Header=BB4_3436 Depth=3
	s_or_b32 exec_lo, exec_lo, s22
	v_cmp_gt_i16_sdwa s22, v13, v117 src0_sel:BYTE_3 src1_sel:DWORD
	s_andn2_b32 vcc_lo, exec_lo, s19
	s_mov_b32 s16, -1
                                        ; implicit-def: $vgpr108
	s_cbranch_vccnz .LBB4_4278
; %bb.4265:                             ;   in Loop: Header=BB4_3436 Depth=3
	s_mov_b32 s16, 0
	s_and_saveexec_b32 s23, s22
	s_xor_b32 s22, exec_lo, s23
	s_cbranch_execz .LBB4_4770
; %bb.4266:                             ;   in Loop: Header=BB4_3436 Depth=3
	v_cmp_eq_u16_sdwa s73, v13, v118 src0_sel:BYTE_3 src1_sel:DWORD
	s_mov_b32 s16, -1
	s_and_saveexec_b32 s23, s73
; %bb.4267:                             ;   in Loop: Header=BB4_3436 Depth=3
	s_xor_b32 s16, exec_lo, -1
; %bb.4268:                             ;   in Loop: Header=BB4_3436 Depth=3
	s_or_b32 exec_lo, exec_lo, s23
	s_and_b32 s16, s16, exec_lo
	s_or_saveexec_b32 s22, s22
	v_mov_b32_e32 v108, 0x7f800001
	s_xor_b32 exec_lo, exec_lo, s22
	s_cbranch_execnz .LBB4_4771
.LBB4_4269:                             ;   in Loop: Header=BB4_3436 Depth=3
	s_or_b32 exec_lo, exec_lo, s22
	s_and_saveexec_b32 s22, s16
	s_cbranch_execz .LBB4_4271
.LBB4_4270:                             ;   in Loop: Header=BB4_3436 Depth=3
	v_bfe_u32 v108, v13, 24, 3
	v_bfe_u32 v111, v13, 27, 4
	v_ffbh_u32_e32 v109, v108
	v_cmp_eq_u32_e32 vcc_lo, 0, v111
	v_min_u32_e32 v109, 32, v109
	v_subrev_nc_u32_e32 v110, 28, v109
	v_sub_nc_u32_e32 v109, 29, v109
	v_lshlrev_b32_sdwa v110, v110, v13 dst_sel:DWORD dst_unused:UNUSED_PAD src0_sel:DWORD src1_sel:BYTE_3
	v_cndmask_b32_e32 v109, v111, v109, vcc_lo
	v_and_b32_e32 v110, 7, v110
	v_lshl_add_u32 v109, v109, 23, 0x3b800000
	v_cndmask_b32_e32 v108, v108, v110, vcc_lo
	v_and_b32_e32 v110, 0x80000000, v13
	v_lshlrev_b32_e32 v108, 20, v108
	v_or3_b32 v108, v110, v109, v108
.LBB4_4271:                             ;   in Loop: Header=BB4_3436 Depth=3
	s_or_b32 exec_lo, exec_lo, s22
	v_cmp_gt_i16_sdwa s22, v9, v117 src0_sel:BYTE_3 src1_sel:DWORD
	s_mov_b32 s16, 0
	s_and_saveexec_b32 s23, s22
	s_xor_b32 s22, exec_lo, s23
	s_cbranch_execz .LBB4_4772
; %bb.4272:                             ;   in Loop: Header=BB4_3436 Depth=3
	v_cmp_eq_u16_sdwa s73, v9, v118 src0_sel:BYTE_3 src1_sel:DWORD
	s_mov_b32 s16, -1
	s_and_saveexec_b32 s23, s73
; %bb.4273:                             ;   in Loop: Header=BB4_3436 Depth=3
	s_xor_b32 s16, exec_lo, -1
; %bb.4274:                             ;   in Loop: Header=BB4_3436 Depth=3
	s_or_b32 exec_lo, exec_lo, s23
	s_and_b32 s16, s16, exec_lo
	s_or_saveexec_b32 s22, s22
	v_mov_b32_e32 v109, 0x7f800001
	s_xor_b32 exec_lo, exec_lo, s22
	s_cbranch_execnz .LBB4_4773
.LBB4_4275:                             ;   in Loop: Header=BB4_3436 Depth=3
	s_or_b32 exec_lo, exec_lo, s22
	s_and_saveexec_b32 s22, s16
	s_cbranch_execz .LBB4_4277
.LBB4_4276:                             ;   in Loop: Header=BB4_3436 Depth=3
	v_bfe_u32 v109, v9, 24, 3
	v_bfe_u32 v120, v9, 27, 4
	v_ffbh_u32_e32 v110, v109
	v_cmp_eq_u32_e32 vcc_lo, 0, v120
	v_min_u32_e32 v110, 32, v110
	v_subrev_nc_u32_e32 v111, 28, v110
	v_sub_nc_u32_e32 v110, 29, v110
	v_lshlrev_b32_sdwa v111, v111, v9 dst_sel:DWORD dst_unused:UNUSED_PAD src0_sel:DWORD src1_sel:BYTE_3
	v_cndmask_b32_e32 v110, v120, v110, vcc_lo
	v_and_b32_e32 v111, 7, v111
	v_lshl_add_u32 v110, v110, 23, 0x3b800000
	v_cndmask_b32_e32 v109, v109, v111, vcc_lo
	v_and_b32_e32 v111, 0x80000000, v9
	v_lshlrev_b32_e32 v109, 20, v109
	v_or3_b32 v109, v111, v110, v109
.LBB4_4277:                             ;   in Loop: Header=BB4_3436 Depth=3
	s_or_b32 exec_lo, exec_lo, s22
	v_max_f32_e32 v109, v109, v109
	v_max_f32_e32 v108, v108, v108
	s_mov_b32 s16, 0
	v_max_f32_e32 v108, v108, v109
.LBB4_4278:                             ;   in Loop: Header=BB4_3436 Depth=3
	s_and_b32 vcc_lo, exec_lo, s16
	s_cbranch_vccz .LBB4_4292
; %bb.4279:                             ;   in Loop: Header=BB4_3436 Depth=3
	v_cmp_gt_i16_sdwa s22, v13, v117 src0_sel:BYTE_3 src1_sel:DWORD
	s_mov_b32 s16, 0
	s_and_saveexec_b32 s23, s22
	s_xor_b32 s22, exec_lo, s23
	s_cbranch_execz .LBB4_4774
; %bb.4280:                             ;   in Loop: Header=BB4_3436 Depth=3
	v_cmp_eq_u16_sdwa s73, v13, v118 src0_sel:BYTE_3 src1_sel:DWORD
	s_mov_b32 s16, -1
	s_and_saveexec_b32 s23, s73
; %bb.4281:                             ;   in Loop: Header=BB4_3436 Depth=3
	s_xor_b32 s16, exec_lo, -1
; %bb.4282:                             ;   in Loop: Header=BB4_3436 Depth=3
	s_or_b32 exec_lo, exec_lo, s23
	s_and_b32 s16, s16, exec_lo
	s_or_saveexec_b32 s22, s22
	v_mov_b32_e32 v108, 0x7f800001
	s_xor_b32 exec_lo, exec_lo, s22
	s_cbranch_execnz .LBB4_4775
.LBB4_4283:                             ;   in Loop: Header=BB4_3436 Depth=3
	s_or_b32 exec_lo, exec_lo, s22
	s_and_saveexec_b32 s22, s16
	s_cbranch_execz .LBB4_4285
.LBB4_4284:                             ;   in Loop: Header=BB4_3436 Depth=3
	v_bfe_u32 v108, v13, 24, 3
	v_bfe_u32 v111, v13, 27, 4
	v_ffbh_u32_e32 v109, v108
	v_cmp_eq_u32_e32 vcc_lo, 0, v111
	v_min_u32_e32 v109, 32, v109
	v_subrev_nc_u32_e32 v110, 28, v109
	v_sub_nc_u32_e32 v109, 29, v109
	v_lshlrev_b32_sdwa v110, v110, v13 dst_sel:DWORD dst_unused:UNUSED_PAD src0_sel:DWORD src1_sel:BYTE_3
	v_cndmask_b32_e32 v109, v111, v109, vcc_lo
	v_and_b32_e32 v13, 0x80000000, v13
	v_and_b32_e32 v110, 7, v110
	v_lshl_add_u32 v109, v109, 23, 0x3b800000
	v_cndmask_b32_e32 v108, v108, v110, vcc_lo
	v_lshlrev_b32_e32 v108, 20, v108
	v_or3_b32 v108, v13, v109, v108
.LBB4_4285:                             ;   in Loop: Header=BB4_3436 Depth=3
	s_or_b32 exec_lo, exec_lo, s22
	v_cmp_gt_i16_sdwa s22, v9, v117 src0_sel:BYTE_3 src1_sel:DWORD
	s_mov_b32 s16, 0
	s_and_saveexec_b32 s23, s22
	s_xor_b32 s22, exec_lo, s23
	s_cbranch_execz .LBB4_4776
; %bb.4286:                             ;   in Loop: Header=BB4_3436 Depth=3
	v_cmp_eq_u16_sdwa s73, v9, v118 src0_sel:BYTE_3 src1_sel:DWORD
	s_mov_b32 s16, -1
	s_and_saveexec_b32 s23, s73
; %bb.4287:                             ;   in Loop: Header=BB4_3436 Depth=3
	s_xor_b32 s16, exec_lo, -1
; %bb.4288:                             ;   in Loop: Header=BB4_3436 Depth=3
	s_or_b32 exec_lo, exec_lo, s23
	s_and_b32 s16, s16, exec_lo
	s_or_saveexec_b32 s22, s22
	v_mov_b32_e32 v13, 0x7f800001
	s_xor_b32 exec_lo, exec_lo, s22
	s_cbranch_execnz .LBB4_4777
.LBB4_4289:                             ;   in Loop: Header=BB4_3436 Depth=3
	s_or_b32 exec_lo, exec_lo, s22
	s_and_saveexec_b32 s22, s16
	s_cbranch_execz .LBB4_4291
.LBB4_4290:                             ;   in Loop: Header=BB4_3436 Depth=3
	v_bfe_u32 v13, v9, 24, 3
	v_bfe_u32 v111, v9, 27, 4
	v_ffbh_u32_e32 v109, v13
	v_cmp_eq_u32_e32 vcc_lo, 0, v111
	v_min_u32_e32 v109, 32, v109
	v_subrev_nc_u32_e32 v110, 28, v109
	v_sub_nc_u32_e32 v109, 29, v109
	v_lshlrev_b32_sdwa v110, v110, v9 dst_sel:DWORD dst_unused:UNUSED_PAD src0_sel:DWORD src1_sel:BYTE_3
	v_cndmask_b32_e32 v109, v111, v109, vcc_lo
	v_and_b32_e32 v9, 0x80000000, v9
	v_and_b32_e32 v110, 7, v110
	v_lshl_add_u32 v109, v109, 23, 0x3b800000
	v_cndmask_b32_e32 v13, v13, v110, vcc_lo
	v_lshlrev_b32_e32 v13, 20, v13
	v_or3_b32 v13, v9, v109, v13
.LBB4_4291:                             ;   in Loop: Header=BB4_3436 Depth=3
	s_or_b32 exec_lo, exec_lo, s22
	v_max_f32_e32 v9, v13, v13
	v_max_f32_e32 v13, v108, v108
	v_min_f32_e32 v108, v13, v9
.LBB4_4292:                             ;   in Loop: Header=BB4_3436 Depth=3
	v_and_b32_e32 v9, 0x7f800000, v108
	v_cmp_ne_u32_e32 vcc_lo, 0x7f800000, v9
	v_mov_b32_e32 v9, 0x8000
	s_and_saveexec_b32 s22, vcc_lo
	s_cbranch_execz .LBB4_4300
; %bb.4293:                             ;   in Loop: Header=BB4_3436 Depth=3
	v_mov_b32_e32 v9, 0
	s_mov_b32 s23, exec_lo
	v_cmpx_ne_u32_e32 0, v108
	s_cbranch_execz .LBB4_4299
; %bb.4294:                             ;   in Loop: Header=BB4_3436 Depth=3
	v_bfe_u32 v9, v108, 23, 8
	v_and_b32_e32 v13, 0x7fffff, v108
	v_sub_nc_u32_e32 v109, 0x78, v9
	v_cmp_gt_u32_e32 vcc_lo, 0x79, v9
	v_or_b32_e32 v110, 0x800000, v13
	v_cndmask_b32_e32 v109, 0, v109, vcc_lo
	v_cmp_eq_u32_e32 vcc_lo, 0, v9
	v_add_nc_u32_e32 v9, 0xffffff89, v9
	v_cndmask_b32_e64 v109, v109, 0x77, vcc_lo
	v_cndmask_b32_e32 v13, v110, v13, vcc_lo
	v_cndmask_b32_e64 v9, v9, 0xffffff8a, vcc_lo
	v_lshl_add_u32 v110, 0x100000, v109, -1
	v_lshrrev_b32_e32 v111, v109, v13
	v_lshlrev_b32_e64 v121, v109, 0x80000
	v_add_nc_u32_e32 v109, v109, v9
	v_and_b32_e32 v13, v110, v13
	v_bfe_u32 v120, v111, 20, 1
	v_cmp_eq_u32_e64 s16, v13, v121
	v_add_nc_u32_e32 v110, -1, v120
	v_cndmask_b32_e64 v13, 0, v110, s16
	v_lshrrev_b32_e32 v110, 23, v111
	s_mov_b32 s16, exec_lo
	v_add_nc_u32_e32 v13, v13, v111
	v_xor_b32_e32 v110, 1, v110
	v_and_b32_e32 v9, 0xfffff, v13
	v_add_nc_u32_e32 v13, v9, v111
                                        ; implicit-def: $vgpr9
	v_cmpx_ne_u32_e64 v109, v110
	s_xor_b32 s16, exec_lo, s16
; %bb.4295:                             ;   in Loop: Header=BB4_3436 Depth=3
	v_cmp_lt_u32_e32 vcc_lo, 0xffffff, v13
	v_sub_nc_u32_e32 v9, v109, v110
	v_cndmask_b32_e64 v109, 0, 1, vcc_lo
	v_add_co_ci_u32_e64 v9, null, 0, v9, vcc_lo
	v_lshrrev_b32_e32 v13, v109, v13
; %bb.4296:                             ;   in Loop: Header=BB4_3436 Depth=3
	s_andn2_saveexec_b32 s16, s16
; %bb.4297:                             ;   in Loop: Header=BB4_3436 Depth=3
	v_bfe_u32 v9, v13, 23, 1
; %bb.4298:                             ;   in Loop: Header=BB4_3436 Depth=3
	s_or_b32 exec_lo, exec_lo, s16
	v_lshrrev_b32_e32 v13, 20, v13
	v_min_i32_e32 v109, 15, v9
	v_cmp_gt_i32_e32 vcc_lo, 16, v9
	v_and_b32_sdwa v108, v108, v118 dst_sel:DWORD dst_unused:UNUSED_PAD src0_sel:BYTE_3 src1_sel:DWORD
	v_lshlrev_b32_e32 v109, 3, v109
	v_cndmask_b32_e32 v13, 7, v13, vcc_lo
	v_and_b32_e32 v109, 0xf8, v109
	v_and_b32_e32 v110, 7, v13
	v_or_b32_e32 v9, v9, v13
	v_or3_b32 v108, v108, v109, v110
	v_cmp_ne_u32_e32 vcc_lo, 0, v9
	v_lshlrev_b32_e32 v13, 8, v108
	v_cndmask_b32_e32 v9, 0, v13, vcc_lo
.LBB4_4299:                             ;   in Loop: Header=BB4_3436 Depth=3
	s_or_b32 exec_lo, exec_lo, s23
.LBB4_4300:                             ;   in Loop: Header=BB4_3436 Depth=3
	s_or_b32 exec_lo, exec_lo, s22
	v_cmp_gt_i16_sdwa s22, v14, v117 src0_sel:BYTE_0 src1_sel:DWORD
	s_andn2_b32 vcc_lo, exec_lo, s19
	s_mov_b32 s16, -1
                                        ; implicit-def: $vgpr108
	s_cbranch_vccnz .LBB4_4314
; %bb.4301:                             ;   in Loop: Header=BB4_3436 Depth=3
	s_mov_b32 s16, 0
	s_and_saveexec_b32 s23, s22
	s_xor_b32 s22, exec_lo, s23
	s_cbranch_execz .LBB4_4778
; %bb.4302:                             ;   in Loop: Header=BB4_3436 Depth=3
	v_cmp_eq_u16_sdwa s73, v14, v118 src0_sel:BYTE_0 src1_sel:DWORD
	s_mov_b32 s16, -1
	s_and_saveexec_b32 s23, s73
; %bb.4303:                             ;   in Loop: Header=BB4_3436 Depth=3
	s_xor_b32 s16, exec_lo, -1
; %bb.4304:                             ;   in Loop: Header=BB4_3436 Depth=3
	s_or_b32 exec_lo, exec_lo, s23
	s_and_b32 s16, s16, exec_lo
	s_or_saveexec_b32 s22, s22
	v_mov_b32_e32 v13, 0x7f800001
	s_xor_b32 exec_lo, exec_lo, s22
	s_cbranch_execnz .LBB4_4779
.LBB4_4305:                             ;   in Loop: Header=BB4_3436 Depth=3
	s_or_b32 exec_lo, exec_lo, s22
	s_and_saveexec_b32 s22, s16
	s_cbranch_execz .LBB4_4307
.LBB4_4306:                             ;   in Loop: Header=BB4_3436 Depth=3
	v_and_b32_e32 v13, 7, v14
	v_bfe_u32 v110, v14, 3, 4
	v_lshlrev_b32_e32 v111, 24, v14
	v_ffbh_u32_e32 v108, v13
	v_cmp_eq_u32_e32 vcc_lo, 0, v110
	v_min_u32_e32 v108, 32, v108
	v_subrev_nc_u32_e32 v109, 28, v108
	v_sub_nc_u32_e32 v108, 29, v108
	v_lshlrev_b32_e32 v109, v109, v14
	v_cndmask_b32_e32 v108, v110, v108, vcc_lo
	v_and_b32_e32 v109, 7, v109
	v_lshl_add_u32 v108, v108, 23, 0x3b800000
	v_cndmask_b32_e32 v13, v13, v109, vcc_lo
	v_and_b32_e32 v109, 0x80000000, v111
	v_lshlrev_b32_e32 v13, 20, v13
	v_or3_b32 v13, v109, v108, v13
.LBB4_4307:                             ;   in Loop: Header=BB4_3436 Depth=3
	s_or_b32 exec_lo, exec_lo, s22
	v_cmp_gt_i16_sdwa s22, v10, v117 src0_sel:BYTE_0 src1_sel:DWORD
	s_mov_b32 s16, 0
	s_and_saveexec_b32 s23, s22
	s_xor_b32 s22, exec_lo, s23
	s_cbranch_execz .LBB4_4780
; %bb.4308:                             ;   in Loop: Header=BB4_3436 Depth=3
	v_cmp_eq_u16_sdwa s73, v10, v118 src0_sel:BYTE_0 src1_sel:DWORD
	s_mov_b32 s16, -1
	s_and_saveexec_b32 s23, s73
; %bb.4309:                             ;   in Loop: Header=BB4_3436 Depth=3
	s_xor_b32 s16, exec_lo, -1
; %bb.4310:                             ;   in Loop: Header=BB4_3436 Depth=3
	s_or_b32 exec_lo, exec_lo, s23
	s_and_b32 s16, s16, exec_lo
	s_or_saveexec_b32 s22, s22
	v_mov_b32_e32 v108, 0x7f800001
	s_xor_b32 exec_lo, exec_lo, s22
	s_cbranch_execnz .LBB4_4781
.LBB4_4311:                             ;   in Loop: Header=BB4_3436 Depth=3
	s_or_b32 exec_lo, exec_lo, s22
	s_and_saveexec_b32 s22, s16
	s_cbranch_execz .LBB4_4313
.LBB4_4312:                             ;   in Loop: Header=BB4_3436 Depth=3
	v_and_b32_e32 v108, 7, v10
	v_bfe_u32 v111, v10, 3, 4
	v_lshlrev_b32_e32 v120, 24, v10
	v_ffbh_u32_e32 v109, v108
	v_cmp_eq_u32_e32 vcc_lo, 0, v111
	v_min_u32_e32 v109, 32, v109
	v_subrev_nc_u32_e32 v110, 28, v109
	v_sub_nc_u32_e32 v109, 29, v109
	v_lshlrev_b32_e32 v110, v110, v10
	v_cndmask_b32_e32 v109, v111, v109, vcc_lo
	v_and_b32_e32 v110, 7, v110
	v_lshl_add_u32 v109, v109, 23, 0x3b800000
	v_cndmask_b32_e32 v108, v108, v110, vcc_lo
	v_and_b32_e32 v110, 0x80000000, v120
	v_lshlrev_b32_e32 v108, 20, v108
	v_or3_b32 v108, v110, v109, v108
.LBB4_4313:                             ;   in Loop: Header=BB4_3436 Depth=3
	s_or_b32 exec_lo, exec_lo, s22
	v_max_f32_e32 v108, v108, v108
	v_max_f32_e32 v13, v13, v13
	s_mov_b32 s16, 0
	v_max_f32_e32 v108, v13, v108
.LBB4_4314:                             ;   in Loop: Header=BB4_3436 Depth=3
	s_and_b32 vcc_lo, exec_lo, s16
	s_cbranch_vccz .LBB4_4328
; %bb.4315:                             ;   in Loop: Header=BB4_3436 Depth=3
	v_cmp_gt_i16_sdwa s22, v14, v117 src0_sel:BYTE_0 src1_sel:DWORD
	s_mov_b32 s16, 0
	s_and_saveexec_b32 s23, s22
	s_xor_b32 s22, exec_lo, s23
	s_cbranch_execz .LBB4_4782
; %bb.4316:                             ;   in Loop: Header=BB4_3436 Depth=3
	v_cmp_eq_u16_sdwa s73, v14, v118 src0_sel:BYTE_0 src1_sel:DWORD
	s_mov_b32 s16, -1
	s_and_saveexec_b32 s23, s73
; %bb.4317:                             ;   in Loop: Header=BB4_3436 Depth=3
	s_xor_b32 s16, exec_lo, -1
; %bb.4318:                             ;   in Loop: Header=BB4_3436 Depth=3
	s_or_b32 exec_lo, exec_lo, s23
	s_and_b32 s16, s16, exec_lo
	s_or_saveexec_b32 s22, s22
	v_mov_b32_e32 v13, 0x7f800001
	s_xor_b32 exec_lo, exec_lo, s22
	s_cbranch_execnz .LBB4_4783
.LBB4_4319:                             ;   in Loop: Header=BB4_3436 Depth=3
	s_or_b32 exec_lo, exec_lo, s22
	s_and_saveexec_b32 s22, s16
	s_cbranch_execz .LBB4_4321
.LBB4_4320:                             ;   in Loop: Header=BB4_3436 Depth=3
	v_and_b32_e32 v13, 7, v14
	v_bfe_u32 v110, v14, 3, 4
	v_lshlrev_b32_e32 v111, 24, v14
	v_ffbh_u32_e32 v108, v13
	v_cmp_eq_u32_e32 vcc_lo, 0, v110
	v_min_u32_e32 v108, 32, v108
	v_subrev_nc_u32_e32 v109, 28, v108
	v_sub_nc_u32_e32 v108, 29, v108
	v_lshlrev_b32_e32 v109, v109, v14
	v_cndmask_b32_e32 v108, v110, v108, vcc_lo
	v_and_b32_e32 v109, 7, v109
	v_lshl_add_u32 v108, v108, 23, 0x3b800000
	v_cndmask_b32_e32 v13, v13, v109, vcc_lo
	v_and_b32_e32 v109, 0x80000000, v111
	v_lshlrev_b32_e32 v13, 20, v13
	v_or3_b32 v13, v109, v108, v13
.LBB4_4321:                             ;   in Loop: Header=BB4_3436 Depth=3
	s_or_b32 exec_lo, exec_lo, s22
	v_cmp_gt_i16_sdwa s22, v10, v117 src0_sel:BYTE_0 src1_sel:DWORD
	s_mov_b32 s16, 0
	s_and_saveexec_b32 s23, s22
	s_xor_b32 s22, exec_lo, s23
	s_cbranch_execz .LBB4_4784
; %bb.4322:                             ;   in Loop: Header=BB4_3436 Depth=3
	v_cmp_eq_u16_sdwa s73, v10, v118 src0_sel:BYTE_0 src1_sel:DWORD
	s_mov_b32 s16, -1
	s_and_saveexec_b32 s23, s73
; %bb.4323:                             ;   in Loop: Header=BB4_3436 Depth=3
	s_xor_b32 s16, exec_lo, -1
; %bb.4324:                             ;   in Loop: Header=BB4_3436 Depth=3
	s_or_b32 exec_lo, exec_lo, s23
	s_and_b32 s16, s16, exec_lo
	s_or_saveexec_b32 s22, s22
	v_mov_b32_e32 v108, 0x7f800001
	s_xor_b32 exec_lo, exec_lo, s22
	s_cbranch_execnz .LBB4_4785
.LBB4_4325:                             ;   in Loop: Header=BB4_3436 Depth=3
	s_or_b32 exec_lo, exec_lo, s22
	s_and_saveexec_b32 s22, s16
	s_cbranch_execz .LBB4_4327
.LBB4_4326:                             ;   in Loop: Header=BB4_3436 Depth=3
	v_and_b32_e32 v108, 7, v10
	v_bfe_u32 v111, v10, 3, 4
	v_lshlrev_b32_e32 v120, 24, v10
	v_ffbh_u32_e32 v109, v108
	v_cmp_eq_u32_e32 vcc_lo, 0, v111
	v_min_u32_e32 v109, 32, v109
	v_subrev_nc_u32_e32 v110, 28, v109
	v_sub_nc_u32_e32 v109, 29, v109
	v_lshlrev_b32_e32 v110, v110, v10
	v_cndmask_b32_e32 v109, v111, v109, vcc_lo
	v_and_b32_e32 v110, 7, v110
	v_lshl_add_u32 v109, v109, 23, 0x3b800000
	v_cndmask_b32_e32 v108, v108, v110, vcc_lo
	v_and_b32_e32 v110, 0x80000000, v120
	v_lshlrev_b32_e32 v108, 20, v108
	v_or3_b32 v108, v110, v109, v108
.LBB4_4327:                             ;   in Loop: Header=BB4_3436 Depth=3
	s_or_b32 exec_lo, exec_lo, s22
	v_max_f32_e32 v108, v108, v108
	v_max_f32_e32 v13, v13, v13
	v_min_f32_e32 v108, v13, v108
.LBB4_4328:                             ;   in Loop: Header=BB4_3436 Depth=3
	v_and_b32_e32 v13, 0x7f800000, v108
	v_cmp_ne_u32_e32 vcc_lo, 0x7f800000, v13
	v_mov_b32_e32 v13, 0x80
	s_and_saveexec_b32 s22, vcc_lo
	s_cbranch_execz .LBB4_4336
; %bb.4329:                             ;   in Loop: Header=BB4_3436 Depth=3
	v_mov_b32_e32 v13, 0
	s_mov_b32 s23, exec_lo
	v_cmpx_ne_u32_e32 0, v108
	s_cbranch_execz .LBB4_4335
; %bb.4330:                             ;   in Loop: Header=BB4_3436 Depth=3
	v_bfe_u32 v13, v108, 23, 8
	v_and_b32_e32 v109, 0x7fffff, v108
	v_sub_nc_u32_e32 v110, 0x78, v13
	v_cmp_gt_u32_e32 vcc_lo, 0x79, v13
	v_or_b32_e32 v111, 0x800000, v109
	v_cndmask_b32_e32 v110, 0, v110, vcc_lo
	v_cmp_eq_u32_e32 vcc_lo, 0, v13
	v_add_nc_u32_e32 v13, 0xffffff89, v13
	v_cndmask_b32_e64 v110, v110, 0x77, vcc_lo
	v_cndmask_b32_e32 v109, v111, v109, vcc_lo
	v_cndmask_b32_e64 v13, v13, 0xffffff8a, vcc_lo
	v_lshl_add_u32 v111, 0x100000, v110, -1
	v_lshrrev_b32_e32 v120, v110, v109
	v_lshlrev_b32_e64 v122, v110, 0x80000
	v_add_nc_u32_e32 v110, v110, v13
	v_and_b32_e32 v109, v111, v109
	v_bfe_u32 v121, v120, 20, 1
	v_cmp_eq_u32_e64 s16, v109, v122
	v_add_nc_u32_e32 v111, -1, v121
	v_cndmask_b32_e64 v109, 0, v111, s16
	v_lshrrev_b32_e32 v111, 23, v120
	s_mov_b32 s16, exec_lo
	v_add_nc_u32_e32 v109, v109, v120
	v_xor_b32_e32 v111, 1, v111
	v_and_b32_e32 v13, 0xfffff, v109
	v_add_nc_u32_e32 v109, v13, v120
                                        ; implicit-def: $vgpr13
	v_cmpx_ne_u32_e64 v110, v111
	s_xor_b32 s16, exec_lo, s16
; %bb.4331:                             ;   in Loop: Header=BB4_3436 Depth=3
	v_cmp_lt_u32_e32 vcc_lo, 0xffffff, v109
	v_sub_nc_u32_e32 v13, v110, v111
	v_cndmask_b32_e64 v110, 0, 1, vcc_lo
	v_add_co_ci_u32_e64 v13, null, 0, v13, vcc_lo
	v_lshrrev_b32_e32 v109, v110, v109
; %bb.4332:                             ;   in Loop: Header=BB4_3436 Depth=3
	s_andn2_saveexec_b32 s16, s16
; %bb.4333:                             ;   in Loop: Header=BB4_3436 Depth=3
	v_bfe_u32 v13, v109, 23, 1
; %bb.4334:                             ;   in Loop: Header=BB4_3436 Depth=3
	s_or_b32 exec_lo, exec_lo, s16
	v_lshrrev_b32_e32 v109, 20, v109
	v_min_i32_e32 v110, 15, v13
	v_cmp_gt_i32_e32 vcc_lo, 16, v13
	v_and_b32_sdwa v108, v108, v118 dst_sel:DWORD dst_unused:UNUSED_PAD src0_sel:BYTE_3 src1_sel:DWORD
	v_lshlrev_b32_e32 v110, 3, v110
	v_cndmask_b32_e32 v109, 7, v109, vcc_lo
	v_and_b32_e32 v110, 0xf8, v110
	v_and_b32_e32 v111, 7, v109
	v_or_b32_e32 v13, v13, v109
	v_or3_b32 v108, v110, v108, v111
	v_cmp_ne_u32_e32 vcc_lo, 0, v13
	v_cndmask_b32_e32 v13, 0, v108, vcc_lo
.LBB4_4335:                             ;   in Loop: Header=BB4_3436 Depth=3
	s_or_b32 exec_lo, exec_lo, s23
.LBB4_4336:                             ;   in Loop: Header=BB4_3436 Depth=3
	s_or_b32 exec_lo, exec_lo, s22
	v_cmp_gt_i16_sdwa s22, v14, v117 src0_sel:BYTE_1 src1_sel:DWORD
	s_andn2_b32 vcc_lo, exec_lo, s19
	s_mov_b32 s16, -1
                                        ; implicit-def: $vgpr109
	s_cbranch_vccnz .LBB4_4350
; %bb.4337:                             ;   in Loop: Header=BB4_3436 Depth=3
	s_mov_b32 s16, 0
	s_and_saveexec_b32 s23, s22
	s_xor_b32 s22, exec_lo, s23
	s_cbranch_execz .LBB4_4786
; %bb.4338:                             ;   in Loop: Header=BB4_3436 Depth=3
	v_cmp_eq_u16_sdwa s73, v14, v118 src0_sel:BYTE_1 src1_sel:DWORD
	s_mov_b32 s16, -1
	s_and_saveexec_b32 s23, s73
; %bb.4339:                             ;   in Loop: Header=BB4_3436 Depth=3
	s_xor_b32 s16, exec_lo, -1
; %bb.4340:                             ;   in Loop: Header=BB4_3436 Depth=3
	s_or_b32 exec_lo, exec_lo, s23
	s_and_b32 s16, s16, exec_lo
	s_or_saveexec_b32 s22, s22
	v_mov_b32_e32 v108, 0x7f800001
	s_xor_b32 exec_lo, exec_lo, s22
	s_cbranch_execnz .LBB4_4787
.LBB4_4341:                             ;   in Loop: Header=BB4_3436 Depth=3
	s_or_b32 exec_lo, exec_lo, s22
	s_and_saveexec_b32 s22, s16
	s_cbranch_execz .LBB4_4343
.LBB4_4342:                             ;   in Loop: Header=BB4_3436 Depth=3
	v_and_b32_sdwa v108, v119, v14 dst_sel:DWORD dst_unused:UNUSED_PAD src0_sel:DWORD src1_sel:BYTE_1
	v_and_b32_e32 v109, 7, v108
	v_bfe_u32 v120, v108, 3, 4
	v_ffbh_u32_e32 v110, v109
	v_cmp_eq_u32_e32 vcc_lo, 0, v120
	v_min_u32_e32 v110, 32, v110
	v_subrev_nc_u32_e32 v111, 28, v110
	v_sub_nc_u32_e32 v110, 29, v110
	v_lshlrev_b32_e32 v108, v111, v108
	v_lshlrev_b32_e32 v111, 16, v14
	v_cndmask_b32_e32 v110, v120, v110, vcc_lo
	v_and_b32_e32 v108, 7, v108
	v_lshl_add_u32 v110, v110, 23, 0x3b800000
	v_cndmask_b32_e32 v108, v109, v108, vcc_lo
	v_and_b32_e32 v109, 0x80000000, v111
	v_lshlrev_b32_e32 v108, 20, v108
	v_or3_b32 v108, v109, v110, v108
.LBB4_4343:                             ;   in Loop: Header=BB4_3436 Depth=3
	s_or_b32 exec_lo, exec_lo, s22
	v_cmp_gt_i16_sdwa s22, v10, v117 src0_sel:BYTE_1 src1_sel:DWORD
	s_mov_b32 s16, 0
	s_and_saveexec_b32 s23, s22
	s_xor_b32 s22, exec_lo, s23
	s_cbranch_execz .LBB4_4788
; %bb.4344:                             ;   in Loop: Header=BB4_3436 Depth=3
	v_cmp_eq_u16_sdwa s73, v10, v118 src0_sel:BYTE_1 src1_sel:DWORD
	s_mov_b32 s16, -1
	s_and_saveexec_b32 s23, s73
; %bb.4345:                             ;   in Loop: Header=BB4_3436 Depth=3
	s_xor_b32 s16, exec_lo, -1
; %bb.4346:                             ;   in Loop: Header=BB4_3436 Depth=3
	s_or_b32 exec_lo, exec_lo, s23
	s_and_b32 s16, s16, exec_lo
	s_or_saveexec_b32 s22, s22
	v_mov_b32_e32 v109, 0x7f800001
	s_xor_b32 exec_lo, exec_lo, s22
	s_cbranch_execnz .LBB4_4789
.LBB4_4347:                             ;   in Loop: Header=BB4_3436 Depth=3
	s_or_b32 exec_lo, exec_lo, s22
	s_and_saveexec_b32 s22, s16
	s_cbranch_execz .LBB4_4349
.LBB4_4348:                             ;   in Loop: Header=BB4_3436 Depth=3
	v_and_b32_sdwa v109, v119, v10 dst_sel:DWORD dst_unused:UNUSED_PAD src0_sel:DWORD src1_sel:BYTE_1
	v_and_b32_e32 v110, 7, v109
	v_bfe_u32 v121, v109, 3, 4
	v_ffbh_u32_e32 v111, v110
	v_cmp_eq_u32_e32 vcc_lo, 0, v121
	v_min_u32_e32 v111, 32, v111
	v_subrev_nc_u32_e32 v120, 28, v111
	v_sub_nc_u32_e32 v111, 29, v111
	v_lshlrev_b32_e32 v109, v120, v109
	v_lshlrev_b32_e32 v120, 16, v10
	v_cndmask_b32_e32 v111, v121, v111, vcc_lo
	v_and_b32_e32 v109, 7, v109
	v_lshl_add_u32 v111, v111, 23, 0x3b800000
	v_cndmask_b32_e32 v109, v110, v109, vcc_lo
	v_and_b32_e32 v110, 0x80000000, v120
	v_lshlrev_b32_e32 v109, 20, v109
	v_or3_b32 v109, v110, v111, v109
.LBB4_4349:                             ;   in Loop: Header=BB4_3436 Depth=3
	s_or_b32 exec_lo, exec_lo, s22
	v_max_f32_e32 v109, v109, v109
	v_max_f32_e32 v108, v108, v108
	s_mov_b32 s16, 0
	v_max_f32_e32 v109, v108, v109
.LBB4_4350:                             ;   in Loop: Header=BB4_3436 Depth=3
	s_and_b32 vcc_lo, exec_lo, s16
	s_cbranch_vccz .LBB4_4364
; %bb.4351:                             ;   in Loop: Header=BB4_3436 Depth=3
	v_cmp_gt_i16_sdwa s22, v14, v117 src0_sel:BYTE_1 src1_sel:DWORD
	s_mov_b32 s16, 0
	s_and_saveexec_b32 s23, s22
	s_xor_b32 s22, exec_lo, s23
	s_cbranch_execz .LBB4_4790
; %bb.4352:                             ;   in Loop: Header=BB4_3436 Depth=3
	v_cmp_eq_u16_sdwa s73, v14, v118 src0_sel:BYTE_1 src1_sel:DWORD
	s_mov_b32 s16, -1
	s_and_saveexec_b32 s23, s73
; %bb.4353:                             ;   in Loop: Header=BB4_3436 Depth=3
	s_xor_b32 s16, exec_lo, -1
; %bb.4354:                             ;   in Loop: Header=BB4_3436 Depth=3
	s_or_b32 exec_lo, exec_lo, s23
	s_and_b32 s16, s16, exec_lo
	s_or_saveexec_b32 s22, s22
	v_mov_b32_e32 v108, 0x7f800001
	s_xor_b32 exec_lo, exec_lo, s22
	s_cbranch_execnz .LBB4_4791
.LBB4_4355:                             ;   in Loop: Header=BB4_3436 Depth=3
	s_or_b32 exec_lo, exec_lo, s22
	s_and_saveexec_b32 s22, s16
	s_cbranch_execz .LBB4_4357
.LBB4_4356:                             ;   in Loop: Header=BB4_3436 Depth=3
	v_and_b32_sdwa v108, v119, v14 dst_sel:DWORD dst_unused:UNUSED_PAD src0_sel:DWORD src1_sel:BYTE_1
	v_and_b32_e32 v109, 7, v108
	v_bfe_u32 v120, v108, 3, 4
	v_ffbh_u32_e32 v110, v109
	v_cmp_eq_u32_e32 vcc_lo, 0, v120
	v_min_u32_e32 v110, 32, v110
	v_subrev_nc_u32_e32 v111, 28, v110
	v_sub_nc_u32_e32 v110, 29, v110
	v_lshlrev_b32_e32 v108, v111, v108
	v_lshlrev_b32_e32 v111, 16, v14
	v_cndmask_b32_e32 v110, v120, v110, vcc_lo
	v_and_b32_e32 v108, 7, v108
	v_lshl_add_u32 v110, v110, 23, 0x3b800000
	v_cndmask_b32_e32 v108, v109, v108, vcc_lo
	v_and_b32_e32 v109, 0x80000000, v111
	v_lshlrev_b32_e32 v108, 20, v108
	v_or3_b32 v108, v109, v110, v108
.LBB4_4357:                             ;   in Loop: Header=BB4_3436 Depth=3
	s_or_b32 exec_lo, exec_lo, s22
	v_cmp_gt_i16_sdwa s22, v10, v117 src0_sel:BYTE_1 src1_sel:DWORD
	s_mov_b32 s16, 0
	s_and_saveexec_b32 s23, s22
	s_xor_b32 s22, exec_lo, s23
	s_cbranch_execz .LBB4_4792
; %bb.4358:                             ;   in Loop: Header=BB4_3436 Depth=3
	v_cmp_eq_u16_sdwa s73, v10, v118 src0_sel:BYTE_1 src1_sel:DWORD
	s_mov_b32 s16, -1
	s_and_saveexec_b32 s23, s73
; %bb.4359:                             ;   in Loop: Header=BB4_3436 Depth=3
	s_xor_b32 s16, exec_lo, -1
; %bb.4360:                             ;   in Loop: Header=BB4_3436 Depth=3
	s_or_b32 exec_lo, exec_lo, s23
	s_and_b32 s16, s16, exec_lo
	s_or_saveexec_b32 s22, s22
	v_mov_b32_e32 v109, 0x7f800001
	s_xor_b32 exec_lo, exec_lo, s22
	s_cbranch_execnz .LBB4_4793
.LBB4_4361:                             ;   in Loop: Header=BB4_3436 Depth=3
	s_or_b32 exec_lo, exec_lo, s22
	s_and_saveexec_b32 s22, s16
	s_cbranch_execz .LBB4_4363
.LBB4_4362:                             ;   in Loop: Header=BB4_3436 Depth=3
	v_and_b32_sdwa v109, v119, v10 dst_sel:DWORD dst_unused:UNUSED_PAD src0_sel:DWORD src1_sel:BYTE_1
	v_and_b32_e32 v110, 7, v109
	v_bfe_u32 v121, v109, 3, 4
	v_ffbh_u32_e32 v111, v110
	v_cmp_eq_u32_e32 vcc_lo, 0, v121
	v_min_u32_e32 v111, 32, v111
	v_subrev_nc_u32_e32 v120, 28, v111
	v_sub_nc_u32_e32 v111, 29, v111
	v_lshlrev_b32_e32 v109, v120, v109
	v_lshlrev_b32_e32 v120, 16, v10
	v_cndmask_b32_e32 v111, v121, v111, vcc_lo
	v_and_b32_e32 v109, 7, v109
	v_lshl_add_u32 v111, v111, 23, 0x3b800000
	v_cndmask_b32_e32 v109, v110, v109, vcc_lo
	v_and_b32_e32 v110, 0x80000000, v120
	v_lshlrev_b32_e32 v109, 20, v109
	v_or3_b32 v109, v110, v111, v109
.LBB4_4363:                             ;   in Loop: Header=BB4_3436 Depth=3
	s_or_b32 exec_lo, exec_lo, s22
	v_max_f32_e32 v109, v109, v109
	v_max_f32_e32 v108, v108, v108
	v_min_f32_e32 v109, v108, v109
.LBB4_4364:                             ;   in Loop: Header=BB4_3436 Depth=3
	v_and_b32_e32 v108, 0x7f800000, v109
	v_cmp_ne_u32_e32 vcc_lo, 0x7f800000, v108
	v_mov_b32_e32 v108, 0x8000
	s_and_saveexec_b32 s22, vcc_lo
	s_cbranch_execz .LBB4_4372
; %bb.4365:                             ;   in Loop: Header=BB4_3436 Depth=3
	v_mov_b32_e32 v108, 0
	s_mov_b32 s23, exec_lo
	v_cmpx_ne_u32_e32 0, v109
	s_cbranch_execz .LBB4_4371
; %bb.4366:                             ;   in Loop: Header=BB4_3436 Depth=3
	v_bfe_u32 v108, v109, 23, 8
	v_and_b32_e32 v110, 0x7fffff, v109
	v_sub_nc_u32_e32 v111, 0x78, v108
	v_cmp_gt_u32_e32 vcc_lo, 0x79, v108
	v_or_b32_e32 v120, 0x800000, v110
	v_cndmask_b32_e32 v111, 0, v111, vcc_lo
	v_cmp_eq_u32_e32 vcc_lo, 0, v108
	v_add_nc_u32_e32 v108, 0xffffff89, v108
	v_cndmask_b32_e64 v111, v111, 0x77, vcc_lo
	v_cndmask_b32_e32 v110, v120, v110, vcc_lo
	v_cndmask_b32_e64 v108, v108, 0xffffff8a, vcc_lo
	v_lshl_add_u32 v120, 0x100000, v111, -1
	v_lshrrev_b32_e32 v121, v111, v110
	v_lshlrev_b32_e64 v123, v111, 0x80000
	v_add_nc_u32_e32 v111, v111, v108
	v_and_b32_e32 v110, v120, v110
	v_bfe_u32 v122, v121, 20, 1
	v_cmp_eq_u32_e64 s16, v110, v123
	v_add_nc_u32_e32 v120, -1, v122
	v_cndmask_b32_e64 v110, 0, v120, s16
	v_lshrrev_b32_e32 v120, 23, v121
	s_mov_b32 s16, exec_lo
	v_add_nc_u32_e32 v110, v110, v121
	v_xor_b32_e32 v120, 1, v120
	v_and_b32_e32 v108, 0xfffff, v110
	v_add_nc_u32_e32 v110, v108, v121
                                        ; implicit-def: $vgpr108
	v_cmpx_ne_u32_e64 v111, v120
	s_xor_b32 s16, exec_lo, s16
; %bb.4367:                             ;   in Loop: Header=BB4_3436 Depth=3
	v_cmp_lt_u32_e32 vcc_lo, 0xffffff, v110
	v_sub_nc_u32_e32 v108, v111, v120
	v_cndmask_b32_e64 v111, 0, 1, vcc_lo
	v_add_co_ci_u32_e64 v108, null, 0, v108, vcc_lo
	v_lshrrev_b32_e32 v110, v111, v110
; %bb.4368:                             ;   in Loop: Header=BB4_3436 Depth=3
	s_andn2_saveexec_b32 s16, s16
; %bb.4369:                             ;   in Loop: Header=BB4_3436 Depth=3
	v_bfe_u32 v108, v110, 23, 1
; %bb.4370:                             ;   in Loop: Header=BB4_3436 Depth=3
	s_or_b32 exec_lo, exec_lo, s16
	v_lshrrev_b32_e32 v110, 20, v110
	v_min_i32_e32 v111, 15, v108
	v_cmp_gt_i32_e32 vcc_lo, 16, v108
	v_and_b32_sdwa v109, v109, v118 dst_sel:DWORD dst_unused:UNUSED_PAD src0_sel:BYTE_3 src1_sel:DWORD
	v_lshlrev_b32_e32 v111, 3, v111
	v_cndmask_b32_e32 v110, 7, v110, vcc_lo
	v_and_b32_e32 v111, 0xf8, v111
	v_and_b32_e32 v120, 7, v110
	v_or_b32_e32 v108, v108, v110
	v_or3_b32 v109, v109, v111, v120
	v_cmp_ne_u32_e32 vcc_lo, 0, v108
	v_lshlrev_b32_e32 v109, 8, v109
	v_cndmask_b32_e32 v108, 0, v109, vcc_lo
.LBB4_4371:                             ;   in Loop: Header=BB4_3436 Depth=3
	s_or_b32 exec_lo, exec_lo, s23
.LBB4_4372:                             ;   in Loop: Header=BB4_3436 Depth=3
	s_or_b32 exec_lo, exec_lo, s22
	v_and_b32_sdwa v109, v14, v40 dst_sel:DWORD dst_unused:UNUSED_PAD src0_sel:WORD_1 src1_sel:DWORD
	s_andn2_b32 vcc_lo, exec_lo, s19
	s_mov_b32 s22, -1
                                        ; implicit-def: $vgpr110
	v_cmp_lt_i16_e64 s16, 0x7f, v109
	s_cbranch_vccnz .LBB4_4386
; %bb.4373:                             ;   in Loop: Header=BB4_3436 Depth=3
	s_mov_b32 s22, 0
	s_and_saveexec_b32 s23, s16
	s_xor_b32 s16, exec_lo, s23
	s_cbranch_execz .LBB4_4794
; %bb.4374:                             ;   in Loop: Header=BB4_3436 Depth=3
	s_mov_b32 s22, -1
	s_mov_b32 s23, exec_lo
	v_cmpx_eq_u16_e32 0x80, v109
; %bb.4375:                             ;   in Loop: Header=BB4_3436 Depth=3
	s_xor_b32 s22, exec_lo, -1
; %bb.4376:                             ;   in Loop: Header=BB4_3436 Depth=3
	s_or_b32 exec_lo, exec_lo, s23
	s_and_b32 s22, s22, exec_lo
	s_or_saveexec_b32 s16, s16
	v_mov_b32_e32 v110, 0x7f800001
	s_xor_b32 exec_lo, exec_lo, s16
	s_cbranch_execnz .LBB4_4795
.LBB4_4377:                             ;   in Loop: Header=BB4_3436 Depth=3
	s_or_b32 exec_lo, exec_lo, s16
	s_and_saveexec_b32 s16, s22
	s_cbranch_execz .LBB4_4379
.LBB4_4378:                             ;   in Loop: Header=BB4_3436 Depth=3
	v_bfe_u32 v110, v14, 16, 3
	v_bfe_u32 v121, v14, 19, 4
	v_lshlrev_b32_sdwa v122, v41, v14 dst_sel:DWORD dst_unused:UNUSED_PAD src0_sel:DWORD src1_sel:WORD_1
	v_ffbh_u32_e32 v111, v110
	v_cmp_eq_u32_e32 vcc_lo, 0, v121
	v_min_u32_e32 v111, 32, v111
	v_subrev_nc_u32_e32 v120, 28, v111
	v_sub_nc_u32_e32 v111, 29, v111
	v_lshlrev_b32_sdwa v120, v120, v14 dst_sel:DWORD dst_unused:UNUSED_PAD src0_sel:DWORD src1_sel:WORD_1
	v_cndmask_b32_e32 v111, v121, v111, vcc_lo
	v_and_b32_e32 v120, 7, v120
	v_lshl_add_u32 v111, v111, 23, 0x3b800000
	v_cndmask_b32_e32 v110, v110, v120, vcc_lo
	v_and_b32_e32 v120, 0x80000000, v122
	v_lshlrev_b32_e32 v110, 20, v110
	v_or3_b32 v110, v120, v111, v110
.LBB4_4379:                             ;   in Loop: Header=BB4_3436 Depth=3
	s_or_b32 exec_lo, exec_lo, s16
	v_and_b32_sdwa v120, v10, v40 dst_sel:DWORD dst_unused:UNUSED_PAD src0_sel:WORD_1 src1_sel:DWORD
	s_mov_b32 s16, 0
	s_mov_b32 s22, exec_lo
	v_cmpx_lt_i16_e32 0x7f, v120
	s_xor_b32 s22, exec_lo, s22
	s_cbranch_execz .LBB4_4796
; %bb.4380:                             ;   in Loop: Header=BB4_3436 Depth=3
	s_mov_b32 s16, -1
	s_mov_b32 s23, exec_lo
	v_cmpx_eq_u16_e32 0x80, v120
; %bb.4381:                             ;   in Loop: Header=BB4_3436 Depth=3
	s_xor_b32 s16, exec_lo, -1
; %bb.4382:                             ;   in Loop: Header=BB4_3436 Depth=3
	s_or_b32 exec_lo, exec_lo, s23
	s_and_b32 s16, s16, exec_lo
                                        ; implicit-def: $vgpr120
	s_or_saveexec_b32 s22, s22
	v_mov_b32_e32 v111, 0x7f800001
	s_xor_b32 exec_lo, exec_lo, s22
	s_cbranch_execnz .LBB4_4797
.LBB4_4383:                             ;   in Loop: Header=BB4_3436 Depth=3
	s_or_b32 exec_lo, exec_lo, s22
	s_and_saveexec_b32 s22, s16
	s_cbranch_execz .LBB4_4385
.LBB4_4384:                             ;   in Loop: Header=BB4_3436 Depth=3
	v_bfe_u32 v111, v10, 16, 3
	v_bfe_u32 v122, v10, 19, 4
	v_lshlrev_b32_sdwa v123, v41, v10 dst_sel:DWORD dst_unused:UNUSED_PAD src0_sel:DWORD src1_sel:WORD_1
	v_ffbh_u32_e32 v120, v111
	v_cmp_eq_u32_e32 vcc_lo, 0, v122
	v_min_u32_e32 v120, 32, v120
	v_subrev_nc_u32_e32 v121, 28, v120
	v_sub_nc_u32_e32 v120, 29, v120
	v_lshlrev_b32_sdwa v121, v121, v10 dst_sel:DWORD dst_unused:UNUSED_PAD src0_sel:DWORD src1_sel:WORD_1
	v_cndmask_b32_e32 v120, v122, v120, vcc_lo
	v_and_b32_e32 v121, 7, v121
	v_lshl_add_u32 v120, v120, 23, 0x3b800000
	v_cndmask_b32_e32 v111, v111, v121, vcc_lo
	v_and_b32_e32 v121, 0x80000000, v123
	v_lshlrev_b32_e32 v111, 20, v111
	v_or3_b32 v111, v121, v120, v111
.LBB4_4385:                             ;   in Loop: Header=BB4_3436 Depth=3
	s_or_b32 exec_lo, exec_lo, s22
	v_max_f32_e32 v111, v111, v111
	v_max_f32_e32 v110, v110, v110
	s_mov_b32 s22, 0
	v_max_f32_e32 v110, v110, v111
.LBB4_4386:                             ;   in Loop: Header=BB4_3436 Depth=3
	s_and_b32 vcc_lo, exec_lo, s22
	s_cbranch_vccz .LBB4_4400
; %bb.4387:                             ;   in Loop: Header=BB4_3436 Depth=3
	s_mov_b32 s16, 0
	s_mov_b32 s22, exec_lo
	v_cmpx_lt_i16_e32 0x7f, v109
	s_xor_b32 s22, exec_lo, s22
	s_cbranch_execz .LBB4_4798
; %bb.4388:                             ;   in Loop: Header=BB4_3436 Depth=3
	s_mov_b32 s16, -1
	s_mov_b32 s23, exec_lo
	v_cmpx_eq_u16_e32 0x80, v109
; %bb.4389:                             ;   in Loop: Header=BB4_3436 Depth=3
	s_xor_b32 s16, exec_lo, -1
; %bb.4390:                             ;   in Loop: Header=BB4_3436 Depth=3
	s_or_b32 exec_lo, exec_lo, s23
	s_and_b32 s16, s16, exec_lo
                                        ; implicit-def: $vgpr109
	s_or_saveexec_b32 s22, s22
	v_mov_b32_e32 v110, 0x7f800001
	s_xor_b32 exec_lo, exec_lo, s22
	s_cbranch_execnz .LBB4_4799
.LBB4_4391:                             ;   in Loop: Header=BB4_3436 Depth=3
	s_or_b32 exec_lo, exec_lo, s22
	s_and_saveexec_b32 s22, s16
	s_cbranch_execz .LBB4_4393
.LBB4_4392:                             ;   in Loop: Header=BB4_3436 Depth=3
	v_bfe_u32 v109, v14, 16, 3
	v_bfe_u32 v120, v14, 19, 4
	v_lshlrev_b32_sdwa v121, v41, v14 dst_sel:DWORD dst_unused:UNUSED_PAD src0_sel:DWORD src1_sel:WORD_1
	v_ffbh_u32_e32 v110, v109
	v_cmp_eq_u32_e32 vcc_lo, 0, v120
	v_min_u32_e32 v110, 32, v110
	v_subrev_nc_u32_e32 v111, 28, v110
	v_sub_nc_u32_e32 v110, 29, v110
	v_lshlrev_b32_sdwa v111, v111, v14 dst_sel:DWORD dst_unused:UNUSED_PAD src0_sel:DWORD src1_sel:WORD_1
	v_cndmask_b32_e32 v110, v120, v110, vcc_lo
	v_and_b32_e32 v111, 7, v111
	v_lshl_add_u32 v110, v110, 23, 0x3b800000
	v_cndmask_b32_e32 v109, v109, v111, vcc_lo
	v_and_b32_e32 v111, 0x80000000, v121
	v_lshlrev_b32_e32 v109, 20, v109
	v_or3_b32 v110, v111, v110, v109
.LBB4_4393:                             ;   in Loop: Header=BB4_3436 Depth=3
	s_or_b32 exec_lo, exec_lo, s22
	v_and_b32_sdwa v111, v10, v40 dst_sel:DWORD dst_unused:UNUSED_PAD src0_sel:WORD_1 src1_sel:DWORD
	s_mov_b32 s16, 0
	s_mov_b32 s22, exec_lo
	v_cmpx_lt_i16_e32 0x7f, v111
	s_xor_b32 s22, exec_lo, s22
	s_cbranch_execz .LBB4_4800
; %bb.4394:                             ;   in Loop: Header=BB4_3436 Depth=3
	s_mov_b32 s16, -1
	s_mov_b32 s23, exec_lo
	v_cmpx_eq_u16_e32 0x80, v111
; %bb.4395:                             ;   in Loop: Header=BB4_3436 Depth=3
	s_xor_b32 s16, exec_lo, -1
; %bb.4396:                             ;   in Loop: Header=BB4_3436 Depth=3
	s_or_b32 exec_lo, exec_lo, s23
	s_and_b32 s16, s16, exec_lo
                                        ; implicit-def: $vgpr111
	s_or_saveexec_b32 s22, s22
	v_mov_b32_e32 v109, 0x7f800001
	s_xor_b32 exec_lo, exec_lo, s22
	s_cbranch_execnz .LBB4_4801
.LBB4_4397:                             ;   in Loop: Header=BB4_3436 Depth=3
	s_or_b32 exec_lo, exec_lo, s22
	s_and_saveexec_b32 s22, s16
	s_cbranch_execz .LBB4_4399
.LBB4_4398:                             ;   in Loop: Header=BB4_3436 Depth=3
	v_bfe_u32 v109, v10, 16, 3
	v_bfe_u32 v121, v10, 19, 4
	v_lshlrev_b32_sdwa v122, v41, v10 dst_sel:DWORD dst_unused:UNUSED_PAD src0_sel:DWORD src1_sel:WORD_1
	v_ffbh_u32_e32 v111, v109
	v_cmp_eq_u32_e32 vcc_lo, 0, v121
	v_min_u32_e32 v111, 32, v111
	v_subrev_nc_u32_e32 v120, 28, v111
	v_sub_nc_u32_e32 v111, 29, v111
	v_lshlrev_b32_sdwa v120, v120, v10 dst_sel:DWORD dst_unused:UNUSED_PAD src0_sel:DWORD src1_sel:WORD_1
	v_cndmask_b32_e32 v111, v121, v111, vcc_lo
	v_and_b32_e32 v120, 7, v120
	v_lshl_add_u32 v111, v111, 23, 0x3b800000
	v_cndmask_b32_e32 v109, v109, v120, vcc_lo
	v_and_b32_e32 v120, 0x80000000, v122
	v_lshlrev_b32_e32 v109, 20, v109
	v_or3_b32 v109, v120, v111, v109
.LBB4_4399:                             ;   in Loop: Header=BB4_3436 Depth=3
	s_or_b32 exec_lo, exec_lo, s22
	v_max_f32_e32 v109, v109, v109
	v_max_f32_e32 v110, v110, v110
	v_min_f32_e32 v110, v110, v109
.LBB4_4400:                             ;   in Loop: Header=BB4_3436 Depth=3
	v_and_b32_e32 v109, 0x7f800000, v110
	v_cmp_ne_u32_e32 vcc_lo, 0x7f800000, v109
	v_mov_b32_e32 v109, 0x80
	s_and_saveexec_b32 s22, vcc_lo
	s_cbranch_execz .LBB4_4408
; %bb.4401:                             ;   in Loop: Header=BB4_3436 Depth=3
	v_mov_b32_e32 v109, 0
	s_mov_b32 s23, exec_lo
	v_cmpx_ne_u32_e32 0, v110
	s_cbranch_execz .LBB4_4407
; %bb.4402:                             ;   in Loop: Header=BB4_3436 Depth=3
	v_bfe_u32 v109, v110, 23, 8
	v_and_b32_e32 v111, 0x7fffff, v110
	v_sub_nc_u32_e32 v120, 0x78, v109
	v_cmp_gt_u32_e32 vcc_lo, 0x79, v109
	v_or_b32_e32 v121, 0x800000, v111
	v_cndmask_b32_e32 v120, 0, v120, vcc_lo
	v_cmp_eq_u32_e32 vcc_lo, 0, v109
	v_add_nc_u32_e32 v109, 0xffffff89, v109
	v_cndmask_b32_e64 v120, v120, 0x77, vcc_lo
	v_cndmask_b32_e32 v111, v121, v111, vcc_lo
	v_cndmask_b32_e64 v109, v109, 0xffffff8a, vcc_lo
	v_lshl_add_u32 v121, 0x100000, v120, -1
	v_lshrrev_b32_e32 v122, v120, v111
	v_lshlrev_b32_e64 v124, v120, 0x80000
	v_add_nc_u32_e32 v120, v120, v109
	v_and_b32_e32 v111, v121, v111
	v_bfe_u32 v123, v122, 20, 1
	v_cmp_eq_u32_e64 s16, v111, v124
	v_add_nc_u32_e32 v121, -1, v123
	v_cndmask_b32_e64 v111, 0, v121, s16
	v_lshrrev_b32_e32 v121, 23, v122
	s_mov_b32 s16, exec_lo
	v_add_nc_u32_e32 v111, v111, v122
	v_xor_b32_e32 v121, 1, v121
	v_and_b32_e32 v109, 0xfffff, v111
	v_add_nc_u32_e32 v111, v109, v122
                                        ; implicit-def: $vgpr109
	v_cmpx_ne_u32_e64 v120, v121
	s_xor_b32 s16, exec_lo, s16
; %bb.4403:                             ;   in Loop: Header=BB4_3436 Depth=3
	v_cmp_lt_u32_e32 vcc_lo, 0xffffff, v111
	v_sub_nc_u32_e32 v109, v120, v121
	v_cndmask_b32_e64 v120, 0, 1, vcc_lo
	v_add_co_ci_u32_e64 v109, null, 0, v109, vcc_lo
	v_lshrrev_b32_e32 v111, v120, v111
; %bb.4404:                             ;   in Loop: Header=BB4_3436 Depth=3
	s_andn2_saveexec_b32 s16, s16
; %bb.4405:                             ;   in Loop: Header=BB4_3436 Depth=3
	v_bfe_u32 v109, v111, 23, 1
; %bb.4406:                             ;   in Loop: Header=BB4_3436 Depth=3
	s_or_b32 exec_lo, exec_lo, s16
	v_lshrrev_b32_e32 v111, 20, v111
	v_min_i32_e32 v120, 15, v109
	v_cmp_gt_i32_e32 vcc_lo, 16, v109
	v_and_b32_sdwa v110, v110, v118 dst_sel:DWORD dst_unused:UNUSED_PAD src0_sel:BYTE_3 src1_sel:DWORD
	v_lshlrev_b32_e32 v120, 3, v120
	v_cndmask_b32_e32 v111, 7, v111, vcc_lo
	v_and_b32_e32 v120, 0xf8, v120
	v_and_b32_e32 v121, 7, v111
	v_or_b32_e32 v109, v109, v111
	v_or3_b32 v110, v120, v110, v121
	v_cmp_ne_u32_e32 vcc_lo, 0, v109
	v_cndmask_b32_e32 v109, 0, v110, vcc_lo
.LBB4_4407:                             ;   in Loop: Header=BB4_3436 Depth=3
	s_or_b32 exec_lo, exec_lo, s23
.LBB4_4408:                             ;   in Loop: Header=BB4_3436 Depth=3
	s_or_b32 exec_lo, exec_lo, s22
	v_cmp_gt_i16_sdwa s22, v14, v117 src0_sel:BYTE_3 src1_sel:DWORD
	s_andn2_b32 vcc_lo, exec_lo, s19
	s_mov_b32 s16, -1
                                        ; implicit-def: $vgpr110
	s_cbranch_vccnz .LBB4_4422
; %bb.4409:                             ;   in Loop: Header=BB4_3436 Depth=3
	s_mov_b32 s16, 0
	s_and_saveexec_b32 s23, s22
	s_xor_b32 s22, exec_lo, s23
	s_cbranch_execz .LBB4_4802
; %bb.4410:                             ;   in Loop: Header=BB4_3436 Depth=3
	v_cmp_eq_u16_sdwa s73, v14, v118 src0_sel:BYTE_3 src1_sel:DWORD
	s_mov_b32 s16, -1
	s_and_saveexec_b32 s23, s73
; %bb.4411:                             ;   in Loop: Header=BB4_3436 Depth=3
	s_xor_b32 s16, exec_lo, -1
; %bb.4412:                             ;   in Loop: Header=BB4_3436 Depth=3
	s_or_b32 exec_lo, exec_lo, s23
	s_and_b32 s16, s16, exec_lo
	s_or_saveexec_b32 s22, s22
	v_mov_b32_e32 v110, 0x7f800001
	s_xor_b32 exec_lo, exec_lo, s22
	s_cbranch_execnz .LBB4_4803
.LBB4_4413:                             ;   in Loop: Header=BB4_3436 Depth=3
	s_or_b32 exec_lo, exec_lo, s22
	s_and_saveexec_b32 s22, s16
	s_cbranch_execz .LBB4_4415
.LBB4_4414:                             ;   in Loop: Header=BB4_3436 Depth=3
	v_bfe_u32 v110, v14, 24, 3
	v_bfe_u32 v121, v14, 27, 4
	v_ffbh_u32_e32 v111, v110
	v_cmp_eq_u32_e32 vcc_lo, 0, v121
	v_min_u32_e32 v111, 32, v111
	v_subrev_nc_u32_e32 v120, 28, v111
	v_sub_nc_u32_e32 v111, 29, v111
	v_lshlrev_b32_sdwa v120, v120, v14 dst_sel:DWORD dst_unused:UNUSED_PAD src0_sel:DWORD src1_sel:BYTE_3
	v_cndmask_b32_e32 v111, v121, v111, vcc_lo
	v_and_b32_e32 v120, 7, v120
	v_lshl_add_u32 v111, v111, 23, 0x3b800000
	v_cndmask_b32_e32 v110, v110, v120, vcc_lo
	v_and_b32_e32 v120, 0x80000000, v14
	v_lshlrev_b32_e32 v110, 20, v110
	v_or3_b32 v110, v120, v111, v110
.LBB4_4415:                             ;   in Loop: Header=BB4_3436 Depth=3
	s_or_b32 exec_lo, exec_lo, s22
	v_cmp_gt_i16_sdwa s22, v10, v117 src0_sel:BYTE_3 src1_sel:DWORD
	s_mov_b32 s16, 0
	s_and_saveexec_b32 s23, s22
	s_xor_b32 s22, exec_lo, s23
	s_cbranch_execz .LBB4_4804
; %bb.4416:                             ;   in Loop: Header=BB4_3436 Depth=3
	v_cmp_eq_u16_sdwa s73, v10, v118 src0_sel:BYTE_3 src1_sel:DWORD
	s_mov_b32 s16, -1
	s_and_saveexec_b32 s23, s73
; %bb.4417:                             ;   in Loop: Header=BB4_3436 Depth=3
	s_xor_b32 s16, exec_lo, -1
; %bb.4418:                             ;   in Loop: Header=BB4_3436 Depth=3
	s_or_b32 exec_lo, exec_lo, s23
	s_and_b32 s16, s16, exec_lo
	s_or_saveexec_b32 s22, s22
	v_mov_b32_e32 v111, 0x7f800001
	s_xor_b32 exec_lo, exec_lo, s22
	s_cbranch_execnz .LBB4_4805
.LBB4_4419:                             ;   in Loop: Header=BB4_3436 Depth=3
	s_or_b32 exec_lo, exec_lo, s22
	s_and_saveexec_b32 s22, s16
	s_cbranch_execz .LBB4_4421
.LBB4_4420:                             ;   in Loop: Header=BB4_3436 Depth=3
	v_bfe_u32 v111, v10, 24, 3
	v_bfe_u32 v122, v10, 27, 4
	v_ffbh_u32_e32 v120, v111
	v_cmp_eq_u32_e32 vcc_lo, 0, v122
	v_min_u32_e32 v120, 32, v120
	v_subrev_nc_u32_e32 v121, 28, v120
	v_sub_nc_u32_e32 v120, 29, v120
	v_lshlrev_b32_sdwa v121, v121, v10 dst_sel:DWORD dst_unused:UNUSED_PAD src0_sel:DWORD src1_sel:BYTE_3
	v_cndmask_b32_e32 v120, v122, v120, vcc_lo
	v_and_b32_e32 v121, 7, v121
	v_lshl_add_u32 v120, v120, 23, 0x3b800000
	v_cndmask_b32_e32 v111, v111, v121, vcc_lo
	v_and_b32_e32 v121, 0x80000000, v10
	v_lshlrev_b32_e32 v111, 20, v111
	v_or3_b32 v111, v121, v120, v111
.LBB4_4421:                             ;   in Loop: Header=BB4_3436 Depth=3
	s_or_b32 exec_lo, exec_lo, s22
	v_max_f32_e32 v111, v111, v111
	v_max_f32_e32 v110, v110, v110
	s_mov_b32 s16, 0
	v_max_f32_e32 v110, v110, v111
.LBB4_4422:                             ;   in Loop: Header=BB4_3436 Depth=3
	s_and_b32 vcc_lo, exec_lo, s16
	s_cbranch_vccz .LBB4_4436
; %bb.4423:                             ;   in Loop: Header=BB4_3436 Depth=3
	v_cmp_gt_i16_sdwa s22, v14, v117 src0_sel:BYTE_3 src1_sel:DWORD
	s_mov_b32 s16, 0
	s_and_saveexec_b32 s23, s22
	s_xor_b32 s22, exec_lo, s23
	s_cbranch_execz .LBB4_4806
; %bb.4424:                             ;   in Loop: Header=BB4_3436 Depth=3
	v_cmp_eq_u16_sdwa s73, v14, v118 src0_sel:BYTE_3 src1_sel:DWORD
	s_mov_b32 s16, -1
	s_and_saveexec_b32 s23, s73
; %bb.4425:                             ;   in Loop: Header=BB4_3436 Depth=3
	s_xor_b32 s16, exec_lo, -1
; %bb.4426:                             ;   in Loop: Header=BB4_3436 Depth=3
	s_or_b32 exec_lo, exec_lo, s23
	s_and_b32 s16, s16, exec_lo
	s_or_saveexec_b32 s22, s22
	v_mov_b32_e32 v110, 0x7f800001
	s_xor_b32 exec_lo, exec_lo, s22
	s_cbranch_execnz .LBB4_4807
.LBB4_4427:                             ;   in Loop: Header=BB4_3436 Depth=3
	s_or_b32 exec_lo, exec_lo, s22
	s_and_saveexec_b32 s22, s16
	s_cbranch_execz .LBB4_4429
.LBB4_4428:                             ;   in Loop: Header=BB4_3436 Depth=3
	v_bfe_u32 v110, v14, 24, 3
	v_bfe_u32 v121, v14, 27, 4
	v_ffbh_u32_e32 v111, v110
	v_cmp_eq_u32_e32 vcc_lo, 0, v121
	v_min_u32_e32 v111, 32, v111
	v_subrev_nc_u32_e32 v120, 28, v111
	v_sub_nc_u32_e32 v111, 29, v111
	v_lshlrev_b32_sdwa v120, v120, v14 dst_sel:DWORD dst_unused:UNUSED_PAD src0_sel:DWORD src1_sel:BYTE_3
	v_cndmask_b32_e32 v111, v121, v111, vcc_lo
	v_and_b32_e32 v14, 0x80000000, v14
	v_and_b32_e32 v120, 7, v120
	v_lshl_add_u32 v111, v111, 23, 0x3b800000
	v_cndmask_b32_e32 v110, v110, v120, vcc_lo
	v_lshlrev_b32_e32 v110, 20, v110
	v_or3_b32 v110, v14, v111, v110
.LBB4_4429:                             ;   in Loop: Header=BB4_3436 Depth=3
	s_or_b32 exec_lo, exec_lo, s22
	v_cmp_gt_i16_sdwa s22, v10, v117 src0_sel:BYTE_3 src1_sel:DWORD
	s_mov_b32 s16, 0
	s_and_saveexec_b32 s23, s22
	s_xor_b32 s22, exec_lo, s23
	s_cbranch_execz .LBB4_4808
; %bb.4430:                             ;   in Loop: Header=BB4_3436 Depth=3
	v_cmp_eq_u16_sdwa s73, v10, v118 src0_sel:BYTE_3 src1_sel:DWORD
	s_mov_b32 s16, -1
	s_and_saveexec_b32 s23, s73
; %bb.4431:                             ;   in Loop: Header=BB4_3436 Depth=3
	s_xor_b32 s16, exec_lo, -1
; %bb.4432:                             ;   in Loop: Header=BB4_3436 Depth=3
	s_or_b32 exec_lo, exec_lo, s23
	s_and_b32 s16, s16, exec_lo
	s_or_saveexec_b32 s22, s22
	v_mov_b32_e32 v14, 0x7f800001
	s_xor_b32 exec_lo, exec_lo, s22
	s_cbranch_execnz .LBB4_4809
.LBB4_4433:                             ;   in Loop: Header=BB4_3436 Depth=3
	s_or_b32 exec_lo, exec_lo, s22
	s_and_saveexec_b32 s22, s16
	s_cbranch_execz .LBB4_4435
.LBB4_4434:                             ;   in Loop: Header=BB4_3436 Depth=3
	v_bfe_u32 v14, v10, 24, 3
	v_bfe_u32 v121, v10, 27, 4
	v_ffbh_u32_e32 v111, v14
	v_cmp_eq_u32_e32 vcc_lo, 0, v121
	v_min_u32_e32 v111, 32, v111
	v_subrev_nc_u32_e32 v120, 28, v111
	v_sub_nc_u32_e32 v111, 29, v111
	v_lshlrev_b32_sdwa v120, v120, v10 dst_sel:DWORD dst_unused:UNUSED_PAD src0_sel:DWORD src1_sel:BYTE_3
	v_cndmask_b32_e32 v111, v121, v111, vcc_lo
	v_and_b32_e32 v10, 0x80000000, v10
	v_and_b32_e32 v120, 7, v120
	v_lshl_add_u32 v111, v111, 23, 0x3b800000
	v_cndmask_b32_e32 v14, v14, v120, vcc_lo
	v_lshlrev_b32_e32 v14, 20, v14
	v_or3_b32 v14, v10, v111, v14
.LBB4_4435:                             ;   in Loop: Header=BB4_3436 Depth=3
	s_or_b32 exec_lo, exec_lo, s22
	v_max_f32_e32 v10, v14, v14
	v_max_f32_e32 v14, v110, v110
	v_min_f32_e32 v110, v14, v10
.LBB4_4436:                             ;   in Loop: Header=BB4_3436 Depth=3
	v_and_b32_e32 v10, 0x7f800000, v110
	v_cmp_ne_u32_e32 vcc_lo, 0x7f800000, v10
	v_mov_b32_e32 v10, 0x8000
	s_and_saveexec_b32 s22, vcc_lo
	s_cbranch_execz .LBB4_4444
; %bb.4437:                             ;   in Loop: Header=BB4_3436 Depth=3
	v_mov_b32_e32 v10, 0
	s_mov_b32 s23, exec_lo
	v_cmpx_ne_u32_e32 0, v110
	s_cbranch_execz .LBB4_4443
; %bb.4438:                             ;   in Loop: Header=BB4_3436 Depth=3
	v_bfe_u32 v10, v110, 23, 8
	v_and_b32_e32 v14, 0x7fffff, v110
	v_sub_nc_u32_e32 v111, 0x78, v10
	v_cmp_gt_u32_e32 vcc_lo, 0x79, v10
	v_or_b32_e32 v120, 0x800000, v14
	v_cndmask_b32_e32 v111, 0, v111, vcc_lo
	v_cmp_eq_u32_e32 vcc_lo, 0, v10
	v_add_nc_u32_e32 v10, 0xffffff89, v10
	v_cndmask_b32_e64 v111, v111, 0x77, vcc_lo
	v_cndmask_b32_e32 v14, v120, v14, vcc_lo
	v_cndmask_b32_e64 v10, v10, 0xffffff8a, vcc_lo
	v_lshl_add_u32 v120, 0x100000, v111, -1
	v_lshrrev_b32_e32 v121, v111, v14
	v_lshlrev_b32_e64 v123, v111, 0x80000
	v_add_nc_u32_e32 v111, v111, v10
	v_and_b32_e32 v14, v120, v14
	v_bfe_u32 v122, v121, 20, 1
	v_cmp_eq_u32_e64 s16, v14, v123
	v_add_nc_u32_e32 v120, -1, v122
	v_cndmask_b32_e64 v14, 0, v120, s16
	v_lshrrev_b32_e32 v120, 23, v121
	s_mov_b32 s16, exec_lo
	v_add_nc_u32_e32 v14, v14, v121
	v_xor_b32_e32 v120, 1, v120
	v_and_b32_e32 v10, 0xfffff, v14
	v_add_nc_u32_e32 v14, v10, v121
                                        ; implicit-def: $vgpr10
	v_cmpx_ne_u32_e64 v111, v120
	s_xor_b32 s16, exec_lo, s16
; %bb.4439:                             ;   in Loop: Header=BB4_3436 Depth=3
	v_cmp_lt_u32_e32 vcc_lo, 0xffffff, v14
	v_sub_nc_u32_e32 v10, v111, v120
	v_cndmask_b32_e64 v111, 0, 1, vcc_lo
	v_add_co_ci_u32_e64 v10, null, 0, v10, vcc_lo
	v_lshrrev_b32_e32 v14, v111, v14
; %bb.4440:                             ;   in Loop: Header=BB4_3436 Depth=3
	s_andn2_saveexec_b32 s16, s16
; %bb.4441:                             ;   in Loop: Header=BB4_3436 Depth=3
	v_bfe_u32 v10, v14, 23, 1
; %bb.4442:                             ;   in Loop: Header=BB4_3436 Depth=3
	s_or_b32 exec_lo, exec_lo, s16
	v_lshrrev_b32_e32 v14, 20, v14
	v_min_i32_e32 v111, 15, v10
	v_cmp_gt_i32_e32 vcc_lo, 16, v10
	v_and_b32_sdwa v110, v110, v118 dst_sel:DWORD dst_unused:UNUSED_PAD src0_sel:BYTE_3 src1_sel:DWORD
	v_lshlrev_b32_e32 v111, 3, v111
	v_cndmask_b32_e32 v14, 7, v14, vcc_lo
	v_and_b32_e32 v111, 0xf8, v111
	v_and_b32_e32 v120, 7, v14
	v_or_b32_e32 v10, v10, v14
	v_or3_b32 v110, v110, v111, v120
	v_cmp_ne_u32_e32 vcc_lo, 0, v10
	v_lshlrev_b32_e32 v14, 8, v110
	v_cndmask_b32_e32 v10, 0, v14, vcc_lo
.LBB4_4443:                             ;   in Loop: Header=BB4_3436 Depth=3
	s_or_b32 exec_lo, exec_lo, s23
.LBB4_4444:                             ;   in Loop: Header=BB4_3436 Depth=3
	s_or_b32 exec_lo, exec_lo, s22
	v_cmp_gt_i16_sdwa s22, v15, v117 src0_sel:BYTE_0 src1_sel:DWORD
	s_andn2_b32 vcc_lo, exec_lo, s19
	s_mov_b32 s16, -1
                                        ; implicit-def: $vgpr110
	s_cbranch_vccnz .LBB4_4458
; %bb.4445:                             ;   in Loop: Header=BB4_3436 Depth=3
	s_mov_b32 s16, 0
	s_and_saveexec_b32 s23, s22
	s_xor_b32 s22, exec_lo, s23
	s_cbranch_execz .LBB4_4810
; %bb.4446:                             ;   in Loop: Header=BB4_3436 Depth=3
	v_cmp_eq_u16_sdwa s73, v15, v118 src0_sel:BYTE_0 src1_sel:DWORD
	s_mov_b32 s16, -1
	s_and_saveexec_b32 s23, s73
; %bb.4447:                             ;   in Loop: Header=BB4_3436 Depth=3
	s_xor_b32 s16, exec_lo, -1
; %bb.4448:                             ;   in Loop: Header=BB4_3436 Depth=3
	s_or_b32 exec_lo, exec_lo, s23
	s_and_b32 s16, s16, exec_lo
	s_or_saveexec_b32 s22, s22
	v_mov_b32_e32 v14, 0x7f800001
	s_xor_b32 exec_lo, exec_lo, s22
	s_cbranch_execnz .LBB4_4811
.LBB4_4449:                             ;   in Loop: Header=BB4_3436 Depth=3
	s_or_b32 exec_lo, exec_lo, s22
	s_and_saveexec_b32 s22, s16
	s_cbranch_execz .LBB4_4451
.LBB4_4450:                             ;   in Loop: Header=BB4_3436 Depth=3
	v_and_b32_e32 v14, 7, v15
	v_bfe_u32 v120, v15, 3, 4
	v_lshlrev_b32_e32 v121, 24, v15
	v_ffbh_u32_e32 v110, v14
	v_cmp_eq_u32_e32 vcc_lo, 0, v120
	v_min_u32_e32 v110, 32, v110
	v_subrev_nc_u32_e32 v111, 28, v110
	v_sub_nc_u32_e32 v110, 29, v110
	v_lshlrev_b32_e32 v111, v111, v15
	v_cndmask_b32_e32 v110, v120, v110, vcc_lo
	v_and_b32_e32 v111, 7, v111
	v_lshl_add_u32 v110, v110, 23, 0x3b800000
	v_cndmask_b32_e32 v14, v14, v111, vcc_lo
	v_and_b32_e32 v111, 0x80000000, v121
	v_lshlrev_b32_e32 v14, 20, v14
	v_or3_b32 v14, v111, v110, v14
.LBB4_4451:                             ;   in Loop: Header=BB4_3436 Depth=3
	s_or_b32 exec_lo, exec_lo, s22
	v_cmp_gt_i16_sdwa s22, v11, v117 src0_sel:BYTE_0 src1_sel:DWORD
	s_mov_b32 s16, 0
	s_and_saveexec_b32 s23, s22
	s_xor_b32 s22, exec_lo, s23
	s_cbranch_execz .LBB4_4812
; %bb.4452:                             ;   in Loop: Header=BB4_3436 Depth=3
	v_cmp_eq_u16_sdwa s73, v11, v118 src0_sel:BYTE_0 src1_sel:DWORD
	s_mov_b32 s16, -1
	s_and_saveexec_b32 s23, s73
; %bb.4453:                             ;   in Loop: Header=BB4_3436 Depth=3
	s_xor_b32 s16, exec_lo, -1
; %bb.4454:                             ;   in Loop: Header=BB4_3436 Depth=3
	s_or_b32 exec_lo, exec_lo, s23
	s_and_b32 s16, s16, exec_lo
	s_or_saveexec_b32 s22, s22
	v_mov_b32_e32 v110, 0x7f800001
	s_xor_b32 exec_lo, exec_lo, s22
	s_cbranch_execnz .LBB4_4813
.LBB4_4455:                             ;   in Loop: Header=BB4_3436 Depth=3
	s_or_b32 exec_lo, exec_lo, s22
	s_and_saveexec_b32 s22, s16
	s_cbranch_execz .LBB4_4457
.LBB4_4456:                             ;   in Loop: Header=BB4_3436 Depth=3
	v_and_b32_e32 v110, 7, v11
	v_bfe_u32 v121, v11, 3, 4
	v_lshlrev_b32_e32 v122, 24, v11
	v_ffbh_u32_e32 v111, v110
	v_cmp_eq_u32_e32 vcc_lo, 0, v121
	v_min_u32_e32 v111, 32, v111
	v_subrev_nc_u32_e32 v120, 28, v111
	v_sub_nc_u32_e32 v111, 29, v111
	v_lshlrev_b32_e32 v120, v120, v11
	v_cndmask_b32_e32 v111, v121, v111, vcc_lo
	v_and_b32_e32 v120, 7, v120
	v_lshl_add_u32 v111, v111, 23, 0x3b800000
	v_cndmask_b32_e32 v110, v110, v120, vcc_lo
	v_and_b32_e32 v120, 0x80000000, v122
	v_lshlrev_b32_e32 v110, 20, v110
	v_or3_b32 v110, v120, v111, v110
.LBB4_4457:                             ;   in Loop: Header=BB4_3436 Depth=3
	s_or_b32 exec_lo, exec_lo, s22
	v_max_f32_e32 v110, v110, v110
	v_max_f32_e32 v14, v14, v14
	s_mov_b32 s16, 0
	v_max_f32_e32 v110, v14, v110
.LBB4_4458:                             ;   in Loop: Header=BB4_3436 Depth=3
	s_and_b32 vcc_lo, exec_lo, s16
	s_cbranch_vccz .LBB4_4472
; %bb.4459:                             ;   in Loop: Header=BB4_3436 Depth=3
	v_cmp_gt_i16_sdwa s22, v15, v117 src0_sel:BYTE_0 src1_sel:DWORD
	s_mov_b32 s16, 0
	s_and_saveexec_b32 s23, s22
	s_xor_b32 s22, exec_lo, s23
	s_cbranch_execz .LBB4_4814
; %bb.4460:                             ;   in Loop: Header=BB4_3436 Depth=3
	v_cmp_eq_u16_sdwa s73, v15, v118 src0_sel:BYTE_0 src1_sel:DWORD
	s_mov_b32 s16, -1
	s_and_saveexec_b32 s23, s73
; %bb.4461:                             ;   in Loop: Header=BB4_3436 Depth=3
	s_xor_b32 s16, exec_lo, -1
; %bb.4462:                             ;   in Loop: Header=BB4_3436 Depth=3
	s_or_b32 exec_lo, exec_lo, s23
	s_and_b32 s16, s16, exec_lo
	s_or_saveexec_b32 s22, s22
	v_mov_b32_e32 v14, 0x7f800001
	s_xor_b32 exec_lo, exec_lo, s22
	s_cbranch_execnz .LBB4_4815
.LBB4_4463:                             ;   in Loop: Header=BB4_3436 Depth=3
	s_or_b32 exec_lo, exec_lo, s22
	s_and_saveexec_b32 s22, s16
	s_cbranch_execz .LBB4_4465
.LBB4_4464:                             ;   in Loop: Header=BB4_3436 Depth=3
	v_and_b32_e32 v14, 7, v15
	v_bfe_u32 v120, v15, 3, 4
	v_lshlrev_b32_e32 v121, 24, v15
	v_ffbh_u32_e32 v110, v14
	v_cmp_eq_u32_e32 vcc_lo, 0, v120
	v_min_u32_e32 v110, 32, v110
	v_subrev_nc_u32_e32 v111, 28, v110
	v_sub_nc_u32_e32 v110, 29, v110
	v_lshlrev_b32_e32 v111, v111, v15
	v_cndmask_b32_e32 v110, v120, v110, vcc_lo
	v_and_b32_e32 v111, 7, v111
	v_lshl_add_u32 v110, v110, 23, 0x3b800000
	v_cndmask_b32_e32 v14, v14, v111, vcc_lo
	v_and_b32_e32 v111, 0x80000000, v121
	v_lshlrev_b32_e32 v14, 20, v14
	v_or3_b32 v14, v111, v110, v14
.LBB4_4465:                             ;   in Loop: Header=BB4_3436 Depth=3
	s_or_b32 exec_lo, exec_lo, s22
	v_cmp_gt_i16_sdwa s22, v11, v117 src0_sel:BYTE_0 src1_sel:DWORD
	s_mov_b32 s16, 0
	s_and_saveexec_b32 s23, s22
	s_xor_b32 s22, exec_lo, s23
	s_cbranch_execz .LBB4_4816
; %bb.4466:                             ;   in Loop: Header=BB4_3436 Depth=3
	v_cmp_eq_u16_sdwa s73, v11, v118 src0_sel:BYTE_0 src1_sel:DWORD
	s_mov_b32 s16, -1
	s_and_saveexec_b32 s23, s73
; %bb.4467:                             ;   in Loop: Header=BB4_3436 Depth=3
	s_xor_b32 s16, exec_lo, -1
; %bb.4468:                             ;   in Loop: Header=BB4_3436 Depth=3
	s_or_b32 exec_lo, exec_lo, s23
	s_and_b32 s16, s16, exec_lo
	s_or_saveexec_b32 s22, s22
	v_mov_b32_e32 v110, 0x7f800001
	s_xor_b32 exec_lo, exec_lo, s22
	s_cbranch_execnz .LBB4_4817
.LBB4_4469:                             ;   in Loop: Header=BB4_3436 Depth=3
	s_or_b32 exec_lo, exec_lo, s22
	s_and_saveexec_b32 s22, s16
	s_cbranch_execz .LBB4_4471
.LBB4_4470:                             ;   in Loop: Header=BB4_3436 Depth=3
	v_and_b32_e32 v110, 7, v11
	v_bfe_u32 v121, v11, 3, 4
	v_lshlrev_b32_e32 v122, 24, v11
	v_ffbh_u32_e32 v111, v110
	v_cmp_eq_u32_e32 vcc_lo, 0, v121
	v_min_u32_e32 v111, 32, v111
	v_subrev_nc_u32_e32 v120, 28, v111
	v_sub_nc_u32_e32 v111, 29, v111
	v_lshlrev_b32_e32 v120, v120, v11
	v_cndmask_b32_e32 v111, v121, v111, vcc_lo
	v_and_b32_e32 v120, 7, v120
	v_lshl_add_u32 v111, v111, 23, 0x3b800000
	v_cndmask_b32_e32 v110, v110, v120, vcc_lo
	v_and_b32_e32 v120, 0x80000000, v122
	v_lshlrev_b32_e32 v110, 20, v110
	v_or3_b32 v110, v120, v111, v110
.LBB4_4471:                             ;   in Loop: Header=BB4_3436 Depth=3
	s_or_b32 exec_lo, exec_lo, s22
	v_max_f32_e32 v110, v110, v110
	v_max_f32_e32 v14, v14, v14
	v_min_f32_e32 v110, v14, v110
.LBB4_4472:                             ;   in Loop: Header=BB4_3436 Depth=3
	v_and_b32_e32 v14, 0x7f800000, v110
	v_cmp_ne_u32_e32 vcc_lo, 0x7f800000, v14
	v_mov_b32_e32 v14, 0x80
	s_and_saveexec_b32 s22, vcc_lo
	s_cbranch_execz .LBB4_4480
; %bb.4473:                             ;   in Loop: Header=BB4_3436 Depth=3
	v_mov_b32_e32 v14, 0
	s_mov_b32 s23, exec_lo
	v_cmpx_ne_u32_e32 0, v110
	s_cbranch_execz .LBB4_4479
; %bb.4474:                             ;   in Loop: Header=BB4_3436 Depth=3
	v_bfe_u32 v14, v110, 23, 8
	v_and_b32_e32 v111, 0x7fffff, v110
	v_sub_nc_u32_e32 v120, 0x78, v14
	v_cmp_gt_u32_e32 vcc_lo, 0x79, v14
	v_or_b32_e32 v121, 0x800000, v111
	v_cndmask_b32_e32 v120, 0, v120, vcc_lo
	v_cmp_eq_u32_e32 vcc_lo, 0, v14
	v_add_nc_u32_e32 v14, 0xffffff89, v14
	v_cndmask_b32_e64 v120, v120, 0x77, vcc_lo
	v_cndmask_b32_e32 v111, v121, v111, vcc_lo
	v_cndmask_b32_e64 v14, v14, 0xffffff8a, vcc_lo
	v_lshl_add_u32 v121, 0x100000, v120, -1
	v_lshrrev_b32_e32 v122, v120, v111
	v_lshlrev_b32_e64 v124, v120, 0x80000
	v_add_nc_u32_e32 v120, v120, v14
	v_and_b32_e32 v111, v121, v111
	v_bfe_u32 v123, v122, 20, 1
	v_cmp_eq_u32_e64 s16, v111, v124
	v_add_nc_u32_e32 v121, -1, v123
	v_cndmask_b32_e64 v111, 0, v121, s16
	v_lshrrev_b32_e32 v121, 23, v122
	s_mov_b32 s16, exec_lo
	v_add_nc_u32_e32 v111, v111, v122
	v_xor_b32_e32 v121, 1, v121
	v_and_b32_e32 v14, 0xfffff, v111
	v_add_nc_u32_e32 v111, v14, v122
                                        ; implicit-def: $vgpr14
	v_cmpx_ne_u32_e64 v120, v121
	s_xor_b32 s16, exec_lo, s16
; %bb.4475:                             ;   in Loop: Header=BB4_3436 Depth=3
	v_cmp_lt_u32_e32 vcc_lo, 0xffffff, v111
	v_sub_nc_u32_e32 v14, v120, v121
	v_cndmask_b32_e64 v120, 0, 1, vcc_lo
	v_add_co_ci_u32_e64 v14, null, 0, v14, vcc_lo
	v_lshrrev_b32_e32 v111, v120, v111
; %bb.4476:                             ;   in Loop: Header=BB4_3436 Depth=3
	s_andn2_saveexec_b32 s16, s16
; %bb.4477:                             ;   in Loop: Header=BB4_3436 Depth=3
	v_bfe_u32 v14, v111, 23, 1
; %bb.4478:                             ;   in Loop: Header=BB4_3436 Depth=3
	s_or_b32 exec_lo, exec_lo, s16
	v_lshrrev_b32_e32 v111, 20, v111
	v_min_i32_e32 v120, 15, v14
	v_cmp_gt_i32_e32 vcc_lo, 16, v14
	v_and_b32_sdwa v110, v110, v118 dst_sel:DWORD dst_unused:UNUSED_PAD src0_sel:BYTE_3 src1_sel:DWORD
	v_lshlrev_b32_e32 v120, 3, v120
	v_cndmask_b32_e32 v111, 7, v111, vcc_lo
	v_and_b32_e32 v120, 0xf8, v120
	v_and_b32_e32 v121, 7, v111
	v_or_b32_e32 v14, v14, v111
	v_or3_b32 v110, v120, v110, v121
	v_cmp_ne_u32_e32 vcc_lo, 0, v14
	v_cndmask_b32_e32 v14, 0, v110, vcc_lo
.LBB4_4479:                             ;   in Loop: Header=BB4_3436 Depth=3
	s_or_b32 exec_lo, exec_lo, s23
.LBB4_4480:                             ;   in Loop: Header=BB4_3436 Depth=3
	s_or_b32 exec_lo, exec_lo, s22
	v_cmp_gt_i16_sdwa s22, v15, v117 src0_sel:BYTE_1 src1_sel:DWORD
	s_andn2_b32 vcc_lo, exec_lo, s19
	s_mov_b32 s16, -1
                                        ; implicit-def: $vgpr111
	s_cbranch_vccnz .LBB4_4494
; %bb.4481:                             ;   in Loop: Header=BB4_3436 Depth=3
	s_mov_b32 s16, 0
	s_and_saveexec_b32 s23, s22
	s_xor_b32 s22, exec_lo, s23
	s_cbranch_execz .LBB4_4818
; %bb.4482:                             ;   in Loop: Header=BB4_3436 Depth=3
	v_cmp_eq_u16_sdwa s73, v15, v118 src0_sel:BYTE_1 src1_sel:DWORD
	s_mov_b32 s16, -1
	s_and_saveexec_b32 s23, s73
; %bb.4483:                             ;   in Loop: Header=BB4_3436 Depth=3
	s_xor_b32 s16, exec_lo, -1
; %bb.4484:                             ;   in Loop: Header=BB4_3436 Depth=3
	s_or_b32 exec_lo, exec_lo, s23
	s_and_b32 s16, s16, exec_lo
	s_or_saveexec_b32 s22, s22
	v_mov_b32_e32 v110, 0x7f800001
	s_xor_b32 exec_lo, exec_lo, s22
	s_cbranch_execnz .LBB4_4819
.LBB4_4485:                             ;   in Loop: Header=BB4_3436 Depth=3
	s_or_b32 exec_lo, exec_lo, s22
	s_and_saveexec_b32 s22, s16
	s_cbranch_execz .LBB4_4487
.LBB4_4486:                             ;   in Loop: Header=BB4_3436 Depth=3
	v_and_b32_sdwa v110, v119, v15 dst_sel:DWORD dst_unused:UNUSED_PAD src0_sel:DWORD src1_sel:BYTE_1
	v_and_b32_e32 v111, 7, v110
	v_bfe_u32 v122, v110, 3, 4
	v_ffbh_u32_e32 v120, v111
	v_cmp_eq_u32_e32 vcc_lo, 0, v122
	v_min_u32_e32 v120, 32, v120
	v_subrev_nc_u32_e32 v121, 28, v120
	v_sub_nc_u32_e32 v120, 29, v120
	v_lshlrev_b32_e32 v110, v121, v110
	v_lshlrev_b32_e32 v121, 16, v15
	v_cndmask_b32_e32 v120, v122, v120, vcc_lo
	v_and_b32_e32 v110, 7, v110
	v_lshl_add_u32 v120, v120, 23, 0x3b800000
	v_cndmask_b32_e32 v110, v111, v110, vcc_lo
	v_and_b32_e32 v111, 0x80000000, v121
	v_lshlrev_b32_e32 v110, 20, v110
	v_or3_b32 v110, v111, v120, v110
.LBB4_4487:                             ;   in Loop: Header=BB4_3436 Depth=3
	s_or_b32 exec_lo, exec_lo, s22
	v_cmp_gt_i16_sdwa s22, v11, v117 src0_sel:BYTE_1 src1_sel:DWORD
	s_mov_b32 s16, 0
	s_and_saveexec_b32 s23, s22
	s_xor_b32 s22, exec_lo, s23
	s_cbranch_execz .LBB4_4820
; %bb.4488:                             ;   in Loop: Header=BB4_3436 Depth=3
	v_cmp_eq_u16_sdwa s73, v11, v118 src0_sel:BYTE_1 src1_sel:DWORD
	s_mov_b32 s16, -1
	s_and_saveexec_b32 s23, s73
; %bb.4489:                             ;   in Loop: Header=BB4_3436 Depth=3
	s_xor_b32 s16, exec_lo, -1
; %bb.4490:                             ;   in Loop: Header=BB4_3436 Depth=3
	s_or_b32 exec_lo, exec_lo, s23
	s_and_b32 s16, s16, exec_lo
	s_or_saveexec_b32 s22, s22
	v_mov_b32_e32 v111, 0x7f800001
	s_xor_b32 exec_lo, exec_lo, s22
	s_cbranch_execnz .LBB4_4821
.LBB4_4491:                             ;   in Loop: Header=BB4_3436 Depth=3
	s_or_b32 exec_lo, exec_lo, s22
	s_and_saveexec_b32 s22, s16
	s_cbranch_execz .LBB4_4493
.LBB4_4492:                             ;   in Loop: Header=BB4_3436 Depth=3
	v_and_b32_sdwa v111, v119, v11 dst_sel:DWORD dst_unused:UNUSED_PAD src0_sel:DWORD src1_sel:BYTE_1
	v_and_b32_e32 v120, 7, v111
	v_bfe_u32 v123, v111, 3, 4
	v_ffbh_u32_e32 v121, v120
	v_cmp_eq_u32_e32 vcc_lo, 0, v123
	v_min_u32_e32 v121, 32, v121
	v_subrev_nc_u32_e32 v122, 28, v121
	v_sub_nc_u32_e32 v121, 29, v121
	v_lshlrev_b32_e32 v111, v122, v111
	v_lshlrev_b32_e32 v122, 16, v11
	v_cndmask_b32_e32 v121, v123, v121, vcc_lo
	v_and_b32_e32 v111, 7, v111
	v_lshl_add_u32 v121, v121, 23, 0x3b800000
	v_cndmask_b32_e32 v111, v120, v111, vcc_lo
	v_and_b32_e32 v120, 0x80000000, v122
	v_lshlrev_b32_e32 v111, 20, v111
	v_or3_b32 v111, v120, v121, v111
.LBB4_4493:                             ;   in Loop: Header=BB4_3436 Depth=3
	s_or_b32 exec_lo, exec_lo, s22
	v_max_f32_e32 v111, v111, v111
	v_max_f32_e32 v110, v110, v110
	s_mov_b32 s16, 0
	v_max_f32_e32 v111, v110, v111
.LBB4_4494:                             ;   in Loop: Header=BB4_3436 Depth=3
	s_and_b32 vcc_lo, exec_lo, s16
	s_cbranch_vccz .LBB4_4508
; %bb.4495:                             ;   in Loop: Header=BB4_3436 Depth=3
	v_cmp_gt_i16_sdwa s22, v15, v117 src0_sel:BYTE_1 src1_sel:DWORD
	s_mov_b32 s16, 0
	s_and_saveexec_b32 s23, s22
	s_xor_b32 s22, exec_lo, s23
	s_cbranch_execz .LBB4_4822
; %bb.4496:                             ;   in Loop: Header=BB4_3436 Depth=3
	v_cmp_eq_u16_sdwa s73, v15, v118 src0_sel:BYTE_1 src1_sel:DWORD
	s_mov_b32 s16, -1
	s_and_saveexec_b32 s23, s73
; %bb.4497:                             ;   in Loop: Header=BB4_3436 Depth=3
	s_xor_b32 s16, exec_lo, -1
; %bb.4498:                             ;   in Loop: Header=BB4_3436 Depth=3
	s_or_b32 exec_lo, exec_lo, s23
	s_and_b32 s16, s16, exec_lo
	s_or_saveexec_b32 s22, s22
	v_mov_b32_e32 v110, 0x7f800001
	s_xor_b32 exec_lo, exec_lo, s22
	s_cbranch_execnz .LBB4_4823
.LBB4_4499:                             ;   in Loop: Header=BB4_3436 Depth=3
	s_or_b32 exec_lo, exec_lo, s22
	s_and_saveexec_b32 s22, s16
	s_cbranch_execz .LBB4_4501
.LBB4_4500:                             ;   in Loop: Header=BB4_3436 Depth=3
	v_and_b32_sdwa v110, v119, v15 dst_sel:DWORD dst_unused:UNUSED_PAD src0_sel:DWORD src1_sel:BYTE_1
	v_and_b32_e32 v111, 7, v110
	v_bfe_u32 v122, v110, 3, 4
	v_ffbh_u32_e32 v120, v111
	v_cmp_eq_u32_e32 vcc_lo, 0, v122
	v_min_u32_e32 v120, 32, v120
	v_subrev_nc_u32_e32 v121, 28, v120
	v_sub_nc_u32_e32 v120, 29, v120
	v_lshlrev_b32_e32 v110, v121, v110
	v_lshlrev_b32_e32 v121, 16, v15
	v_cndmask_b32_e32 v120, v122, v120, vcc_lo
	v_and_b32_e32 v110, 7, v110
	v_lshl_add_u32 v120, v120, 23, 0x3b800000
	v_cndmask_b32_e32 v110, v111, v110, vcc_lo
	v_and_b32_e32 v111, 0x80000000, v121
	v_lshlrev_b32_e32 v110, 20, v110
	v_or3_b32 v110, v111, v120, v110
.LBB4_4501:                             ;   in Loop: Header=BB4_3436 Depth=3
	s_or_b32 exec_lo, exec_lo, s22
	v_cmp_gt_i16_sdwa s22, v11, v117 src0_sel:BYTE_1 src1_sel:DWORD
	s_mov_b32 s16, 0
	s_and_saveexec_b32 s23, s22
	s_xor_b32 s22, exec_lo, s23
	s_cbranch_execz .LBB4_4824
; %bb.4502:                             ;   in Loop: Header=BB4_3436 Depth=3
	v_cmp_eq_u16_sdwa s73, v11, v118 src0_sel:BYTE_1 src1_sel:DWORD
	s_mov_b32 s16, -1
	s_and_saveexec_b32 s23, s73
; %bb.4503:                             ;   in Loop: Header=BB4_3436 Depth=3
	s_xor_b32 s16, exec_lo, -1
; %bb.4504:                             ;   in Loop: Header=BB4_3436 Depth=3
	s_or_b32 exec_lo, exec_lo, s23
	s_and_b32 s16, s16, exec_lo
	s_or_saveexec_b32 s22, s22
	v_mov_b32_e32 v111, 0x7f800001
	s_xor_b32 exec_lo, exec_lo, s22
	s_cbranch_execnz .LBB4_4825
.LBB4_4505:                             ;   in Loop: Header=BB4_3436 Depth=3
	s_or_b32 exec_lo, exec_lo, s22
	s_and_saveexec_b32 s22, s16
	s_cbranch_execz .LBB4_4507
.LBB4_4506:                             ;   in Loop: Header=BB4_3436 Depth=3
	v_and_b32_sdwa v111, v119, v11 dst_sel:DWORD dst_unused:UNUSED_PAD src0_sel:DWORD src1_sel:BYTE_1
	v_and_b32_e32 v120, 7, v111
	v_bfe_u32 v123, v111, 3, 4
	v_ffbh_u32_e32 v121, v120
	v_cmp_eq_u32_e32 vcc_lo, 0, v123
	v_min_u32_e32 v121, 32, v121
	v_subrev_nc_u32_e32 v122, 28, v121
	v_sub_nc_u32_e32 v121, 29, v121
	v_lshlrev_b32_e32 v111, v122, v111
	v_lshlrev_b32_e32 v122, 16, v11
	v_cndmask_b32_e32 v121, v123, v121, vcc_lo
	v_and_b32_e32 v111, 7, v111
	v_lshl_add_u32 v121, v121, 23, 0x3b800000
	v_cndmask_b32_e32 v111, v120, v111, vcc_lo
	v_and_b32_e32 v120, 0x80000000, v122
	v_lshlrev_b32_e32 v111, 20, v111
	v_or3_b32 v111, v120, v121, v111
.LBB4_4507:                             ;   in Loop: Header=BB4_3436 Depth=3
	s_or_b32 exec_lo, exec_lo, s22
	v_max_f32_e32 v111, v111, v111
	v_max_f32_e32 v110, v110, v110
	v_min_f32_e32 v111, v110, v111
.LBB4_4508:                             ;   in Loop: Header=BB4_3436 Depth=3
	v_and_b32_e32 v110, 0x7f800000, v111
	v_cmp_ne_u32_e32 vcc_lo, 0x7f800000, v110
	v_mov_b32_e32 v110, 0x8000
	s_and_saveexec_b32 s22, vcc_lo
	s_cbranch_execz .LBB4_4516
; %bb.4509:                             ;   in Loop: Header=BB4_3436 Depth=3
	v_mov_b32_e32 v110, 0
	s_mov_b32 s23, exec_lo
	v_cmpx_ne_u32_e32 0, v111
	s_cbranch_execz .LBB4_4515
; %bb.4510:                             ;   in Loop: Header=BB4_3436 Depth=3
	v_bfe_u32 v120, v111, 23, 8
	v_and_b32_e32 v110, 0x7fffff, v111
	v_cmp_gt_u32_e64 s16, 0x79, v120
	v_sub_nc_u32_e32 v121, 0x78, v120
	v_cmp_eq_u32_e32 vcc_lo, 0, v120
	v_or_b32_e32 v122, 0x800000, v110
	v_cndmask_b32_e64 v121, 0, v121, s16
	v_cndmask_b32_e32 v110, v122, v110, vcc_lo
	v_cndmask_b32_e64 v121, v121, 0x77, vcc_lo
	v_lshl_add_u32 v122, 0x100000, v121, -1
	v_lshlrev_b32_e64 v123, v121, 0x80000
	v_and_b32_e32 v122, v122, v110
	v_cmp_eq_u32_e64 s16, v122, v123
	v_lshrrev_b32_e32 v122, v121, v110
	v_add_nc_u32_e32 v110, 0xffffff89, v120
	v_lshrrev_b32_e32 v120, 23, v122
	v_cndmask_b32_e64 v110, v110, 0xffffff8a, vcc_lo
	v_xor_b32_e32 v120, 1, v120
	v_add_nc_u32_e32 v110, v121, v110
	v_bfe_u32 v121, v122, 20, 1
	v_add_nc_u32_e32 v121, -1, v121
	v_cndmask_b32_e64 v121, 0, v121, s16
	s_mov_b32 s16, exec_lo
	v_add_nc_u32_e32 v121, v121, v122
	v_and_b32_e32 v121, 0xfffff, v121
	v_add_nc_u32_e32 v122, v121, v122
                                        ; implicit-def: $vgpr121
	v_cmpx_ne_u32_e64 v110, v120
	s_xor_b32 s16, exec_lo, s16
; %bb.4511:                             ;   in Loop: Header=BB4_3436 Depth=3
	v_cmp_lt_u32_e32 vcc_lo, 0xffffff, v122
	v_sub_nc_u32_e32 v110, v110, v120
	v_cndmask_b32_e64 v120, 0, 1, vcc_lo
	v_add_co_ci_u32_e64 v121, null, 0, v110, vcc_lo
	v_lshrrev_b32_e32 v122, v120, v122
; %bb.4512:                             ;   in Loop: Header=BB4_3436 Depth=3
	s_andn2_saveexec_b32 s16, s16
; %bb.4513:                             ;   in Loop: Header=BB4_3436 Depth=3
	v_bfe_u32 v121, v122, 23, 1
; %bb.4514:                             ;   in Loop: Header=BB4_3436 Depth=3
	s_or_b32 exec_lo, exec_lo, s16
	v_lshrrev_b32_e32 v110, 20, v122
	v_min_i32_e32 v120, 15, v121
	v_cmp_gt_i32_e32 vcc_lo, 16, v121
	v_and_b32_sdwa v111, v111, v118 dst_sel:DWORD dst_unused:UNUSED_PAD src0_sel:BYTE_3 src1_sel:DWORD
	v_lshlrev_b32_e32 v120, 3, v120
	v_cndmask_b32_e32 v110, 7, v110, vcc_lo
	v_and_b32_e32 v120, 0xf8, v120
	v_and_b32_e32 v122, 7, v110
	v_or_b32_e32 v110, v121, v110
	v_or3_b32 v111, v111, v120, v122
	v_cmp_ne_u32_e32 vcc_lo, 0, v110
	v_lshlrev_b32_e32 v111, 8, v111
	v_cndmask_b32_e32 v110, 0, v111, vcc_lo
.LBB4_4515:                             ;   in Loop: Header=BB4_3436 Depth=3
	s_or_b32 exec_lo, exec_lo, s23
.LBB4_4516:                             ;   in Loop: Header=BB4_3436 Depth=3
	s_or_b32 exec_lo, exec_lo, s22
	v_and_b32_sdwa v111, v15, v40 dst_sel:DWORD dst_unused:UNUSED_PAD src0_sel:WORD_1 src1_sel:DWORD
	s_andn2_b32 vcc_lo, exec_lo, s19
	s_mov_b32 s22, -1
                                        ; implicit-def: $vgpr120
	v_cmp_lt_i16_e64 s16, 0x7f, v111
	s_cbranch_vccnz .LBB4_4530
; %bb.4517:                             ;   in Loop: Header=BB4_3436 Depth=3
	s_mov_b32 s22, 0
	s_and_saveexec_b32 s23, s16
	s_xor_b32 s16, exec_lo, s23
	s_cbranch_execz .LBB4_4826
; %bb.4518:                             ;   in Loop: Header=BB4_3436 Depth=3
	s_mov_b32 s22, -1
	s_mov_b32 s23, exec_lo
	v_cmpx_eq_u16_e32 0x80, v111
; %bb.4519:                             ;   in Loop: Header=BB4_3436 Depth=3
	s_xor_b32 s22, exec_lo, -1
; %bb.4520:                             ;   in Loop: Header=BB4_3436 Depth=3
	s_or_b32 exec_lo, exec_lo, s23
	s_and_b32 s22, s22, exec_lo
	s_or_saveexec_b32 s16, s16
	v_mov_b32_e32 v120, 0x7f800001
	s_xor_b32 exec_lo, exec_lo, s16
	s_cbranch_execnz .LBB4_4827
.LBB4_4521:                             ;   in Loop: Header=BB4_3436 Depth=3
	s_or_b32 exec_lo, exec_lo, s16
	s_and_saveexec_b32 s16, s22
	s_cbranch_execz .LBB4_4523
.LBB4_4522:                             ;   in Loop: Header=BB4_3436 Depth=3
	v_bfe_u32 v120, v15, 16, 3
	v_bfe_u32 v123, v15, 19, 4
	v_lshlrev_b32_sdwa v124, v41, v15 dst_sel:DWORD dst_unused:UNUSED_PAD src0_sel:DWORD src1_sel:WORD_1
	v_ffbh_u32_e32 v121, v120
	v_cmp_eq_u32_e32 vcc_lo, 0, v123
	v_min_u32_e32 v121, 32, v121
	v_subrev_nc_u32_e32 v122, 28, v121
	v_sub_nc_u32_e32 v121, 29, v121
	v_lshlrev_b32_sdwa v122, v122, v15 dst_sel:DWORD dst_unused:UNUSED_PAD src0_sel:DWORD src1_sel:WORD_1
	v_cndmask_b32_e32 v121, v123, v121, vcc_lo
	v_and_b32_e32 v122, 7, v122
	v_lshl_add_u32 v121, v121, 23, 0x3b800000
	v_cndmask_b32_e32 v120, v120, v122, vcc_lo
	v_and_b32_e32 v122, 0x80000000, v124
	v_lshlrev_b32_e32 v120, 20, v120
	v_or3_b32 v120, v122, v121, v120
.LBB4_4523:                             ;   in Loop: Header=BB4_3436 Depth=3
	s_or_b32 exec_lo, exec_lo, s16
	v_and_b32_sdwa v122, v11, v40 dst_sel:DWORD dst_unused:UNUSED_PAD src0_sel:WORD_1 src1_sel:DWORD
	s_mov_b32 s22, 0
	s_mov_b32 s16, exec_lo
	v_cmpx_lt_i16_e32 0x7f, v122
	s_xor_b32 s16, exec_lo, s16
	s_cbranch_execz .LBB4_4828
; %bb.4524:                             ;   in Loop: Header=BB4_3436 Depth=3
	s_mov_b32 s22, -1
	s_mov_b32 s23, exec_lo
	v_cmpx_eq_u16_e32 0x80, v122
; %bb.4525:                             ;   in Loop: Header=BB4_3436 Depth=3
	s_xor_b32 s22, exec_lo, -1
; %bb.4526:                             ;   in Loop: Header=BB4_3436 Depth=3
	s_or_b32 exec_lo, exec_lo, s23
	s_and_b32 s22, s22, exec_lo
                                        ; implicit-def: $vgpr122
	s_or_saveexec_b32 s16, s16
	v_mov_b32_e32 v121, 0x7f800001
	s_xor_b32 exec_lo, exec_lo, s16
	s_cbranch_execnz .LBB4_4829
.LBB4_4527:                             ;   in Loop: Header=BB4_3436 Depth=3
	s_or_b32 exec_lo, exec_lo, s16
	s_and_saveexec_b32 s16, s22
	s_cbranch_execz .LBB4_4529
.LBB4_4528:                             ;   in Loop: Header=BB4_3436 Depth=3
	v_bfe_u32 v121, v11, 16, 3
	v_bfe_u32 v122, v11, 19, 4
	v_ffbh_u32_e32 v123, v121
	v_cmp_eq_u32_e32 vcc_lo, 0, v122
	v_min_u32_e32 v123, 32, v123
	v_subrev_nc_u32_e32 v124, 28, v123
	v_sub_nc_u32_e32 v123, 29, v123
	v_lshlrev_b32_sdwa v124, v124, v11 dst_sel:DWORD dst_unused:UNUSED_PAD src0_sel:DWORD src1_sel:WORD_1
	v_cndmask_b32_e32 v122, v122, v123, vcc_lo
	v_lshlrev_b32_sdwa v123, v41, v11 dst_sel:DWORD dst_unused:UNUSED_PAD src0_sel:DWORD src1_sel:WORD_1
	v_and_b32_e32 v124, 7, v124
	v_lshl_add_u32 v122, v122, 23, 0x3b800000
	v_and_b32_e32 v123, 0x80000000, v123
	v_cndmask_b32_e32 v121, v121, v124, vcc_lo
	v_lshlrev_b32_e32 v121, 20, v121
	v_or3_b32 v121, v123, v122, v121
.LBB4_4529:                             ;   in Loop: Header=BB4_3436 Depth=3
	s_or_b32 exec_lo, exec_lo, s16
	v_max_f32_e32 v121, v121, v121
	v_max_f32_e32 v120, v120, v120
	s_mov_b32 s22, 0
	v_max_f32_e32 v120, v120, v121
.LBB4_4530:                             ;   in Loop: Header=BB4_3436 Depth=3
	s_and_b32 vcc_lo, exec_lo, s22
	s_cbranch_vccz .LBB4_4544
; %bb.4531:                             ;   in Loop: Header=BB4_3436 Depth=3
	s_mov_b32 s16, 0
	s_mov_b32 s22, exec_lo
	v_cmpx_lt_i16_e32 0x7f, v111
	s_xor_b32 s22, exec_lo, s22
	s_cbranch_execz .LBB4_4830
; %bb.4532:                             ;   in Loop: Header=BB4_3436 Depth=3
	s_mov_b32 s16, -1
	s_mov_b32 s23, exec_lo
	v_cmpx_eq_u16_e32 0x80, v111
; %bb.4533:                             ;   in Loop: Header=BB4_3436 Depth=3
	s_xor_b32 s16, exec_lo, -1
; %bb.4534:                             ;   in Loop: Header=BB4_3436 Depth=3
	s_or_b32 exec_lo, exec_lo, s23
	s_and_b32 s16, s16, exec_lo
                                        ; implicit-def: $vgpr111
	s_or_saveexec_b32 s22, s22
	v_mov_b32_e32 v120, 0x7f800001
	s_xor_b32 exec_lo, exec_lo, s22
	s_cbranch_execnz .LBB4_4831
.LBB4_4535:                             ;   in Loop: Header=BB4_3436 Depth=3
	s_or_b32 exec_lo, exec_lo, s22
	s_and_saveexec_b32 s22, s16
	s_cbranch_execz .LBB4_4537
.LBB4_4536:                             ;   in Loop: Header=BB4_3436 Depth=3
	v_bfe_u32 v111, v15, 16, 3
	v_bfe_u32 v122, v15, 19, 4
	v_lshlrev_b32_sdwa v123, v41, v15 dst_sel:DWORD dst_unused:UNUSED_PAD src0_sel:DWORD src1_sel:WORD_1
	v_ffbh_u32_e32 v120, v111
	v_cmp_eq_u32_e32 vcc_lo, 0, v122
	v_min_u32_e32 v120, 32, v120
	v_subrev_nc_u32_e32 v121, 28, v120
	v_sub_nc_u32_e32 v120, 29, v120
	v_lshlrev_b32_sdwa v121, v121, v15 dst_sel:DWORD dst_unused:UNUSED_PAD src0_sel:DWORD src1_sel:WORD_1
	v_cndmask_b32_e32 v120, v122, v120, vcc_lo
	v_and_b32_e32 v121, 7, v121
	v_lshl_add_u32 v120, v120, 23, 0x3b800000
	v_cndmask_b32_e32 v111, v111, v121, vcc_lo
	v_and_b32_e32 v121, 0x80000000, v123
	v_lshlrev_b32_e32 v111, 20, v111
	v_or3_b32 v120, v121, v120, v111
.LBB4_4537:                             ;   in Loop: Header=BB4_3436 Depth=3
	s_or_b32 exec_lo, exec_lo, s22
	v_and_b32_sdwa v121, v11, v40 dst_sel:DWORD dst_unused:UNUSED_PAD src0_sel:WORD_1 src1_sel:DWORD
	s_mov_b32 s16, 0
	s_mov_b32 s22, exec_lo
	v_cmpx_lt_i16_e32 0x7f, v121
	s_xor_b32 s22, exec_lo, s22
	s_cbranch_execz .LBB4_4832
; %bb.4538:                             ;   in Loop: Header=BB4_3436 Depth=3
	s_mov_b32 s16, -1
	s_mov_b32 s23, exec_lo
	v_cmpx_eq_u16_e32 0x80, v121
; %bb.4539:                             ;   in Loop: Header=BB4_3436 Depth=3
	s_xor_b32 s16, exec_lo, -1
; %bb.4540:                             ;   in Loop: Header=BB4_3436 Depth=3
	s_or_b32 exec_lo, exec_lo, s23
	s_and_b32 s16, s16, exec_lo
                                        ; implicit-def: $vgpr121
	s_or_saveexec_b32 s22, s22
	v_mov_b32_e32 v111, 0x7f800001
	s_xor_b32 exec_lo, exec_lo, s22
	s_cbranch_execnz .LBB4_4833
.LBB4_4541:                             ;   in Loop: Header=BB4_3436 Depth=3
	s_or_b32 exec_lo, exec_lo, s22
	s_and_saveexec_b32 s22, s16
	s_cbranch_execz .LBB4_4543
.LBB4_4542:                             ;   in Loop: Header=BB4_3436 Depth=3
	v_bfe_u32 v111, v11, 16, 3
	v_bfe_u32 v123, v11, 19, 4
	v_lshlrev_b32_sdwa v124, v41, v11 dst_sel:DWORD dst_unused:UNUSED_PAD src0_sel:DWORD src1_sel:WORD_1
	v_ffbh_u32_e32 v121, v111
	v_cmp_eq_u32_e32 vcc_lo, 0, v123
	v_min_u32_e32 v121, 32, v121
	v_subrev_nc_u32_e32 v122, 28, v121
	v_sub_nc_u32_e32 v121, 29, v121
	v_lshlrev_b32_sdwa v122, v122, v11 dst_sel:DWORD dst_unused:UNUSED_PAD src0_sel:DWORD src1_sel:WORD_1
	v_cndmask_b32_e32 v121, v123, v121, vcc_lo
	v_and_b32_e32 v122, 7, v122
	v_lshl_add_u32 v121, v121, 23, 0x3b800000
	v_cndmask_b32_e32 v111, v111, v122, vcc_lo
	v_and_b32_e32 v122, 0x80000000, v124
	v_lshlrev_b32_e32 v111, 20, v111
	v_or3_b32 v111, v122, v121, v111
.LBB4_4543:                             ;   in Loop: Header=BB4_3436 Depth=3
	s_or_b32 exec_lo, exec_lo, s22
	v_max_f32_e32 v111, v111, v111
	v_max_f32_e32 v120, v120, v120
	v_min_f32_e32 v120, v120, v111
.LBB4_4544:                             ;   in Loop: Header=BB4_3436 Depth=3
	v_and_b32_e32 v111, 0x7f800000, v120
	v_cmp_ne_u32_e32 vcc_lo, 0x7f800000, v111
	v_mov_b32_e32 v111, 0x80
	s_and_saveexec_b32 s22, vcc_lo
	s_cbranch_execz .LBB4_4552
; %bb.4545:                             ;   in Loop: Header=BB4_3436 Depth=3
	v_mov_b32_e32 v111, 0
	s_mov_b32 s23, exec_lo
	v_cmpx_ne_u32_e32 0, v120
	s_cbranch_execz .LBB4_4551
; %bb.4546:                             ;   in Loop: Header=BB4_3436 Depth=3
	v_bfe_u32 v121, v120, 23, 8
	v_and_b32_e32 v111, 0x7fffff, v120
	v_cmp_gt_u32_e64 s16, 0x79, v121
	v_sub_nc_u32_e32 v122, 0x78, v121
	v_cmp_eq_u32_e32 vcc_lo, 0, v121
	v_or_b32_e32 v123, 0x800000, v111
	v_cndmask_b32_e64 v122, 0, v122, s16
	v_cndmask_b32_e32 v111, v123, v111, vcc_lo
	v_cndmask_b32_e64 v122, v122, 0x77, vcc_lo
	v_lshl_add_u32 v123, 0x100000, v122, -1
	v_lshlrev_b32_e64 v124, v122, 0x80000
	v_and_b32_e32 v123, v123, v111
	v_cmp_eq_u32_e64 s16, v123, v124
	v_lshrrev_b32_e32 v123, v122, v111
	v_add_nc_u32_e32 v111, 0xffffff89, v121
	v_lshrrev_b32_e32 v121, 23, v123
	v_cndmask_b32_e64 v111, v111, 0xffffff8a, vcc_lo
	v_xor_b32_e32 v121, 1, v121
	v_add_nc_u32_e32 v111, v122, v111
	v_bfe_u32 v122, v123, 20, 1
	v_add_nc_u32_e32 v122, -1, v122
	v_cndmask_b32_e64 v122, 0, v122, s16
	s_mov_b32 s16, exec_lo
	v_add_nc_u32_e32 v122, v122, v123
	v_and_b32_e32 v122, 0xfffff, v122
	v_add_nc_u32_e32 v123, v122, v123
                                        ; implicit-def: $vgpr122
	v_cmpx_ne_u32_e64 v111, v121
	s_xor_b32 s16, exec_lo, s16
; %bb.4547:                             ;   in Loop: Header=BB4_3436 Depth=3
	v_cmp_lt_u32_e32 vcc_lo, 0xffffff, v123
	v_sub_nc_u32_e32 v111, v111, v121
	v_cndmask_b32_e64 v121, 0, 1, vcc_lo
	v_add_co_ci_u32_e64 v122, null, 0, v111, vcc_lo
	v_lshrrev_b32_e32 v123, v121, v123
; %bb.4548:                             ;   in Loop: Header=BB4_3436 Depth=3
	s_andn2_saveexec_b32 s16, s16
; %bb.4549:                             ;   in Loop: Header=BB4_3436 Depth=3
	v_bfe_u32 v122, v123, 23, 1
; %bb.4550:                             ;   in Loop: Header=BB4_3436 Depth=3
	s_or_b32 exec_lo, exec_lo, s16
	v_lshrrev_b32_e32 v111, 20, v123
	v_min_i32_e32 v121, 15, v122
	v_cmp_gt_i32_e32 vcc_lo, 16, v122
	v_and_b32_sdwa v120, v120, v118 dst_sel:DWORD dst_unused:UNUSED_PAD src0_sel:BYTE_3 src1_sel:DWORD
	v_lshlrev_b32_e32 v121, 3, v121
	v_cndmask_b32_e32 v111, 7, v111, vcc_lo
	v_and_b32_e32 v121, 0xf8, v121
	v_and_b32_e32 v123, 7, v111
	v_or_b32_e32 v111, v122, v111
	v_or3_b32 v120, v121, v120, v123
	v_cmp_ne_u32_e32 vcc_lo, 0, v111
	v_cndmask_b32_e32 v111, 0, v120, vcc_lo
.LBB4_4551:                             ;   in Loop: Header=BB4_3436 Depth=3
	s_or_b32 exec_lo, exec_lo, s23
.LBB4_4552:                             ;   in Loop: Header=BB4_3436 Depth=3
	s_or_b32 exec_lo, exec_lo, s22
	v_cmp_gt_i16_sdwa s22, v15, v117 src0_sel:BYTE_3 src1_sel:DWORD
	s_andn2_b32 vcc_lo, exec_lo, s19
	s_mov_b32 s16, -1
                                        ; implicit-def: $vgpr120
	s_cbranch_vccnz .LBB4_4566
; %bb.4553:                             ;   in Loop: Header=BB4_3436 Depth=3
	s_mov_b32 s16, 0
	s_and_saveexec_b32 s23, s22
	s_xor_b32 s22, exec_lo, s23
	s_cbranch_execz .LBB4_4834
; %bb.4554:                             ;   in Loop: Header=BB4_3436 Depth=3
	v_cmp_eq_u16_sdwa s73, v15, v118 src0_sel:BYTE_3 src1_sel:DWORD
	s_mov_b32 s16, -1
	s_and_saveexec_b32 s23, s73
; %bb.4555:                             ;   in Loop: Header=BB4_3436 Depth=3
	s_xor_b32 s16, exec_lo, -1
; %bb.4556:                             ;   in Loop: Header=BB4_3436 Depth=3
	s_or_b32 exec_lo, exec_lo, s23
	s_and_b32 s16, s16, exec_lo
	s_or_saveexec_b32 s22, s22
	v_mov_b32_e32 v120, 0x7f800001
	s_xor_b32 exec_lo, exec_lo, s22
	s_cbranch_execnz .LBB4_4835
.LBB4_4557:                             ;   in Loop: Header=BB4_3436 Depth=3
	s_or_b32 exec_lo, exec_lo, s22
	s_and_saveexec_b32 s22, s16
	s_cbranch_execz .LBB4_4559
.LBB4_4558:                             ;   in Loop: Header=BB4_3436 Depth=3
	v_bfe_u32 v120, v15, 24, 3
	v_bfe_u32 v123, v15, 27, 4
	v_ffbh_u32_e32 v121, v120
	v_cmp_eq_u32_e32 vcc_lo, 0, v123
	v_min_u32_e32 v121, 32, v121
	v_subrev_nc_u32_e32 v122, 28, v121
	v_sub_nc_u32_e32 v121, 29, v121
	v_lshlrev_b32_sdwa v122, v122, v15 dst_sel:DWORD dst_unused:UNUSED_PAD src0_sel:DWORD src1_sel:BYTE_3
	v_cndmask_b32_e32 v121, v123, v121, vcc_lo
	v_and_b32_e32 v122, 7, v122
	v_lshl_add_u32 v121, v121, 23, 0x3b800000
	v_cndmask_b32_e32 v120, v120, v122, vcc_lo
	v_and_b32_e32 v122, 0x80000000, v15
	v_lshlrev_b32_e32 v120, 20, v120
	v_or3_b32 v120, v122, v121, v120
.LBB4_4559:                             ;   in Loop: Header=BB4_3436 Depth=3
	s_or_b32 exec_lo, exec_lo, s22
	v_cmp_gt_i16_sdwa s22, v11, v117 src0_sel:BYTE_3 src1_sel:DWORD
	s_mov_b32 s16, 0
	s_and_saveexec_b32 s23, s22
	s_xor_b32 s22, exec_lo, s23
	s_cbranch_execz .LBB4_4836
; %bb.4560:                             ;   in Loop: Header=BB4_3436 Depth=3
	v_cmp_eq_u16_sdwa s73, v11, v118 src0_sel:BYTE_3 src1_sel:DWORD
	s_mov_b32 s16, -1
	s_and_saveexec_b32 s23, s73
; %bb.4561:                             ;   in Loop: Header=BB4_3436 Depth=3
	s_xor_b32 s16, exec_lo, -1
; %bb.4562:                             ;   in Loop: Header=BB4_3436 Depth=3
	s_or_b32 exec_lo, exec_lo, s23
	s_and_b32 s16, s16, exec_lo
	s_or_saveexec_b32 s22, s22
	v_mov_b32_e32 v121, 0x7f800001
	s_xor_b32 exec_lo, exec_lo, s22
	s_cbranch_execnz .LBB4_4837
.LBB4_4563:                             ;   in Loop: Header=BB4_3436 Depth=3
	s_or_b32 exec_lo, exec_lo, s22
	s_and_saveexec_b32 s22, s16
	s_cbranch_execz .LBB4_4565
.LBB4_4564:                             ;   in Loop: Header=BB4_3436 Depth=3
	v_bfe_u32 v121, v11, 24, 3
	v_bfe_u32 v124, v11, 27, 4
	v_ffbh_u32_e32 v122, v121
	v_cmp_eq_u32_e32 vcc_lo, 0, v124
	v_min_u32_e32 v122, 32, v122
	v_subrev_nc_u32_e32 v123, 28, v122
	v_sub_nc_u32_e32 v122, 29, v122
	v_lshlrev_b32_sdwa v123, v123, v11 dst_sel:DWORD dst_unused:UNUSED_PAD src0_sel:DWORD src1_sel:BYTE_3
	v_cndmask_b32_e32 v122, v124, v122, vcc_lo
	v_and_b32_e32 v123, 7, v123
	v_lshl_add_u32 v122, v122, 23, 0x3b800000
	v_cndmask_b32_e32 v121, v121, v123, vcc_lo
	v_and_b32_e32 v123, 0x80000000, v11
	v_lshlrev_b32_e32 v121, 20, v121
	v_or3_b32 v121, v123, v122, v121
.LBB4_4565:                             ;   in Loop: Header=BB4_3436 Depth=3
	s_or_b32 exec_lo, exec_lo, s22
	v_max_f32_e32 v121, v121, v121
	v_max_f32_e32 v120, v120, v120
	s_mov_b32 s16, 0
	v_max_f32_e32 v120, v120, v121
.LBB4_4566:                             ;   in Loop: Header=BB4_3436 Depth=3
	s_and_b32 vcc_lo, exec_lo, s16
	s_cbranch_vccz .LBB4_4580
; %bb.4567:                             ;   in Loop: Header=BB4_3436 Depth=3
	v_cmp_gt_i16_sdwa s22, v15, v117 src0_sel:BYTE_3 src1_sel:DWORD
	s_mov_b32 s16, 0
	s_and_saveexec_b32 s23, s22
	s_xor_b32 s22, exec_lo, s23
	s_cbranch_execz .LBB4_4838
; %bb.4568:                             ;   in Loop: Header=BB4_3436 Depth=3
	v_cmp_eq_u16_sdwa s73, v15, v118 src0_sel:BYTE_3 src1_sel:DWORD
	s_mov_b32 s16, -1
	s_and_saveexec_b32 s23, s73
; %bb.4569:                             ;   in Loop: Header=BB4_3436 Depth=3
	s_xor_b32 s16, exec_lo, -1
; %bb.4570:                             ;   in Loop: Header=BB4_3436 Depth=3
	s_or_b32 exec_lo, exec_lo, s23
	s_and_b32 s16, s16, exec_lo
	s_or_saveexec_b32 s22, s22
	v_mov_b32_e32 v120, 0x7f800001
	s_xor_b32 exec_lo, exec_lo, s22
	s_cbranch_execnz .LBB4_4839
.LBB4_4571:                             ;   in Loop: Header=BB4_3436 Depth=3
	s_or_b32 exec_lo, exec_lo, s22
	s_and_saveexec_b32 s22, s16
	s_cbranch_execz .LBB4_4573
.LBB4_4572:                             ;   in Loop: Header=BB4_3436 Depth=3
	v_bfe_u32 v120, v15, 24, 3
	v_bfe_u32 v123, v15, 27, 4
	v_ffbh_u32_e32 v121, v120
	v_cmp_eq_u32_e32 vcc_lo, 0, v123
	v_min_u32_e32 v121, 32, v121
	v_subrev_nc_u32_e32 v122, 28, v121
	v_sub_nc_u32_e32 v121, 29, v121
	v_lshlrev_b32_sdwa v122, v122, v15 dst_sel:DWORD dst_unused:UNUSED_PAD src0_sel:DWORD src1_sel:BYTE_3
	v_cndmask_b32_e32 v121, v123, v121, vcc_lo
	v_and_b32_e32 v15, 0x80000000, v15
	v_and_b32_e32 v122, 7, v122
	v_lshl_add_u32 v121, v121, 23, 0x3b800000
	v_cndmask_b32_e32 v120, v120, v122, vcc_lo
	v_lshlrev_b32_e32 v120, 20, v120
	v_or3_b32 v120, v15, v121, v120
.LBB4_4573:                             ;   in Loop: Header=BB4_3436 Depth=3
	s_or_b32 exec_lo, exec_lo, s22
	v_cmp_gt_i16_sdwa s22, v11, v117 src0_sel:BYTE_3 src1_sel:DWORD
	s_mov_b32 s16, 0
	s_and_saveexec_b32 s23, s22
	s_xor_b32 s22, exec_lo, s23
	s_cbranch_execz .LBB4_4840
; %bb.4574:                             ;   in Loop: Header=BB4_3436 Depth=3
	v_cmp_eq_u16_sdwa s73, v11, v118 src0_sel:BYTE_3 src1_sel:DWORD
	s_mov_b32 s16, -1
	s_and_saveexec_b32 s23, s73
; %bb.4575:                             ;   in Loop: Header=BB4_3436 Depth=3
	s_xor_b32 s16, exec_lo, -1
; %bb.4576:                             ;   in Loop: Header=BB4_3436 Depth=3
	s_or_b32 exec_lo, exec_lo, s23
	s_and_b32 s16, s16, exec_lo
	s_or_saveexec_b32 s22, s22
	v_mov_b32_e32 v15, 0x7f800001
	s_xor_b32 exec_lo, exec_lo, s22
	s_cbranch_execnz .LBB4_4841
.LBB4_4577:                             ;   in Loop: Header=BB4_3436 Depth=3
	s_or_b32 exec_lo, exec_lo, s22
	s_and_saveexec_b32 s22, s16
	s_cbranch_execz .LBB4_4579
.LBB4_4578:                             ;   in Loop: Header=BB4_3436 Depth=3
	v_bfe_u32 v15, v11, 24, 3
	v_bfe_u32 v123, v11, 27, 4
	v_ffbh_u32_e32 v121, v15
	v_cmp_eq_u32_e32 vcc_lo, 0, v123
	v_min_u32_e32 v121, 32, v121
	v_subrev_nc_u32_e32 v122, 28, v121
	v_sub_nc_u32_e32 v121, 29, v121
	v_lshlrev_b32_sdwa v122, v122, v11 dst_sel:DWORD dst_unused:UNUSED_PAD src0_sel:DWORD src1_sel:BYTE_3
	v_cndmask_b32_e32 v121, v123, v121, vcc_lo
	v_and_b32_e32 v11, 0x80000000, v11
	v_and_b32_e32 v122, 7, v122
	v_lshl_add_u32 v121, v121, 23, 0x3b800000
	v_cndmask_b32_e32 v15, v15, v122, vcc_lo
	v_lshlrev_b32_e32 v15, 20, v15
	v_or3_b32 v15, v11, v121, v15
.LBB4_4579:                             ;   in Loop: Header=BB4_3436 Depth=3
	s_or_b32 exec_lo, exec_lo, s22
	v_max_f32_e32 v11, v15, v15
	v_max_f32_e32 v15, v120, v120
	v_min_f32_e32 v120, v15, v11
.LBB4_4580:                             ;   in Loop: Header=BB4_3436 Depth=3
	v_and_b32_e32 v11, 0x7f800000, v120
	v_cmp_ne_u32_e32 vcc_lo, 0x7f800000, v11
	v_mov_b32_e32 v11, 0x8000
	s_and_saveexec_b32 s22, vcc_lo
	s_cbranch_execz .LBB4_3435
; %bb.4581:                             ;   in Loop: Header=BB4_3436 Depth=3
	v_mov_b32_e32 v11, 0
	s_mov_b32 s23, exec_lo
	v_cmpx_ne_u32_e32 0, v120
	s_cbranch_execz .LBB4_3434
; %bb.4582:                             ;   in Loop: Header=BB4_3436 Depth=3
	v_bfe_u32 v11, v120, 23, 8
	v_and_b32_e32 v15, 0x7fffff, v120
	v_sub_nc_u32_e32 v121, 0x78, v11
	v_cmp_gt_u32_e32 vcc_lo, 0x79, v11
	v_or_b32_e32 v122, 0x800000, v15
	v_cndmask_b32_e32 v121, 0, v121, vcc_lo
	v_cmp_eq_u32_e32 vcc_lo, 0, v11
	v_add_nc_u32_e32 v11, 0xffffff89, v11
	v_cndmask_b32_e64 v121, v121, 0x77, vcc_lo
	v_cndmask_b32_e32 v15, v122, v15, vcc_lo
	v_cndmask_b32_e64 v11, v11, 0xffffff8a, vcc_lo
	v_lshl_add_u32 v122, 0x100000, v121, -1
	v_lshrrev_b32_e32 v123, v121, v15
	v_lshlrev_b32_e64 v125, v121, 0x80000
	v_add_nc_u32_e32 v121, v121, v11
	v_and_b32_e32 v15, v122, v15
	v_bfe_u32 v124, v123, 20, 1
	v_cmp_eq_u32_e64 s16, v15, v125
	v_add_nc_u32_e32 v122, -1, v124
	v_cndmask_b32_e64 v15, 0, v122, s16
	v_lshrrev_b32_e32 v122, 23, v123
	s_mov_b32 s16, exec_lo
	v_add_nc_u32_e32 v15, v15, v123
	v_xor_b32_e32 v122, 1, v122
	v_and_b32_e32 v11, 0xfffff, v15
	v_add_nc_u32_e32 v15, v11, v123
                                        ; implicit-def: $vgpr11
	v_cmpx_ne_u32_e64 v121, v122
	s_xor_b32 s16, exec_lo, s16
; %bb.4583:                             ;   in Loop: Header=BB4_3436 Depth=3
	v_cmp_lt_u32_e32 vcc_lo, 0xffffff, v15
	v_sub_nc_u32_e32 v11, v121, v122
	v_cndmask_b32_e64 v121, 0, 1, vcc_lo
	v_add_co_ci_u32_e64 v11, null, 0, v11, vcc_lo
	v_lshrrev_b32_e32 v15, v121, v15
; %bb.4584:                             ;   in Loop: Header=BB4_3436 Depth=3
	s_andn2_saveexec_b32 s16, s16
	s_cbranch_execz .LBB4_3433
; %bb.4585:                             ;   in Loop: Header=BB4_3436 Depth=3
	v_bfe_u32 v11, v15, 23, 1
	s_branch .LBB4_3433
.LBB4_4586:                             ;   in Loop: Header=BB4_3436 Depth=3
	s_or_saveexec_b32 s22, s22
	v_mov_b32_e32 v79, 0x7f800001
	s_xor_b32 exec_lo, exec_lo, s22
	s_cbranch_execz .LBB4_3441
.LBB4_4587:                             ;   in Loop: Header=BB4_3436 Depth=3
	v_cmp_ne_u16_sdwa s23, v20, v2 src0_sel:BYTE_0 src1_sel:DWORD
	v_mov_b32_e32 v79, 0
	s_andn2_b32 s16, s16, exec_lo
	s_and_b32 s23, s23, exec_lo
	s_or_b32 s16, s16, s23
	s_or_b32 exec_lo, exec_lo, s22
	s_and_saveexec_b32 s22, s16
	s_cbranch_execnz .LBB4_3442
	s_branch .LBB4_3443
.LBB4_4588:                             ;   in Loop: Header=BB4_3436 Depth=3
	s_or_saveexec_b32 s22, s22
	v_mov_b32_e32 v88, 0x7f800001
	s_xor_b32 exec_lo, exec_lo, s22
	s_cbranch_execz .LBB4_3447
.LBB4_4589:                             ;   in Loop: Header=BB4_3436 Depth=3
	v_cmp_ne_u16_sdwa s23, v16, v2 src0_sel:BYTE_0 src1_sel:DWORD
	v_mov_b32_e32 v88, 0
	s_andn2_b32 s16, s16, exec_lo
	s_and_b32 s23, s23, exec_lo
	s_or_b32 s16, s16, s23
	s_or_b32 exec_lo, exec_lo, s22
	s_and_saveexec_b32 s22, s16
	s_cbranch_execnz .LBB4_3448
	s_branch .LBB4_3449
.LBB4_4590:                             ;   in Loop: Header=BB4_3436 Depth=3
	s_or_saveexec_b32 s22, s22
	v_mov_b32_e32 v79, 0x7f800001
	s_xor_b32 exec_lo, exec_lo, s22
	s_cbranch_execz .LBB4_3455
.LBB4_4591:                             ;   in Loop: Header=BB4_3436 Depth=3
	v_cmp_ne_u16_sdwa s23, v20, v2 src0_sel:BYTE_0 src1_sel:DWORD
	v_mov_b32_e32 v79, 0
	s_andn2_b32 s16, s16, exec_lo
	s_and_b32 s23, s23, exec_lo
	s_or_b32 s16, s16, s23
	s_or_b32 exec_lo, exec_lo, s22
	s_and_saveexec_b32 s22, s16
	s_cbranch_execnz .LBB4_3456
	s_branch .LBB4_3457
.LBB4_4592:                             ;   in Loop: Header=BB4_3436 Depth=3
	s_or_saveexec_b32 s22, s22
	v_mov_b32_e32 v88, 0x7f800001
	s_xor_b32 exec_lo, exec_lo, s22
	s_cbranch_execz .LBB4_3461
.LBB4_4593:                             ;   in Loop: Header=BB4_3436 Depth=3
	v_cmp_ne_u16_sdwa s23, v16, v2 src0_sel:BYTE_0 src1_sel:DWORD
	v_mov_b32_e32 v88, 0
	s_andn2_b32 s16, s16, exec_lo
	s_and_b32 s23, s23, exec_lo
	s_or_b32 s16, s16, s23
	s_or_b32 exec_lo, exec_lo, s22
	s_and_saveexec_b32 s22, s16
	s_cbranch_execnz .LBB4_3462
	s_branch .LBB4_3463
.LBB4_4594:                             ;   in Loop: Header=BB4_3436 Depth=3
	s_or_saveexec_b32 s22, s22
	v_mov_b32_e32 v88, 0x7f800001
	s_xor_b32 exec_lo, exec_lo, s22
	s_cbranch_execz .LBB4_3477
.LBB4_4595:                             ;   in Loop: Header=BB4_3436 Depth=3
	v_cmp_ne_u16_sdwa s23, v20, v2 src0_sel:BYTE_1 src1_sel:DWORD
	v_mov_b32_e32 v88, 0
	s_andn2_b32 s16, s16, exec_lo
	s_and_b32 s23, s23, exec_lo
	s_or_b32 s16, s16, s23
	s_or_b32 exec_lo, exec_lo, s22
	s_and_saveexec_b32 s22, s16
	s_cbranch_execnz .LBB4_3478
	s_branch .LBB4_3479
.LBB4_4596:                             ;   in Loop: Header=BB4_3436 Depth=3
	s_or_saveexec_b32 s22, s22
	v_mov_b32_e32 v89, 0x7f800001
	s_xor_b32 exec_lo, exec_lo, s22
	s_cbranch_execz .LBB4_3483
.LBB4_4597:                             ;   in Loop: Header=BB4_3436 Depth=3
	v_cmp_ne_u16_sdwa s23, v16, v2 src0_sel:BYTE_1 src1_sel:DWORD
	v_mov_b32_e32 v89, 0
	s_andn2_b32 s16, s16, exec_lo
	s_and_b32 s23, s23, exec_lo
	s_or_b32 s16, s16, s23
	s_or_b32 exec_lo, exec_lo, s22
	s_and_saveexec_b32 s22, s16
	s_cbranch_execnz .LBB4_3484
	s_branch .LBB4_3485
.LBB4_4598:                             ;   in Loop: Header=BB4_3436 Depth=3
	s_or_saveexec_b32 s22, s22
	v_mov_b32_e32 v88, 0x7f800001
	s_xor_b32 exec_lo, exec_lo, s22
	s_cbranch_execz .LBB4_3491
.LBB4_4599:                             ;   in Loop: Header=BB4_3436 Depth=3
	v_cmp_ne_u16_sdwa s23, v20, v2 src0_sel:BYTE_1 src1_sel:DWORD
	v_mov_b32_e32 v88, 0
	s_andn2_b32 s16, s16, exec_lo
	s_and_b32 s23, s23, exec_lo
	s_or_b32 s16, s16, s23
	s_or_b32 exec_lo, exec_lo, s22
	s_and_saveexec_b32 s22, s16
	s_cbranch_execnz .LBB4_3492
	s_branch .LBB4_3493
.LBB4_4600:                             ;   in Loop: Header=BB4_3436 Depth=3
	s_or_saveexec_b32 s22, s22
	v_mov_b32_e32 v89, 0x7f800001
	s_xor_b32 exec_lo, exec_lo, s22
	s_cbranch_execz .LBB4_3497
.LBB4_4601:                             ;   in Loop: Header=BB4_3436 Depth=3
	v_cmp_ne_u16_sdwa s23, v16, v2 src0_sel:BYTE_1 src1_sel:DWORD
	v_mov_b32_e32 v89, 0
	s_andn2_b32 s16, s16, exec_lo
	s_and_b32 s23, s23, exec_lo
	s_or_b32 s16, s16, s23
	s_or_b32 exec_lo, exec_lo, s22
	s_and_saveexec_b32 s22, s16
	s_cbranch_execnz .LBB4_3498
	s_branch .LBB4_3499
.LBB4_4602:                             ;   in Loop: Header=BB4_3436 Depth=3
	s_or_saveexec_b32 s16, s16
	v_mov_b32_e32 v90, 0x7f800001
	s_xor_b32 exec_lo, exec_lo, s16
	s_cbranch_execz .LBB4_3513
.LBB4_4603:                             ;   in Loop: Header=BB4_3436 Depth=3
	v_cmp_ne_u16_e32 vcc_lo, 0, v89
	v_mov_b32_e32 v90, 0
	s_andn2_b32 s22, s22, exec_lo
	s_and_b32 s23, vcc_lo, exec_lo
	s_or_b32 s22, s22, s23
	s_or_b32 exec_lo, exec_lo, s16
	s_and_saveexec_b32 s16, s22
	s_cbranch_execnz .LBB4_3514
	s_branch .LBB4_3515
.LBB4_4604:                             ;   in Loop: Header=BB4_3436 Depth=3
	s_or_saveexec_b32 s22, s22
	v_mov_b32_e32 v91, 0x7f800001
	s_xor_b32 exec_lo, exec_lo, s22
	s_cbranch_execz .LBB4_3519
.LBB4_4605:                             ;   in Loop: Header=BB4_3436 Depth=3
	v_cmp_ne_u16_e32 vcc_lo, 0, v92
	v_mov_b32_e32 v91, 0
	s_andn2_b32 s16, s16, exec_lo
	s_and_b32 s23, vcc_lo, exec_lo
	s_or_b32 s16, s16, s23
	s_or_b32 exec_lo, exec_lo, s22
	s_and_saveexec_b32 s22, s16
	s_cbranch_execnz .LBB4_3520
	s_branch .LBB4_3521
.LBB4_4606:                             ;   in Loop: Header=BB4_3436 Depth=3
	s_or_saveexec_b32 s22, s22
	v_mov_b32_e32 v90, 0x7f800001
	s_xor_b32 exec_lo, exec_lo, s22
	s_cbranch_execz .LBB4_3527
.LBB4_4607:                             ;   in Loop: Header=BB4_3436 Depth=3
	v_cmp_ne_u16_e32 vcc_lo, 0, v89
	v_mov_b32_e32 v90, 0
	s_andn2_b32 s16, s16, exec_lo
	s_and_b32 s23, vcc_lo, exec_lo
	s_or_b32 s16, s16, s23
	s_or_b32 exec_lo, exec_lo, s22
	s_and_saveexec_b32 s22, s16
	s_cbranch_execnz .LBB4_3528
	s_branch .LBB4_3529
.LBB4_4608:                             ;   in Loop: Header=BB4_3436 Depth=3
	s_or_saveexec_b32 s22, s22
	v_mov_b32_e32 v89, 0x7f800001
	s_xor_b32 exec_lo, exec_lo, s22
	s_cbranch_execz .LBB4_3533
.LBB4_4609:                             ;   in Loop: Header=BB4_3436 Depth=3
	v_cmp_ne_u16_e32 vcc_lo, 0, v91
	v_mov_b32_e32 v89, 0
	s_andn2_b32 s16, s16, exec_lo
	s_and_b32 s23, vcc_lo, exec_lo
	s_or_b32 s16, s16, s23
	s_or_b32 exec_lo, exec_lo, s22
	s_and_saveexec_b32 s22, s16
	s_cbranch_execnz .LBB4_3534
	s_branch .LBB4_3535
.LBB4_4610:                             ;   in Loop: Header=BB4_3436 Depth=3
	s_or_saveexec_b32 s22, s22
	v_mov_b32_e32 v90, 0x7f800001
	s_xor_b32 exec_lo, exec_lo, s22
	s_cbranch_execz .LBB4_3549
.LBB4_4611:                             ;   in Loop: Header=BB4_3436 Depth=3
	v_cmp_ne_u16_sdwa s23, v20, v2 src0_sel:BYTE_3 src1_sel:DWORD
	v_mov_b32_e32 v90, 0
	s_andn2_b32 s16, s16, exec_lo
	s_and_b32 s23, s23, exec_lo
	s_or_b32 s16, s16, s23
	s_or_b32 exec_lo, exec_lo, s22
	s_and_saveexec_b32 s22, s16
	s_cbranch_execnz .LBB4_3550
	s_branch .LBB4_3551
.LBB4_4612:                             ;   in Loop: Header=BB4_3436 Depth=3
	s_or_saveexec_b32 s22, s22
	v_mov_b32_e32 v91, 0x7f800001
	s_xor_b32 exec_lo, exec_lo, s22
	s_cbranch_execz .LBB4_3555
.LBB4_4613:                             ;   in Loop: Header=BB4_3436 Depth=3
	v_cmp_ne_u16_sdwa s23, v16, v2 src0_sel:BYTE_3 src1_sel:DWORD
	v_mov_b32_e32 v91, 0
	s_andn2_b32 s16, s16, exec_lo
	s_and_b32 s23, s23, exec_lo
	s_or_b32 s16, s16, s23
	s_or_b32 exec_lo, exec_lo, s22
	s_and_saveexec_b32 s22, s16
	s_cbranch_execnz .LBB4_3556
	s_branch .LBB4_3557
.LBB4_4614:                             ;   in Loop: Header=BB4_3436 Depth=3
	s_or_saveexec_b32 s22, s22
	v_mov_b32_e32 v90, 0x7f800001
	s_xor_b32 exec_lo, exec_lo, s22
	s_cbranch_execz .LBB4_3563
.LBB4_4615:                             ;   in Loop: Header=BB4_3436 Depth=3
	v_cmp_ne_u16_sdwa s23, v20, v2 src0_sel:BYTE_3 src1_sel:DWORD
	v_mov_b32_e32 v90, 0
	s_andn2_b32 s16, s16, exec_lo
	s_and_b32 s23, s23, exec_lo
	s_or_b32 s16, s16, s23
	s_or_b32 exec_lo, exec_lo, s22
	s_and_saveexec_b32 s22, s16
	s_cbranch_execnz .LBB4_3564
	s_branch .LBB4_3565
.LBB4_4616:                             ;   in Loop: Header=BB4_3436 Depth=3
	s_or_saveexec_b32 s22, s22
	v_mov_b32_e32 v20, 0x7f800001
	s_xor_b32 exec_lo, exec_lo, s22
	s_cbranch_execz .LBB4_3569
.LBB4_4617:                             ;   in Loop: Header=BB4_3436 Depth=3
	v_cmp_ne_u16_sdwa s23, v16, v2 src0_sel:BYTE_3 src1_sel:DWORD
	v_mov_b32_e32 v20, 0
	s_andn2_b32 s16, s16, exec_lo
	s_and_b32 s23, s23, exec_lo
	s_or_b32 s16, s16, s23
	s_or_b32 exec_lo, exec_lo, s22
	s_and_saveexec_b32 s22, s16
	s_cbranch_execnz .LBB4_3570
	s_branch .LBB4_3571
.LBB4_4618:                             ;   in Loop: Header=BB4_3436 Depth=3
	s_or_saveexec_b32 s22, s22
	v_mov_b32_e32 v20, 0x7f800001
	s_xor_b32 exec_lo, exec_lo, s22
	s_cbranch_execz .LBB4_3585
.LBB4_4619:                             ;   in Loop: Header=BB4_3436 Depth=3
	v_cmp_ne_u16_sdwa s23, v21, v2 src0_sel:BYTE_0 src1_sel:DWORD
	v_mov_b32_e32 v20, 0
	s_andn2_b32 s16, s16, exec_lo
	s_and_b32 s23, s23, exec_lo
	s_or_b32 s16, s16, s23
	s_or_b32 exec_lo, exec_lo, s22
	s_and_saveexec_b32 s22, s16
	s_cbranch_execnz .LBB4_3586
	s_branch .LBB4_3587
.LBB4_4620:                             ;   in Loop: Header=BB4_3436 Depth=3
	s_or_saveexec_b32 s22, s22
	v_mov_b32_e32 v90, 0x7f800001
	s_xor_b32 exec_lo, exec_lo, s22
	s_cbranch_execz .LBB4_3591
.LBB4_4621:                             ;   in Loop: Header=BB4_3436 Depth=3
	v_cmp_ne_u16_sdwa s23, v17, v2 src0_sel:BYTE_0 src1_sel:DWORD
	v_mov_b32_e32 v90, 0
	s_andn2_b32 s16, s16, exec_lo
	s_and_b32 s23, s23, exec_lo
	s_or_b32 s16, s16, s23
	s_or_b32 exec_lo, exec_lo, s22
	s_and_saveexec_b32 s22, s16
	s_cbranch_execnz .LBB4_3592
	s_branch .LBB4_3593
.LBB4_4622:                             ;   in Loop: Header=BB4_3436 Depth=3
	s_or_saveexec_b32 s22, s22
	v_mov_b32_e32 v20, 0x7f800001
	s_xor_b32 exec_lo, exec_lo, s22
	s_cbranch_execz .LBB4_3599
.LBB4_4623:                             ;   in Loop: Header=BB4_3436 Depth=3
	v_cmp_ne_u16_sdwa s23, v21, v2 src0_sel:BYTE_0 src1_sel:DWORD
	v_mov_b32_e32 v20, 0
	s_andn2_b32 s16, s16, exec_lo
	s_and_b32 s23, s23, exec_lo
	s_or_b32 s16, s16, s23
	s_or_b32 exec_lo, exec_lo, s22
	s_and_saveexec_b32 s22, s16
	s_cbranch_execnz .LBB4_3600
	s_branch .LBB4_3601
.LBB4_4624:                             ;   in Loop: Header=BB4_3436 Depth=3
	s_or_saveexec_b32 s22, s22
	v_mov_b32_e32 v90, 0x7f800001
	s_xor_b32 exec_lo, exec_lo, s22
	s_cbranch_execz .LBB4_3605
.LBB4_4625:                             ;   in Loop: Header=BB4_3436 Depth=3
	v_cmp_ne_u16_sdwa s23, v17, v2 src0_sel:BYTE_0 src1_sel:DWORD
	v_mov_b32_e32 v90, 0
	s_andn2_b32 s16, s16, exec_lo
	s_and_b32 s23, s23, exec_lo
	s_or_b32 s16, s16, s23
	s_or_b32 exec_lo, exec_lo, s22
	s_and_saveexec_b32 s22, s16
	s_cbranch_execnz .LBB4_3606
	s_branch .LBB4_3607
.LBB4_4626:                             ;   in Loop: Header=BB4_3436 Depth=3
	s_or_saveexec_b32 s22, s22
	v_mov_b32_e32 v90, 0x7f800001
	s_xor_b32 exec_lo, exec_lo, s22
	s_cbranch_execz .LBB4_3621
.LBB4_4627:                             ;   in Loop: Header=BB4_3436 Depth=3
	v_cmp_ne_u16_sdwa s23, v21, v2 src0_sel:BYTE_1 src1_sel:DWORD
	v_mov_b32_e32 v90, 0
	s_andn2_b32 s16, s16, exec_lo
	s_and_b32 s23, s23, exec_lo
	s_or_b32 s16, s16, s23
	s_or_b32 exec_lo, exec_lo, s22
	s_and_saveexec_b32 s22, s16
	s_cbranch_execnz .LBB4_3622
	s_branch .LBB4_3623
.LBB4_4628:                             ;   in Loop: Header=BB4_3436 Depth=3
	s_or_saveexec_b32 s22, s22
	v_mov_b32_e32 v91, 0x7f800001
	s_xor_b32 exec_lo, exec_lo, s22
	s_cbranch_execz .LBB4_3627
.LBB4_4629:                             ;   in Loop: Header=BB4_3436 Depth=3
	v_cmp_ne_u16_sdwa s23, v17, v2 src0_sel:BYTE_1 src1_sel:DWORD
	v_mov_b32_e32 v91, 0
	s_andn2_b32 s16, s16, exec_lo
	s_and_b32 s23, s23, exec_lo
	s_or_b32 s16, s16, s23
	s_or_b32 exec_lo, exec_lo, s22
	s_and_saveexec_b32 s22, s16
	s_cbranch_execnz .LBB4_3628
	s_branch .LBB4_3629
.LBB4_4630:                             ;   in Loop: Header=BB4_3436 Depth=3
	s_or_saveexec_b32 s22, s22
	v_mov_b32_e32 v90, 0x7f800001
	s_xor_b32 exec_lo, exec_lo, s22
	s_cbranch_execz .LBB4_3635
.LBB4_4631:                             ;   in Loop: Header=BB4_3436 Depth=3
	v_cmp_ne_u16_sdwa s23, v21, v2 src0_sel:BYTE_1 src1_sel:DWORD
	v_mov_b32_e32 v90, 0
	s_andn2_b32 s16, s16, exec_lo
	s_and_b32 s23, s23, exec_lo
	s_or_b32 s16, s16, s23
	s_or_b32 exec_lo, exec_lo, s22
	s_and_saveexec_b32 s22, s16
	s_cbranch_execnz .LBB4_3636
	s_branch .LBB4_3637
.LBB4_4632:                             ;   in Loop: Header=BB4_3436 Depth=3
	s_or_saveexec_b32 s22, s22
	v_mov_b32_e32 v91, 0x7f800001
	s_xor_b32 exec_lo, exec_lo, s22
	s_cbranch_execz .LBB4_3641
.LBB4_4633:                             ;   in Loop: Header=BB4_3436 Depth=3
	v_cmp_ne_u16_sdwa s23, v17, v2 src0_sel:BYTE_1 src1_sel:DWORD
	v_mov_b32_e32 v91, 0
	s_andn2_b32 s16, s16, exec_lo
	s_and_b32 s23, s23, exec_lo
	s_or_b32 s16, s16, s23
	s_or_b32 exec_lo, exec_lo, s22
	s_and_saveexec_b32 s22, s16
	s_cbranch_execnz .LBB4_3642
	s_branch .LBB4_3643
.LBB4_4634:                             ;   in Loop: Header=BB4_3436 Depth=3
	s_or_saveexec_b32 s16, s16
	v_mov_b32_e32 v92, 0x7f800001
	s_xor_b32 exec_lo, exec_lo, s16
	s_cbranch_execz .LBB4_3657
.LBB4_4635:                             ;   in Loop: Header=BB4_3436 Depth=3
	v_cmp_ne_u16_e32 vcc_lo, 0, v91
	v_mov_b32_e32 v92, 0
	s_andn2_b32 s22, s22, exec_lo
	s_and_b32 s23, vcc_lo, exec_lo
	s_or_b32 s22, s22, s23
	s_or_b32 exec_lo, exec_lo, s16
	s_and_saveexec_b32 s16, s22
	s_cbranch_execnz .LBB4_3658
	s_branch .LBB4_3659
.LBB4_4636:                             ;   in Loop: Header=BB4_3436 Depth=3
	s_or_saveexec_b32 s22, s22
	v_mov_b32_e32 v93, 0x7f800001
	s_xor_b32 exec_lo, exec_lo, s22
	s_cbranch_execz .LBB4_3663
.LBB4_4637:                             ;   in Loop: Header=BB4_3436 Depth=3
	v_cmp_ne_u16_e32 vcc_lo, 0, v94
	v_mov_b32_e32 v93, 0
	s_andn2_b32 s16, s16, exec_lo
	s_and_b32 s23, vcc_lo, exec_lo
	s_or_b32 s16, s16, s23
	s_or_b32 exec_lo, exec_lo, s22
	s_and_saveexec_b32 s22, s16
	s_cbranch_execnz .LBB4_3664
	s_branch .LBB4_3665
.LBB4_4638:                             ;   in Loop: Header=BB4_3436 Depth=3
	s_or_saveexec_b32 s22, s22
	v_mov_b32_e32 v92, 0x7f800001
	s_xor_b32 exec_lo, exec_lo, s22
	s_cbranch_execz .LBB4_3671
.LBB4_4639:                             ;   in Loop: Header=BB4_3436 Depth=3
	v_cmp_ne_u16_e32 vcc_lo, 0, v91
	v_mov_b32_e32 v92, 0
	s_andn2_b32 s16, s16, exec_lo
	s_and_b32 s23, vcc_lo, exec_lo
	s_or_b32 s16, s16, s23
	s_or_b32 exec_lo, exec_lo, s22
	s_and_saveexec_b32 s22, s16
	s_cbranch_execnz .LBB4_3672
	s_branch .LBB4_3673
.LBB4_4640:                             ;   in Loop: Header=BB4_3436 Depth=3
	s_or_saveexec_b32 s22, s22
	v_mov_b32_e32 v91, 0x7f800001
	s_xor_b32 exec_lo, exec_lo, s22
	s_cbranch_execz .LBB4_3677
.LBB4_4641:                             ;   in Loop: Header=BB4_3436 Depth=3
	v_cmp_ne_u16_e32 vcc_lo, 0, v93
	v_mov_b32_e32 v91, 0
	s_andn2_b32 s16, s16, exec_lo
	s_and_b32 s23, vcc_lo, exec_lo
	s_or_b32 s16, s16, s23
	s_or_b32 exec_lo, exec_lo, s22
	s_and_saveexec_b32 s22, s16
	s_cbranch_execnz .LBB4_3678
	s_branch .LBB4_3679
.LBB4_4642:                             ;   in Loop: Header=BB4_3436 Depth=3
	s_or_saveexec_b32 s22, s22
	v_mov_b32_e32 v92, 0x7f800001
	s_xor_b32 exec_lo, exec_lo, s22
	s_cbranch_execz .LBB4_3693
.LBB4_4643:                             ;   in Loop: Header=BB4_3436 Depth=3
	v_cmp_ne_u16_sdwa s23, v21, v2 src0_sel:BYTE_3 src1_sel:DWORD
	v_mov_b32_e32 v92, 0
	s_andn2_b32 s16, s16, exec_lo
	s_and_b32 s23, s23, exec_lo
	s_or_b32 s16, s16, s23
	s_or_b32 exec_lo, exec_lo, s22
	s_and_saveexec_b32 s22, s16
	s_cbranch_execnz .LBB4_3694
	s_branch .LBB4_3695
.LBB4_4644:                             ;   in Loop: Header=BB4_3436 Depth=3
	s_or_saveexec_b32 s22, s22
	v_mov_b32_e32 v93, 0x7f800001
	s_xor_b32 exec_lo, exec_lo, s22
	s_cbranch_execz .LBB4_3699
.LBB4_4645:                             ;   in Loop: Header=BB4_3436 Depth=3
	v_cmp_ne_u16_sdwa s23, v17, v2 src0_sel:BYTE_3 src1_sel:DWORD
	v_mov_b32_e32 v93, 0
	s_andn2_b32 s16, s16, exec_lo
	s_and_b32 s23, s23, exec_lo
	s_or_b32 s16, s16, s23
	s_or_b32 exec_lo, exec_lo, s22
	s_and_saveexec_b32 s22, s16
	s_cbranch_execnz .LBB4_3700
	s_branch .LBB4_3701
.LBB4_4646:                             ;   in Loop: Header=BB4_3436 Depth=3
	s_or_saveexec_b32 s22, s22
	v_mov_b32_e32 v92, 0x7f800001
	s_xor_b32 exec_lo, exec_lo, s22
	s_cbranch_execz .LBB4_3707
.LBB4_4647:                             ;   in Loop: Header=BB4_3436 Depth=3
	v_cmp_ne_u16_sdwa s23, v21, v2 src0_sel:BYTE_3 src1_sel:DWORD
	v_mov_b32_e32 v92, 0
	s_andn2_b32 s16, s16, exec_lo
	s_and_b32 s23, s23, exec_lo
	s_or_b32 s16, s16, s23
	s_or_b32 exec_lo, exec_lo, s22
	s_and_saveexec_b32 s22, s16
	s_cbranch_execnz .LBB4_3708
	s_branch .LBB4_3709
.LBB4_4648:                             ;   in Loop: Header=BB4_3436 Depth=3
	s_or_saveexec_b32 s22, s22
	v_mov_b32_e32 v21, 0x7f800001
	s_xor_b32 exec_lo, exec_lo, s22
	s_cbranch_execz .LBB4_3713
.LBB4_4649:                             ;   in Loop: Header=BB4_3436 Depth=3
	v_cmp_ne_u16_sdwa s23, v17, v2 src0_sel:BYTE_3 src1_sel:DWORD
	v_mov_b32_e32 v21, 0
	s_andn2_b32 s16, s16, exec_lo
	s_and_b32 s23, s23, exec_lo
	s_or_b32 s16, s16, s23
	s_or_b32 exec_lo, exec_lo, s22
	s_and_saveexec_b32 s22, s16
	s_cbranch_execnz .LBB4_3714
	s_branch .LBB4_3715
.LBB4_4650:                             ;   in Loop: Header=BB4_3436 Depth=3
	s_or_saveexec_b32 s22, s22
	v_mov_b32_e32 v21, 0x7f800001
	s_xor_b32 exec_lo, exec_lo, s22
	s_cbranch_execz .LBB4_3729
.LBB4_4651:                             ;   in Loop: Header=BB4_3436 Depth=3
	v_cmp_ne_u16_sdwa s23, v22, v2 src0_sel:BYTE_0 src1_sel:DWORD
	v_mov_b32_e32 v21, 0
	s_andn2_b32 s16, s16, exec_lo
	s_and_b32 s23, s23, exec_lo
	s_or_b32 s16, s16, s23
	s_or_b32 exec_lo, exec_lo, s22
	s_and_saveexec_b32 s22, s16
	s_cbranch_execnz .LBB4_3730
	s_branch .LBB4_3731
.LBB4_4652:                             ;   in Loop: Header=BB4_3436 Depth=3
	s_or_saveexec_b32 s22, s22
	v_mov_b32_e32 v92, 0x7f800001
	s_xor_b32 exec_lo, exec_lo, s22
	s_cbranch_execz .LBB4_3735
.LBB4_4653:                             ;   in Loop: Header=BB4_3436 Depth=3
	v_cmp_ne_u16_sdwa s23, v18, v2 src0_sel:BYTE_0 src1_sel:DWORD
	v_mov_b32_e32 v92, 0
	s_andn2_b32 s16, s16, exec_lo
	s_and_b32 s23, s23, exec_lo
	s_or_b32 s16, s16, s23
	s_or_b32 exec_lo, exec_lo, s22
	s_and_saveexec_b32 s22, s16
	s_cbranch_execnz .LBB4_3736
	s_branch .LBB4_3737
.LBB4_4654:                             ;   in Loop: Header=BB4_3436 Depth=3
	s_or_saveexec_b32 s22, s22
	v_mov_b32_e32 v21, 0x7f800001
	s_xor_b32 exec_lo, exec_lo, s22
	s_cbranch_execz .LBB4_3743
.LBB4_4655:                             ;   in Loop: Header=BB4_3436 Depth=3
	v_cmp_ne_u16_sdwa s23, v22, v2 src0_sel:BYTE_0 src1_sel:DWORD
	v_mov_b32_e32 v21, 0
	s_andn2_b32 s16, s16, exec_lo
	s_and_b32 s23, s23, exec_lo
	s_or_b32 s16, s16, s23
	s_or_b32 exec_lo, exec_lo, s22
	s_and_saveexec_b32 s22, s16
	s_cbranch_execnz .LBB4_3744
	s_branch .LBB4_3745
.LBB4_4656:                             ;   in Loop: Header=BB4_3436 Depth=3
	s_or_saveexec_b32 s22, s22
	v_mov_b32_e32 v92, 0x7f800001
	s_xor_b32 exec_lo, exec_lo, s22
	s_cbranch_execz .LBB4_3749
.LBB4_4657:                             ;   in Loop: Header=BB4_3436 Depth=3
	v_cmp_ne_u16_sdwa s23, v18, v2 src0_sel:BYTE_0 src1_sel:DWORD
	v_mov_b32_e32 v92, 0
	s_andn2_b32 s16, s16, exec_lo
	s_and_b32 s23, s23, exec_lo
	s_or_b32 s16, s16, s23
	s_or_b32 exec_lo, exec_lo, s22
	s_and_saveexec_b32 s22, s16
	s_cbranch_execnz .LBB4_3750
	s_branch .LBB4_3751
.LBB4_4658:                             ;   in Loop: Header=BB4_3436 Depth=3
	s_or_saveexec_b32 s22, s22
	v_mov_b32_e32 v92, 0x7f800001
	s_xor_b32 exec_lo, exec_lo, s22
	s_cbranch_execz .LBB4_3765
.LBB4_4659:                             ;   in Loop: Header=BB4_3436 Depth=3
	v_cmp_ne_u16_sdwa s23, v22, v2 src0_sel:BYTE_1 src1_sel:DWORD
	v_mov_b32_e32 v92, 0
	s_andn2_b32 s16, s16, exec_lo
	s_and_b32 s23, s23, exec_lo
	s_or_b32 s16, s16, s23
	s_or_b32 exec_lo, exec_lo, s22
	s_and_saveexec_b32 s22, s16
	s_cbranch_execnz .LBB4_3766
	s_branch .LBB4_3767
.LBB4_4660:                             ;   in Loop: Header=BB4_3436 Depth=3
	s_or_saveexec_b32 s22, s22
	v_mov_b32_e32 v93, 0x7f800001
	s_xor_b32 exec_lo, exec_lo, s22
	s_cbranch_execz .LBB4_3771
.LBB4_4661:                             ;   in Loop: Header=BB4_3436 Depth=3
	v_cmp_ne_u16_sdwa s23, v18, v2 src0_sel:BYTE_1 src1_sel:DWORD
	v_mov_b32_e32 v93, 0
	s_andn2_b32 s16, s16, exec_lo
	s_and_b32 s23, s23, exec_lo
	s_or_b32 s16, s16, s23
	s_or_b32 exec_lo, exec_lo, s22
	s_and_saveexec_b32 s22, s16
	s_cbranch_execnz .LBB4_3772
	s_branch .LBB4_3773
.LBB4_4662:                             ;   in Loop: Header=BB4_3436 Depth=3
	s_or_saveexec_b32 s22, s22
	v_mov_b32_e32 v92, 0x7f800001
	s_xor_b32 exec_lo, exec_lo, s22
	s_cbranch_execz .LBB4_3779
.LBB4_4663:                             ;   in Loop: Header=BB4_3436 Depth=3
	v_cmp_ne_u16_sdwa s23, v22, v2 src0_sel:BYTE_1 src1_sel:DWORD
	v_mov_b32_e32 v92, 0
	s_andn2_b32 s16, s16, exec_lo
	s_and_b32 s23, s23, exec_lo
	s_or_b32 s16, s16, s23
	s_or_b32 exec_lo, exec_lo, s22
	s_and_saveexec_b32 s22, s16
	s_cbranch_execnz .LBB4_3780
	s_branch .LBB4_3781
.LBB4_4664:                             ;   in Loop: Header=BB4_3436 Depth=3
	s_or_saveexec_b32 s22, s22
	v_mov_b32_e32 v93, 0x7f800001
	s_xor_b32 exec_lo, exec_lo, s22
	s_cbranch_execz .LBB4_3785
.LBB4_4665:                             ;   in Loop: Header=BB4_3436 Depth=3
	v_cmp_ne_u16_sdwa s23, v18, v2 src0_sel:BYTE_1 src1_sel:DWORD
	v_mov_b32_e32 v93, 0
	s_andn2_b32 s16, s16, exec_lo
	s_and_b32 s23, s23, exec_lo
	s_or_b32 s16, s16, s23
	s_or_b32 exec_lo, exec_lo, s22
	s_and_saveexec_b32 s22, s16
	s_cbranch_execnz .LBB4_3786
	s_branch .LBB4_3787
.LBB4_4666:                             ;   in Loop: Header=BB4_3436 Depth=3
	s_or_saveexec_b32 s16, s16
	v_mov_b32_e32 v94, 0x7f800001
	s_xor_b32 exec_lo, exec_lo, s16
	s_cbranch_execz .LBB4_3801
.LBB4_4667:                             ;   in Loop: Header=BB4_3436 Depth=3
	v_cmp_ne_u16_e32 vcc_lo, 0, v93
	v_mov_b32_e32 v94, 0
	s_andn2_b32 s22, s22, exec_lo
	s_and_b32 s23, vcc_lo, exec_lo
	s_or_b32 s22, s22, s23
	s_or_b32 exec_lo, exec_lo, s16
	s_and_saveexec_b32 s16, s22
	s_cbranch_execnz .LBB4_3802
	s_branch .LBB4_3803
.LBB4_4668:                             ;   in Loop: Header=BB4_3436 Depth=3
	s_or_saveexec_b32 s22, s22
	v_mov_b32_e32 v95, 0x7f800001
	s_xor_b32 exec_lo, exec_lo, s22
	s_cbranch_execz .LBB4_3807
.LBB4_4669:                             ;   in Loop: Header=BB4_3436 Depth=3
	v_cmp_ne_u16_e32 vcc_lo, 0, v104
	v_mov_b32_e32 v95, 0
	s_andn2_b32 s16, s16, exec_lo
	s_and_b32 s23, vcc_lo, exec_lo
	s_or_b32 s16, s16, s23
	s_or_b32 exec_lo, exec_lo, s22
	s_and_saveexec_b32 s22, s16
	s_cbranch_execnz .LBB4_3808
	s_branch .LBB4_3809
.LBB4_4670:                             ;   in Loop: Header=BB4_3436 Depth=3
	s_or_saveexec_b32 s22, s22
	v_mov_b32_e32 v94, 0x7f800001
	s_xor_b32 exec_lo, exec_lo, s22
	s_cbranch_execz .LBB4_3815
.LBB4_4671:                             ;   in Loop: Header=BB4_3436 Depth=3
	v_cmp_ne_u16_e32 vcc_lo, 0, v93
	v_mov_b32_e32 v94, 0
	s_andn2_b32 s16, s16, exec_lo
	s_and_b32 s23, vcc_lo, exec_lo
	s_or_b32 s16, s16, s23
	s_or_b32 exec_lo, exec_lo, s22
	s_and_saveexec_b32 s22, s16
	s_cbranch_execnz .LBB4_3816
	s_branch .LBB4_3817
.LBB4_4672:                             ;   in Loop: Header=BB4_3436 Depth=3
	s_or_saveexec_b32 s22, s22
	v_mov_b32_e32 v93, 0x7f800001
	s_xor_b32 exec_lo, exec_lo, s22
	s_cbranch_execz .LBB4_3821
.LBB4_4673:                             ;   in Loop: Header=BB4_3436 Depth=3
	v_cmp_ne_u16_e32 vcc_lo, 0, v95
	v_mov_b32_e32 v93, 0
	s_andn2_b32 s16, s16, exec_lo
	s_and_b32 s23, vcc_lo, exec_lo
	s_or_b32 s16, s16, s23
	s_or_b32 exec_lo, exec_lo, s22
	s_and_saveexec_b32 s22, s16
	s_cbranch_execnz .LBB4_3822
	s_branch .LBB4_3823
.LBB4_4674:                             ;   in Loop: Header=BB4_3436 Depth=3
	s_or_saveexec_b32 s22, s22
	v_mov_b32_e32 v94, 0x7f800001
	s_xor_b32 exec_lo, exec_lo, s22
	s_cbranch_execz .LBB4_3837
.LBB4_4675:                             ;   in Loop: Header=BB4_3436 Depth=3
	v_cmp_ne_u16_sdwa s23, v22, v2 src0_sel:BYTE_3 src1_sel:DWORD
	v_mov_b32_e32 v94, 0
	s_andn2_b32 s16, s16, exec_lo
	s_and_b32 s23, s23, exec_lo
	s_or_b32 s16, s16, s23
	s_or_b32 exec_lo, exec_lo, s22
	s_and_saveexec_b32 s22, s16
	s_cbranch_execnz .LBB4_3838
	s_branch .LBB4_3839
.LBB4_4676:                             ;   in Loop: Header=BB4_3436 Depth=3
	s_or_saveexec_b32 s22, s22
	v_mov_b32_e32 v95, 0x7f800001
	s_xor_b32 exec_lo, exec_lo, s22
	s_cbranch_execz .LBB4_3843
.LBB4_4677:                             ;   in Loop: Header=BB4_3436 Depth=3
	v_cmp_ne_u16_sdwa s23, v18, v2 src0_sel:BYTE_3 src1_sel:DWORD
	v_mov_b32_e32 v95, 0
	s_andn2_b32 s16, s16, exec_lo
	s_and_b32 s23, s23, exec_lo
	s_or_b32 s16, s16, s23
	s_or_b32 exec_lo, exec_lo, s22
	s_and_saveexec_b32 s22, s16
	s_cbranch_execnz .LBB4_3844
	s_branch .LBB4_3845
.LBB4_4678:                             ;   in Loop: Header=BB4_3436 Depth=3
	s_or_saveexec_b32 s22, s22
	v_mov_b32_e32 v94, 0x7f800001
	s_xor_b32 exec_lo, exec_lo, s22
	s_cbranch_execz .LBB4_3851
.LBB4_4679:                             ;   in Loop: Header=BB4_3436 Depth=3
	v_cmp_ne_u16_sdwa s23, v22, v2 src0_sel:BYTE_3 src1_sel:DWORD
	v_mov_b32_e32 v94, 0
	s_andn2_b32 s16, s16, exec_lo
	s_and_b32 s23, s23, exec_lo
	s_or_b32 s16, s16, s23
	s_or_b32 exec_lo, exec_lo, s22
	s_and_saveexec_b32 s22, s16
	s_cbranch_execnz .LBB4_3852
	s_branch .LBB4_3853
.LBB4_4680:                             ;   in Loop: Header=BB4_3436 Depth=3
	s_or_saveexec_b32 s22, s22
	v_mov_b32_e32 v22, 0x7f800001
	s_xor_b32 exec_lo, exec_lo, s22
	s_cbranch_execz .LBB4_3857
.LBB4_4681:                             ;   in Loop: Header=BB4_3436 Depth=3
	v_cmp_ne_u16_sdwa s23, v18, v2 src0_sel:BYTE_3 src1_sel:DWORD
	v_mov_b32_e32 v22, 0
	s_andn2_b32 s16, s16, exec_lo
	s_and_b32 s23, s23, exec_lo
	s_or_b32 s16, s16, s23
	s_or_b32 exec_lo, exec_lo, s22
	s_and_saveexec_b32 s22, s16
	s_cbranch_execnz .LBB4_3858
	s_branch .LBB4_3859
.LBB4_4682:                             ;   in Loop: Header=BB4_3436 Depth=3
	s_or_saveexec_b32 s22, s22
	v_mov_b32_e32 v22, 0x7f800001
	s_xor_b32 exec_lo, exec_lo, s22
	s_cbranch_execz .LBB4_3873
.LBB4_4683:                             ;   in Loop: Header=BB4_3436 Depth=3
	v_cmp_ne_u16_sdwa s23, v23, v2 src0_sel:BYTE_0 src1_sel:DWORD
	v_mov_b32_e32 v22, 0
	s_andn2_b32 s16, s16, exec_lo
	s_and_b32 s23, s23, exec_lo
	s_or_b32 s16, s16, s23
	s_or_b32 exec_lo, exec_lo, s22
	s_and_saveexec_b32 s22, s16
	s_cbranch_execnz .LBB4_3874
	s_branch .LBB4_3875
.LBB4_4684:                             ;   in Loop: Header=BB4_3436 Depth=3
	s_or_saveexec_b32 s22, s22
	v_mov_b32_e32 v94, 0x7f800001
	s_xor_b32 exec_lo, exec_lo, s22
	s_cbranch_execz .LBB4_3879
.LBB4_4685:                             ;   in Loop: Header=BB4_3436 Depth=3
	v_cmp_ne_u16_sdwa s23, v19, v2 src0_sel:BYTE_0 src1_sel:DWORD
	v_mov_b32_e32 v94, 0
	s_andn2_b32 s16, s16, exec_lo
	s_and_b32 s23, s23, exec_lo
	s_or_b32 s16, s16, s23
	s_or_b32 exec_lo, exec_lo, s22
	s_and_saveexec_b32 s22, s16
	s_cbranch_execnz .LBB4_3880
	s_branch .LBB4_3881
.LBB4_4686:                             ;   in Loop: Header=BB4_3436 Depth=3
	s_or_saveexec_b32 s22, s22
	v_mov_b32_e32 v22, 0x7f800001
	s_xor_b32 exec_lo, exec_lo, s22
	s_cbranch_execz .LBB4_3887
.LBB4_4687:                             ;   in Loop: Header=BB4_3436 Depth=3
	v_cmp_ne_u16_sdwa s23, v23, v2 src0_sel:BYTE_0 src1_sel:DWORD
	v_mov_b32_e32 v22, 0
	s_andn2_b32 s16, s16, exec_lo
	s_and_b32 s23, s23, exec_lo
	s_or_b32 s16, s16, s23
	s_or_b32 exec_lo, exec_lo, s22
	s_and_saveexec_b32 s22, s16
	s_cbranch_execnz .LBB4_3888
	s_branch .LBB4_3889
.LBB4_4688:                             ;   in Loop: Header=BB4_3436 Depth=3
	s_or_saveexec_b32 s22, s22
	v_mov_b32_e32 v94, 0x7f800001
	s_xor_b32 exec_lo, exec_lo, s22
	s_cbranch_execz .LBB4_3893
.LBB4_4689:                             ;   in Loop: Header=BB4_3436 Depth=3
	v_cmp_ne_u16_sdwa s23, v19, v2 src0_sel:BYTE_0 src1_sel:DWORD
	v_mov_b32_e32 v94, 0
	s_andn2_b32 s16, s16, exec_lo
	s_and_b32 s23, s23, exec_lo
	s_or_b32 s16, s16, s23
	s_or_b32 exec_lo, exec_lo, s22
	s_and_saveexec_b32 s22, s16
	s_cbranch_execnz .LBB4_3894
	s_branch .LBB4_3895
.LBB4_4690:                             ;   in Loop: Header=BB4_3436 Depth=3
	s_or_saveexec_b32 s22, s22
	v_mov_b32_e32 v94, 0x7f800001
	s_xor_b32 exec_lo, exec_lo, s22
	s_cbranch_execz .LBB4_3909
.LBB4_4691:                             ;   in Loop: Header=BB4_3436 Depth=3
	v_cmp_ne_u16_sdwa s23, v23, v2 src0_sel:BYTE_1 src1_sel:DWORD
	v_mov_b32_e32 v94, 0
	s_andn2_b32 s16, s16, exec_lo
	s_and_b32 s23, s23, exec_lo
	s_or_b32 s16, s16, s23
	s_or_b32 exec_lo, exec_lo, s22
	s_and_saveexec_b32 s22, s16
	s_cbranch_execnz .LBB4_3910
	s_branch .LBB4_3911
.LBB4_4692:                             ;   in Loop: Header=BB4_3436 Depth=3
	s_or_saveexec_b32 s22, s22
	v_mov_b32_e32 v95, 0x7f800001
	s_xor_b32 exec_lo, exec_lo, s22
	s_cbranch_execz .LBB4_3915
.LBB4_4693:                             ;   in Loop: Header=BB4_3436 Depth=3
	v_cmp_ne_u16_sdwa s23, v19, v2 src0_sel:BYTE_1 src1_sel:DWORD
	v_mov_b32_e32 v95, 0
	s_andn2_b32 s16, s16, exec_lo
	s_and_b32 s23, s23, exec_lo
	s_or_b32 s16, s16, s23
	s_or_b32 exec_lo, exec_lo, s22
	s_and_saveexec_b32 s22, s16
	s_cbranch_execnz .LBB4_3916
	s_branch .LBB4_3917
.LBB4_4694:                             ;   in Loop: Header=BB4_3436 Depth=3
	s_or_saveexec_b32 s22, s22
	v_mov_b32_e32 v94, 0x7f800001
	s_xor_b32 exec_lo, exec_lo, s22
	s_cbranch_execz .LBB4_3923
.LBB4_4695:                             ;   in Loop: Header=BB4_3436 Depth=3
	v_cmp_ne_u16_sdwa s23, v23, v2 src0_sel:BYTE_1 src1_sel:DWORD
	v_mov_b32_e32 v94, 0
	s_andn2_b32 s16, s16, exec_lo
	s_and_b32 s23, s23, exec_lo
	s_or_b32 s16, s16, s23
	s_or_b32 exec_lo, exec_lo, s22
	s_and_saveexec_b32 s22, s16
	s_cbranch_execnz .LBB4_3924
	s_branch .LBB4_3925
.LBB4_4696:                             ;   in Loop: Header=BB4_3436 Depth=3
	s_or_saveexec_b32 s22, s22
	v_mov_b32_e32 v95, 0x7f800001
	s_xor_b32 exec_lo, exec_lo, s22
	s_cbranch_execz .LBB4_3929
.LBB4_4697:                             ;   in Loop: Header=BB4_3436 Depth=3
	v_cmp_ne_u16_sdwa s23, v19, v2 src0_sel:BYTE_1 src1_sel:DWORD
	v_mov_b32_e32 v95, 0
	s_andn2_b32 s16, s16, exec_lo
	s_and_b32 s23, s23, exec_lo
	s_or_b32 s16, s16, s23
	s_or_b32 exec_lo, exec_lo, s22
	s_and_saveexec_b32 s22, s16
	s_cbranch_execnz .LBB4_3930
	s_branch .LBB4_3931
.LBB4_4698:                             ;   in Loop: Header=BB4_3436 Depth=3
	s_or_saveexec_b32 s16, s16
	v_mov_b32_e32 v104, 0x7f800001
	s_xor_b32 exec_lo, exec_lo, s16
	s_cbranch_execz .LBB4_3945
.LBB4_4699:                             ;   in Loop: Header=BB4_3436 Depth=3
	v_cmp_ne_u16_e32 vcc_lo, 0, v95
	v_mov_b32_e32 v104, 0
	s_andn2_b32 s22, s22, exec_lo
	s_and_b32 s23, vcc_lo, exec_lo
	s_or_b32 s22, s22, s23
	s_or_b32 exec_lo, exec_lo, s16
	s_and_saveexec_b32 s16, s22
	s_cbranch_execnz .LBB4_3946
	s_branch .LBB4_3947
.LBB4_4700:                             ;   in Loop: Header=BB4_3436 Depth=3
	s_or_saveexec_b32 s22, s22
	v_mov_b32_e32 v105, 0x7f800001
	s_xor_b32 exec_lo, exec_lo, s22
	s_cbranch_execz .LBB4_3951
.LBB4_4701:                             ;   in Loop: Header=BB4_3436 Depth=3
	v_cmp_ne_u16_e32 vcc_lo, 0, v106
	v_mov_b32_e32 v105, 0
	s_andn2_b32 s16, s16, exec_lo
	s_and_b32 s23, vcc_lo, exec_lo
	s_or_b32 s16, s16, s23
	s_or_b32 exec_lo, exec_lo, s22
	s_and_saveexec_b32 s22, s16
	s_cbranch_execnz .LBB4_3952
	s_branch .LBB4_3953
.LBB4_4702:                             ;   in Loop: Header=BB4_3436 Depth=3
	s_or_saveexec_b32 s22, s22
	v_mov_b32_e32 v104, 0x7f800001
	s_xor_b32 exec_lo, exec_lo, s22
	s_cbranch_execz .LBB4_3959
.LBB4_4703:                             ;   in Loop: Header=BB4_3436 Depth=3
	v_cmp_ne_u16_e32 vcc_lo, 0, v95
	v_mov_b32_e32 v104, 0
	s_andn2_b32 s16, s16, exec_lo
	s_and_b32 s23, vcc_lo, exec_lo
	s_or_b32 s16, s16, s23
	s_or_b32 exec_lo, exec_lo, s22
	s_and_saveexec_b32 s22, s16
	s_cbranch_execnz .LBB4_3960
	s_branch .LBB4_3961
.LBB4_4704:                             ;   in Loop: Header=BB4_3436 Depth=3
	s_or_saveexec_b32 s22, s22
	v_mov_b32_e32 v95, 0x7f800001
	s_xor_b32 exec_lo, exec_lo, s22
	s_cbranch_execz .LBB4_3965
.LBB4_4705:                             ;   in Loop: Header=BB4_3436 Depth=3
	v_cmp_ne_u16_e32 vcc_lo, 0, v105
	v_mov_b32_e32 v95, 0
	s_andn2_b32 s16, s16, exec_lo
	s_and_b32 s23, vcc_lo, exec_lo
	s_or_b32 s16, s16, s23
	s_or_b32 exec_lo, exec_lo, s22
	s_and_saveexec_b32 s22, s16
	s_cbranch_execnz .LBB4_3966
	s_branch .LBB4_3967
.LBB4_4706:                             ;   in Loop: Header=BB4_3436 Depth=3
	s_or_saveexec_b32 s22, s22
	v_mov_b32_e32 v104, 0x7f800001
	s_xor_b32 exec_lo, exec_lo, s22
	s_cbranch_execz .LBB4_3981
.LBB4_4707:                             ;   in Loop: Header=BB4_3436 Depth=3
	v_cmp_ne_u16_sdwa s23, v23, v2 src0_sel:BYTE_3 src1_sel:DWORD
	v_mov_b32_e32 v104, 0
	s_andn2_b32 s16, s16, exec_lo
	s_and_b32 s23, s23, exec_lo
	s_or_b32 s16, s16, s23
	s_or_b32 exec_lo, exec_lo, s22
	s_and_saveexec_b32 s22, s16
	s_cbranch_execnz .LBB4_3982
	s_branch .LBB4_3983
.LBB4_4708:                             ;   in Loop: Header=BB4_3436 Depth=3
	s_or_saveexec_b32 s22, s22
	v_mov_b32_e32 v105, 0x7f800001
	s_xor_b32 exec_lo, exec_lo, s22
	s_cbranch_execz .LBB4_3987
.LBB4_4709:                             ;   in Loop: Header=BB4_3436 Depth=3
	v_cmp_ne_u16_sdwa s23, v19, v2 src0_sel:BYTE_3 src1_sel:DWORD
	v_mov_b32_e32 v105, 0
	s_andn2_b32 s16, s16, exec_lo
	s_and_b32 s23, s23, exec_lo
	s_or_b32 s16, s16, s23
	s_or_b32 exec_lo, exec_lo, s22
	s_and_saveexec_b32 s22, s16
	s_cbranch_execnz .LBB4_3988
	s_branch .LBB4_3989
.LBB4_4710:                             ;   in Loop: Header=BB4_3436 Depth=3
	s_or_saveexec_b32 s22, s22
	v_mov_b32_e32 v104, 0x7f800001
	s_xor_b32 exec_lo, exec_lo, s22
	s_cbranch_execz .LBB4_3995
.LBB4_4711:                             ;   in Loop: Header=BB4_3436 Depth=3
	v_cmp_ne_u16_sdwa s23, v23, v2 src0_sel:BYTE_3 src1_sel:DWORD
	v_mov_b32_e32 v104, 0
	s_andn2_b32 s16, s16, exec_lo
	s_and_b32 s23, s23, exec_lo
	s_or_b32 s16, s16, s23
	s_or_b32 exec_lo, exec_lo, s22
	s_and_saveexec_b32 s22, s16
	s_cbranch_execnz .LBB4_3996
	s_branch .LBB4_3997
.LBB4_4712:                             ;   in Loop: Header=BB4_3436 Depth=3
	s_or_saveexec_b32 s22, s22
	v_mov_b32_e32 v23, 0x7f800001
	s_xor_b32 exec_lo, exec_lo, s22
	s_cbranch_execz .LBB4_4001
.LBB4_4713:                             ;   in Loop: Header=BB4_3436 Depth=3
	v_cmp_ne_u16_sdwa s23, v19, v2 src0_sel:BYTE_3 src1_sel:DWORD
	v_mov_b32_e32 v23, 0
	s_andn2_b32 s16, s16, exec_lo
	s_and_b32 s23, s23, exec_lo
	s_or_b32 s16, s16, s23
	s_or_b32 exec_lo, exec_lo, s22
	s_and_saveexec_b32 s22, s16
	s_cbranch_execnz .LBB4_4002
	s_branch .LBB4_4003
.LBB4_4714:                             ;   in Loop: Header=BB4_3436 Depth=3
	s_or_saveexec_b32 s22, s22
	v_mov_b32_e32 v23, 0x7f800001
	s_xor_b32 exec_lo, exec_lo, s22
	s_cbranch_execz .LBB4_4017
.LBB4_4715:                             ;   in Loop: Header=BB4_3436 Depth=3
	v_cmp_ne_u16_sdwa s23, v12, v2 src0_sel:BYTE_0 src1_sel:DWORD
	v_mov_b32_e32 v23, 0
	s_andn2_b32 s16, s16, exec_lo
	s_and_b32 s23, s23, exec_lo
	s_or_b32 s16, s16, s23
	s_or_b32 exec_lo, exec_lo, s22
	s_and_saveexec_b32 s22, s16
	s_cbranch_execnz .LBB4_4018
	s_branch .LBB4_4019
.LBB4_4716:                             ;   in Loop: Header=BB4_3436 Depth=3
	s_or_saveexec_b32 s22, s22
	v_mov_b32_e32 v104, 0x7f800001
	s_xor_b32 exec_lo, exec_lo, s22
	s_cbranch_execz .LBB4_4023
.LBB4_4717:                             ;   in Loop: Header=BB4_3436 Depth=3
	v_cmp_ne_u16_sdwa s23, v8, v2 src0_sel:BYTE_0 src1_sel:DWORD
	v_mov_b32_e32 v104, 0
	s_andn2_b32 s16, s16, exec_lo
	s_and_b32 s23, s23, exec_lo
	s_or_b32 s16, s16, s23
	s_or_b32 exec_lo, exec_lo, s22
	s_and_saveexec_b32 s22, s16
	s_cbranch_execnz .LBB4_4024
	s_branch .LBB4_4025
.LBB4_4718:                             ;   in Loop: Header=BB4_3436 Depth=3
	s_or_saveexec_b32 s22, s22
	v_mov_b32_e32 v23, 0x7f800001
	s_xor_b32 exec_lo, exec_lo, s22
	s_cbranch_execz .LBB4_4031
.LBB4_4719:                             ;   in Loop: Header=BB4_3436 Depth=3
	v_cmp_ne_u16_sdwa s23, v12, v2 src0_sel:BYTE_0 src1_sel:DWORD
	v_mov_b32_e32 v23, 0
	s_andn2_b32 s16, s16, exec_lo
	s_and_b32 s23, s23, exec_lo
	s_or_b32 s16, s16, s23
	s_or_b32 exec_lo, exec_lo, s22
	s_and_saveexec_b32 s22, s16
	s_cbranch_execnz .LBB4_4032
	s_branch .LBB4_4033
.LBB4_4720:                             ;   in Loop: Header=BB4_3436 Depth=3
	s_or_saveexec_b32 s22, s22
	v_mov_b32_e32 v104, 0x7f800001
	s_xor_b32 exec_lo, exec_lo, s22
	s_cbranch_execz .LBB4_4037
.LBB4_4721:                             ;   in Loop: Header=BB4_3436 Depth=3
	v_cmp_ne_u16_sdwa s23, v8, v2 src0_sel:BYTE_0 src1_sel:DWORD
	v_mov_b32_e32 v104, 0
	s_andn2_b32 s16, s16, exec_lo
	s_and_b32 s23, s23, exec_lo
	s_or_b32 s16, s16, s23
	s_or_b32 exec_lo, exec_lo, s22
	s_and_saveexec_b32 s22, s16
	s_cbranch_execnz .LBB4_4038
	s_branch .LBB4_4039
.LBB4_4722:                             ;   in Loop: Header=BB4_3436 Depth=3
	s_or_saveexec_b32 s22, s22
	v_mov_b32_e32 v104, 0x7f800001
	s_xor_b32 exec_lo, exec_lo, s22
	s_cbranch_execz .LBB4_4053
.LBB4_4723:                             ;   in Loop: Header=BB4_3436 Depth=3
	v_cmp_ne_u16_sdwa s23, v12, v2 src0_sel:BYTE_1 src1_sel:DWORD
	v_mov_b32_e32 v104, 0
	s_andn2_b32 s16, s16, exec_lo
	s_and_b32 s23, s23, exec_lo
	s_or_b32 s16, s16, s23
	s_or_b32 exec_lo, exec_lo, s22
	s_and_saveexec_b32 s22, s16
	s_cbranch_execnz .LBB4_4054
	s_branch .LBB4_4055
.LBB4_4724:                             ;   in Loop: Header=BB4_3436 Depth=3
	s_or_saveexec_b32 s22, s22
	v_mov_b32_e32 v105, 0x7f800001
	s_xor_b32 exec_lo, exec_lo, s22
	s_cbranch_execz .LBB4_4059
.LBB4_4725:                             ;   in Loop: Header=BB4_3436 Depth=3
	v_cmp_ne_u16_sdwa s23, v8, v2 src0_sel:BYTE_1 src1_sel:DWORD
	v_mov_b32_e32 v105, 0
	s_andn2_b32 s16, s16, exec_lo
	s_and_b32 s23, s23, exec_lo
	s_or_b32 s16, s16, s23
	s_or_b32 exec_lo, exec_lo, s22
	s_and_saveexec_b32 s22, s16
	s_cbranch_execnz .LBB4_4060
	s_branch .LBB4_4061
.LBB4_4726:                             ;   in Loop: Header=BB4_3436 Depth=3
	s_or_saveexec_b32 s22, s22
	v_mov_b32_e32 v104, 0x7f800001
	s_xor_b32 exec_lo, exec_lo, s22
	s_cbranch_execz .LBB4_4067
.LBB4_4727:                             ;   in Loop: Header=BB4_3436 Depth=3
	v_cmp_ne_u16_sdwa s23, v12, v2 src0_sel:BYTE_1 src1_sel:DWORD
	v_mov_b32_e32 v104, 0
	s_andn2_b32 s16, s16, exec_lo
	s_and_b32 s23, s23, exec_lo
	s_or_b32 s16, s16, s23
	s_or_b32 exec_lo, exec_lo, s22
	s_and_saveexec_b32 s22, s16
	s_cbranch_execnz .LBB4_4068
	s_branch .LBB4_4069
.LBB4_4728:                             ;   in Loop: Header=BB4_3436 Depth=3
	s_or_saveexec_b32 s22, s22
	v_mov_b32_e32 v105, 0x7f800001
	s_xor_b32 exec_lo, exec_lo, s22
	s_cbranch_execz .LBB4_4073
.LBB4_4729:                             ;   in Loop: Header=BB4_3436 Depth=3
	v_cmp_ne_u16_sdwa s23, v8, v2 src0_sel:BYTE_1 src1_sel:DWORD
	v_mov_b32_e32 v105, 0
	s_andn2_b32 s16, s16, exec_lo
	s_and_b32 s23, s23, exec_lo
	s_or_b32 s16, s16, s23
	s_or_b32 exec_lo, exec_lo, s22
	s_and_saveexec_b32 s22, s16
	s_cbranch_execnz .LBB4_4074
	s_branch .LBB4_4075
.LBB4_4730:                             ;   in Loop: Header=BB4_3436 Depth=3
	s_or_saveexec_b32 s16, s16
	v_mov_b32_e32 v106, 0x7f800001
	s_xor_b32 exec_lo, exec_lo, s16
	s_cbranch_execz .LBB4_4089
.LBB4_4731:                             ;   in Loop: Header=BB4_3436 Depth=3
	v_cmp_ne_u16_e32 vcc_lo, 0, v105
	v_mov_b32_e32 v106, 0
	s_andn2_b32 s22, s22, exec_lo
	s_and_b32 s23, vcc_lo, exec_lo
	s_or_b32 s22, s22, s23
	s_or_b32 exec_lo, exec_lo, s16
	s_and_saveexec_b32 s16, s22
	s_cbranch_execnz .LBB4_4090
	s_branch .LBB4_4091
.LBB4_4732:                             ;   in Loop: Header=BB4_3436 Depth=3
	s_or_saveexec_b32 s22, s22
	v_mov_b32_e32 v107, 0x7f800001
	s_xor_b32 exec_lo, exec_lo, s22
	s_cbranch_execz .LBB4_4095
.LBB4_4733:                             ;   in Loop: Header=BB4_3436 Depth=3
	v_cmp_ne_u16_e32 vcc_lo, 0, v108
	v_mov_b32_e32 v107, 0
	s_andn2_b32 s16, s16, exec_lo
	s_and_b32 s23, vcc_lo, exec_lo
	s_or_b32 s16, s16, s23
	s_or_b32 exec_lo, exec_lo, s22
	s_and_saveexec_b32 s22, s16
	s_cbranch_execnz .LBB4_4096
	s_branch .LBB4_4097
.LBB4_4734:                             ;   in Loop: Header=BB4_3436 Depth=3
	s_or_saveexec_b32 s22, s22
	v_mov_b32_e32 v106, 0x7f800001
	s_xor_b32 exec_lo, exec_lo, s22
	s_cbranch_execz .LBB4_4103
.LBB4_4735:                             ;   in Loop: Header=BB4_3436 Depth=3
	v_cmp_ne_u16_e32 vcc_lo, 0, v105
	v_mov_b32_e32 v106, 0
	s_andn2_b32 s16, s16, exec_lo
	s_and_b32 s23, vcc_lo, exec_lo
	s_or_b32 s16, s16, s23
	s_or_b32 exec_lo, exec_lo, s22
	s_and_saveexec_b32 s22, s16
	s_cbranch_execnz .LBB4_4104
	s_branch .LBB4_4105
.LBB4_4736:                             ;   in Loop: Header=BB4_3436 Depth=3
	s_or_saveexec_b32 s22, s22
	v_mov_b32_e32 v105, 0x7f800001
	s_xor_b32 exec_lo, exec_lo, s22
	s_cbranch_execz .LBB4_4109
.LBB4_4737:                             ;   in Loop: Header=BB4_3436 Depth=3
	v_cmp_ne_u16_e32 vcc_lo, 0, v107
	v_mov_b32_e32 v105, 0
	s_andn2_b32 s16, s16, exec_lo
	s_and_b32 s23, vcc_lo, exec_lo
	s_or_b32 s16, s16, s23
	s_or_b32 exec_lo, exec_lo, s22
	s_and_saveexec_b32 s22, s16
	s_cbranch_execnz .LBB4_4110
	s_branch .LBB4_4111
.LBB4_4738:                             ;   in Loop: Header=BB4_3436 Depth=3
	s_or_saveexec_b32 s22, s22
	v_mov_b32_e32 v106, 0x7f800001
	s_xor_b32 exec_lo, exec_lo, s22
	s_cbranch_execz .LBB4_4125
.LBB4_4739:                             ;   in Loop: Header=BB4_3436 Depth=3
	v_cmp_ne_u16_sdwa s23, v12, v2 src0_sel:BYTE_3 src1_sel:DWORD
	v_mov_b32_e32 v106, 0
	s_andn2_b32 s16, s16, exec_lo
	s_and_b32 s23, s23, exec_lo
	s_or_b32 s16, s16, s23
	s_or_b32 exec_lo, exec_lo, s22
	s_and_saveexec_b32 s22, s16
	s_cbranch_execnz .LBB4_4126
	s_branch .LBB4_4127
.LBB4_4740:                             ;   in Loop: Header=BB4_3436 Depth=3
	s_or_saveexec_b32 s22, s22
	v_mov_b32_e32 v107, 0x7f800001
	s_xor_b32 exec_lo, exec_lo, s22
	s_cbranch_execz .LBB4_4131
.LBB4_4741:                             ;   in Loop: Header=BB4_3436 Depth=3
	v_cmp_ne_u16_sdwa s23, v8, v2 src0_sel:BYTE_3 src1_sel:DWORD
	v_mov_b32_e32 v107, 0
	s_andn2_b32 s16, s16, exec_lo
	s_and_b32 s23, s23, exec_lo
	s_or_b32 s16, s16, s23
	s_or_b32 exec_lo, exec_lo, s22
	s_and_saveexec_b32 s22, s16
	s_cbranch_execnz .LBB4_4132
	s_branch .LBB4_4133
.LBB4_4742:                             ;   in Loop: Header=BB4_3436 Depth=3
	s_or_saveexec_b32 s22, s22
	v_mov_b32_e32 v106, 0x7f800001
	s_xor_b32 exec_lo, exec_lo, s22
	s_cbranch_execz .LBB4_4139
.LBB4_4743:                             ;   in Loop: Header=BB4_3436 Depth=3
	v_cmp_ne_u16_sdwa s23, v12, v2 src0_sel:BYTE_3 src1_sel:DWORD
	v_mov_b32_e32 v106, 0
	s_andn2_b32 s16, s16, exec_lo
	s_and_b32 s23, s23, exec_lo
	s_or_b32 s16, s16, s23
	s_or_b32 exec_lo, exec_lo, s22
	s_and_saveexec_b32 s22, s16
	s_cbranch_execnz .LBB4_4140
	s_branch .LBB4_4141
.LBB4_4744:                             ;   in Loop: Header=BB4_3436 Depth=3
	s_or_saveexec_b32 s22, s22
	v_mov_b32_e32 v12, 0x7f800001
	s_xor_b32 exec_lo, exec_lo, s22
	s_cbranch_execz .LBB4_4145
.LBB4_4745:                             ;   in Loop: Header=BB4_3436 Depth=3
	v_cmp_ne_u16_sdwa s23, v8, v2 src0_sel:BYTE_3 src1_sel:DWORD
	v_mov_b32_e32 v12, 0
	s_andn2_b32 s16, s16, exec_lo
	s_and_b32 s23, s23, exec_lo
	s_or_b32 s16, s16, s23
	s_or_b32 exec_lo, exec_lo, s22
	s_and_saveexec_b32 s22, s16
	s_cbranch_execnz .LBB4_4146
	s_branch .LBB4_4147
.LBB4_4746:                             ;   in Loop: Header=BB4_3436 Depth=3
	s_or_saveexec_b32 s22, s22
	v_mov_b32_e32 v12, 0x7f800001
	s_xor_b32 exec_lo, exec_lo, s22
	s_cbranch_execz .LBB4_4161
.LBB4_4747:                             ;   in Loop: Header=BB4_3436 Depth=3
	v_cmp_ne_u16_sdwa s23, v13, v2 src0_sel:BYTE_0 src1_sel:DWORD
	v_mov_b32_e32 v12, 0
	s_andn2_b32 s16, s16, exec_lo
	s_and_b32 s23, s23, exec_lo
	s_or_b32 s16, s16, s23
	s_or_b32 exec_lo, exec_lo, s22
	s_and_saveexec_b32 s22, s16
	s_cbranch_execnz .LBB4_4162
	s_branch .LBB4_4163
.LBB4_4748:                             ;   in Loop: Header=BB4_3436 Depth=3
	s_or_saveexec_b32 s22, s22
	v_mov_b32_e32 v106, 0x7f800001
	s_xor_b32 exec_lo, exec_lo, s22
	s_cbranch_execz .LBB4_4167
.LBB4_4749:                             ;   in Loop: Header=BB4_3436 Depth=3
	v_cmp_ne_u16_sdwa s23, v9, v2 src0_sel:BYTE_0 src1_sel:DWORD
	v_mov_b32_e32 v106, 0
	s_andn2_b32 s16, s16, exec_lo
	s_and_b32 s23, s23, exec_lo
	s_or_b32 s16, s16, s23
	s_or_b32 exec_lo, exec_lo, s22
	s_and_saveexec_b32 s22, s16
	s_cbranch_execnz .LBB4_4168
	s_branch .LBB4_4169
.LBB4_4750:                             ;   in Loop: Header=BB4_3436 Depth=3
	s_or_saveexec_b32 s22, s22
	v_mov_b32_e32 v12, 0x7f800001
	s_xor_b32 exec_lo, exec_lo, s22
	s_cbranch_execz .LBB4_4175
.LBB4_4751:                             ;   in Loop: Header=BB4_3436 Depth=3
	v_cmp_ne_u16_sdwa s23, v13, v2 src0_sel:BYTE_0 src1_sel:DWORD
	v_mov_b32_e32 v12, 0
	s_andn2_b32 s16, s16, exec_lo
	s_and_b32 s23, s23, exec_lo
	s_or_b32 s16, s16, s23
	s_or_b32 exec_lo, exec_lo, s22
	s_and_saveexec_b32 s22, s16
	s_cbranch_execnz .LBB4_4176
	s_branch .LBB4_4177
.LBB4_4752:                             ;   in Loop: Header=BB4_3436 Depth=3
	s_or_saveexec_b32 s22, s22
	v_mov_b32_e32 v106, 0x7f800001
	s_xor_b32 exec_lo, exec_lo, s22
	s_cbranch_execz .LBB4_4181
.LBB4_4753:                             ;   in Loop: Header=BB4_3436 Depth=3
	v_cmp_ne_u16_sdwa s23, v9, v2 src0_sel:BYTE_0 src1_sel:DWORD
	v_mov_b32_e32 v106, 0
	s_andn2_b32 s16, s16, exec_lo
	s_and_b32 s23, s23, exec_lo
	s_or_b32 s16, s16, s23
	s_or_b32 exec_lo, exec_lo, s22
	s_and_saveexec_b32 s22, s16
	s_cbranch_execnz .LBB4_4182
	s_branch .LBB4_4183
.LBB4_4754:                             ;   in Loop: Header=BB4_3436 Depth=3
	s_or_saveexec_b32 s22, s22
	v_mov_b32_e32 v106, 0x7f800001
	s_xor_b32 exec_lo, exec_lo, s22
	s_cbranch_execz .LBB4_4197
.LBB4_4755:                             ;   in Loop: Header=BB4_3436 Depth=3
	v_cmp_ne_u16_sdwa s23, v13, v2 src0_sel:BYTE_1 src1_sel:DWORD
	v_mov_b32_e32 v106, 0
	s_andn2_b32 s16, s16, exec_lo
	s_and_b32 s23, s23, exec_lo
	s_or_b32 s16, s16, s23
	s_or_b32 exec_lo, exec_lo, s22
	s_and_saveexec_b32 s22, s16
	s_cbranch_execnz .LBB4_4198
	s_branch .LBB4_4199
.LBB4_4756:                             ;   in Loop: Header=BB4_3436 Depth=3
	s_or_saveexec_b32 s22, s22
	v_mov_b32_e32 v107, 0x7f800001
	s_xor_b32 exec_lo, exec_lo, s22
	s_cbranch_execz .LBB4_4203
.LBB4_4757:                             ;   in Loop: Header=BB4_3436 Depth=3
	v_cmp_ne_u16_sdwa s23, v9, v2 src0_sel:BYTE_1 src1_sel:DWORD
	v_mov_b32_e32 v107, 0
	s_andn2_b32 s16, s16, exec_lo
	s_and_b32 s23, s23, exec_lo
	s_or_b32 s16, s16, s23
	s_or_b32 exec_lo, exec_lo, s22
	s_and_saveexec_b32 s22, s16
	s_cbranch_execnz .LBB4_4204
	s_branch .LBB4_4205
.LBB4_4758:                             ;   in Loop: Header=BB4_3436 Depth=3
	s_or_saveexec_b32 s22, s22
	v_mov_b32_e32 v106, 0x7f800001
	s_xor_b32 exec_lo, exec_lo, s22
	s_cbranch_execz .LBB4_4211
.LBB4_4759:                             ;   in Loop: Header=BB4_3436 Depth=3
	v_cmp_ne_u16_sdwa s23, v13, v2 src0_sel:BYTE_1 src1_sel:DWORD
	v_mov_b32_e32 v106, 0
	s_andn2_b32 s16, s16, exec_lo
	s_and_b32 s23, s23, exec_lo
	s_or_b32 s16, s16, s23
	s_or_b32 exec_lo, exec_lo, s22
	s_and_saveexec_b32 s22, s16
	s_cbranch_execnz .LBB4_4212
	s_branch .LBB4_4213
.LBB4_4760:                             ;   in Loop: Header=BB4_3436 Depth=3
	s_or_saveexec_b32 s22, s22
	v_mov_b32_e32 v107, 0x7f800001
	s_xor_b32 exec_lo, exec_lo, s22
	s_cbranch_execz .LBB4_4217
.LBB4_4761:                             ;   in Loop: Header=BB4_3436 Depth=3
	v_cmp_ne_u16_sdwa s23, v9, v2 src0_sel:BYTE_1 src1_sel:DWORD
	v_mov_b32_e32 v107, 0
	s_andn2_b32 s16, s16, exec_lo
	s_and_b32 s23, s23, exec_lo
	s_or_b32 s16, s16, s23
	s_or_b32 exec_lo, exec_lo, s22
	s_and_saveexec_b32 s22, s16
	s_cbranch_execnz .LBB4_4218
	s_branch .LBB4_4219
.LBB4_4762:                             ;   in Loop: Header=BB4_3436 Depth=3
	s_or_saveexec_b32 s16, s16
	v_mov_b32_e32 v108, 0x7f800001
	s_xor_b32 exec_lo, exec_lo, s16
	s_cbranch_execz .LBB4_4233
.LBB4_4763:                             ;   in Loop: Header=BB4_3436 Depth=3
	v_cmp_ne_u16_e32 vcc_lo, 0, v107
	v_mov_b32_e32 v108, 0
	s_andn2_b32 s22, s22, exec_lo
	s_and_b32 s23, vcc_lo, exec_lo
	s_or_b32 s22, s22, s23
	s_or_b32 exec_lo, exec_lo, s16
	s_and_saveexec_b32 s16, s22
	s_cbranch_execnz .LBB4_4234
	s_branch .LBB4_4235
.LBB4_4764:                             ;   in Loop: Header=BB4_3436 Depth=3
	s_or_saveexec_b32 s22, s22
	v_mov_b32_e32 v109, 0x7f800001
	s_xor_b32 exec_lo, exec_lo, s22
	s_cbranch_execz .LBB4_4239
.LBB4_4765:                             ;   in Loop: Header=BB4_3436 Depth=3
	v_cmp_ne_u16_e32 vcc_lo, 0, v110
	v_mov_b32_e32 v109, 0
	s_andn2_b32 s16, s16, exec_lo
	s_and_b32 s23, vcc_lo, exec_lo
	s_or_b32 s16, s16, s23
	s_or_b32 exec_lo, exec_lo, s22
	s_and_saveexec_b32 s22, s16
	s_cbranch_execnz .LBB4_4240
	s_branch .LBB4_4241
.LBB4_4766:                             ;   in Loop: Header=BB4_3436 Depth=3
	s_or_saveexec_b32 s22, s22
	v_mov_b32_e32 v108, 0x7f800001
	s_xor_b32 exec_lo, exec_lo, s22
	s_cbranch_execz .LBB4_4247
.LBB4_4767:                             ;   in Loop: Header=BB4_3436 Depth=3
	v_cmp_ne_u16_e32 vcc_lo, 0, v107
	v_mov_b32_e32 v108, 0
	s_andn2_b32 s16, s16, exec_lo
	s_and_b32 s23, vcc_lo, exec_lo
	s_or_b32 s16, s16, s23
	s_or_b32 exec_lo, exec_lo, s22
	s_and_saveexec_b32 s22, s16
	s_cbranch_execnz .LBB4_4248
	s_branch .LBB4_4249
.LBB4_4768:                             ;   in Loop: Header=BB4_3436 Depth=3
	s_or_saveexec_b32 s22, s22
	v_mov_b32_e32 v107, 0x7f800001
	s_xor_b32 exec_lo, exec_lo, s22
	s_cbranch_execz .LBB4_4253
.LBB4_4769:                             ;   in Loop: Header=BB4_3436 Depth=3
	v_cmp_ne_u16_e32 vcc_lo, 0, v109
	v_mov_b32_e32 v107, 0
	s_andn2_b32 s16, s16, exec_lo
	s_and_b32 s23, vcc_lo, exec_lo
	s_or_b32 s16, s16, s23
	s_or_b32 exec_lo, exec_lo, s22
	s_and_saveexec_b32 s22, s16
	s_cbranch_execnz .LBB4_4254
	s_branch .LBB4_4255
.LBB4_4770:                             ;   in Loop: Header=BB4_3436 Depth=3
	s_or_saveexec_b32 s22, s22
	v_mov_b32_e32 v108, 0x7f800001
	s_xor_b32 exec_lo, exec_lo, s22
	s_cbranch_execz .LBB4_4269
.LBB4_4771:                             ;   in Loop: Header=BB4_3436 Depth=3
	v_cmp_ne_u16_sdwa s23, v13, v2 src0_sel:BYTE_3 src1_sel:DWORD
	v_mov_b32_e32 v108, 0
	s_andn2_b32 s16, s16, exec_lo
	s_and_b32 s23, s23, exec_lo
	s_or_b32 s16, s16, s23
	s_or_b32 exec_lo, exec_lo, s22
	s_and_saveexec_b32 s22, s16
	s_cbranch_execnz .LBB4_4270
	s_branch .LBB4_4271
.LBB4_4772:                             ;   in Loop: Header=BB4_3436 Depth=3
	s_or_saveexec_b32 s22, s22
	v_mov_b32_e32 v109, 0x7f800001
	s_xor_b32 exec_lo, exec_lo, s22
	s_cbranch_execz .LBB4_4275
.LBB4_4773:                             ;   in Loop: Header=BB4_3436 Depth=3
	v_cmp_ne_u16_sdwa s23, v9, v2 src0_sel:BYTE_3 src1_sel:DWORD
	v_mov_b32_e32 v109, 0
	s_andn2_b32 s16, s16, exec_lo
	s_and_b32 s23, s23, exec_lo
	s_or_b32 s16, s16, s23
	s_or_b32 exec_lo, exec_lo, s22
	s_and_saveexec_b32 s22, s16
	s_cbranch_execnz .LBB4_4276
	s_branch .LBB4_4277
.LBB4_4774:                             ;   in Loop: Header=BB4_3436 Depth=3
	s_or_saveexec_b32 s22, s22
	v_mov_b32_e32 v108, 0x7f800001
	s_xor_b32 exec_lo, exec_lo, s22
	s_cbranch_execz .LBB4_4283
.LBB4_4775:                             ;   in Loop: Header=BB4_3436 Depth=3
	v_cmp_ne_u16_sdwa s23, v13, v2 src0_sel:BYTE_3 src1_sel:DWORD
	v_mov_b32_e32 v108, 0
	s_andn2_b32 s16, s16, exec_lo
	s_and_b32 s23, s23, exec_lo
	s_or_b32 s16, s16, s23
	s_or_b32 exec_lo, exec_lo, s22
	s_and_saveexec_b32 s22, s16
	s_cbranch_execnz .LBB4_4284
	s_branch .LBB4_4285
.LBB4_4776:                             ;   in Loop: Header=BB4_3436 Depth=3
	s_or_saveexec_b32 s22, s22
	v_mov_b32_e32 v13, 0x7f800001
	s_xor_b32 exec_lo, exec_lo, s22
	s_cbranch_execz .LBB4_4289
.LBB4_4777:                             ;   in Loop: Header=BB4_3436 Depth=3
	v_cmp_ne_u16_sdwa s23, v9, v2 src0_sel:BYTE_3 src1_sel:DWORD
	v_mov_b32_e32 v13, 0
	s_andn2_b32 s16, s16, exec_lo
	s_and_b32 s23, s23, exec_lo
	s_or_b32 s16, s16, s23
	s_or_b32 exec_lo, exec_lo, s22
	s_and_saveexec_b32 s22, s16
	s_cbranch_execnz .LBB4_4290
	s_branch .LBB4_4291
.LBB4_4778:                             ;   in Loop: Header=BB4_3436 Depth=3
	s_or_saveexec_b32 s22, s22
	v_mov_b32_e32 v13, 0x7f800001
	s_xor_b32 exec_lo, exec_lo, s22
	s_cbranch_execz .LBB4_4305
.LBB4_4779:                             ;   in Loop: Header=BB4_3436 Depth=3
	v_cmp_ne_u16_sdwa s23, v14, v2 src0_sel:BYTE_0 src1_sel:DWORD
	v_mov_b32_e32 v13, 0
	s_andn2_b32 s16, s16, exec_lo
	s_and_b32 s23, s23, exec_lo
	s_or_b32 s16, s16, s23
	s_or_b32 exec_lo, exec_lo, s22
	s_and_saveexec_b32 s22, s16
	s_cbranch_execnz .LBB4_4306
	s_branch .LBB4_4307
.LBB4_4780:                             ;   in Loop: Header=BB4_3436 Depth=3
	s_or_saveexec_b32 s22, s22
	v_mov_b32_e32 v108, 0x7f800001
	s_xor_b32 exec_lo, exec_lo, s22
	s_cbranch_execz .LBB4_4311
.LBB4_4781:                             ;   in Loop: Header=BB4_3436 Depth=3
	v_cmp_ne_u16_sdwa s23, v10, v2 src0_sel:BYTE_0 src1_sel:DWORD
	v_mov_b32_e32 v108, 0
	s_andn2_b32 s16, s16, exec_lo
	s_and_b32 s23, s23, exec_lo
	s_or_b32 s16, s16, s23
	s_or_b32 exec_lo, exec_lo, s22
	s_and_saveexec_b32 s22, s16
	s_cbranch_execnz .LBB4_4312
	s_branch .LBB4_4313
.LBB4_4782:                             ;   in Loop: Header=BB4_3436 Depth=3
	s_or_saveexec_b32 s22, s22
	v_mov_b32_e32 v13, 0x7f800001
	s_xor_b32 exec_lo, exec_lo, s22
	s_cbranch_execz .LBB4_4319
.LBB4_4783:                             ;   in Loop: Header=BB4_3436 Depth=3
	v_cmp_ne_u16_sdwa s23, v14, v2 src0_sel:BYTE_0 src1_sel:DWORD
	v_mov_b32_e32 v13, 0
	s_andn2_b32 s16, s16, exec_lo
	s_and_b32 s23, s23, exec_lo
	s_or_b32 s16, s16, s23
	s_or_b32 exec_lo, exec_lo, s22
	s_and_saveexec_b32 s22, s16
	s_cbranch_execnz .LBB4_4320
	s_branch .LBB4_4321
.LBB4_4784:                             ;   in Loop: Header=BB4_3436 Depth=3
	s_or_saveexec_b32 s22, s22
	v_mov_b32_e32 v108, 0x7f800001
	s_xor_b32 exec_lo, exec_lo, s22
	s_cbranch_execz .LBB4_4325
.LBB4_4785:                             ;   in Loop: Header=BB4_3436 Depth=3
	v_cmp_ne_u16_sdwa s23, v10, v2 src0_sel:BYTE_0 src1_sel:DWORD
	v_mov_b32_e32 v108, 0
	s_andn2_b32 s16, s16, exec_lo
	s_and_b32 s23, s23, exec_lo
	s_or_b32 s16, s16, s23
	s_or_b32 exec_lo, exec_lo, s22
	s_and_saveexec_b32 s22, s16
	s_cbranch_execnz .LBB4_4326
	s_branch .LBB4_4327
.LBB4_4786:                             ;   in Loop: Header=BB4_3436 Depth=3
	s_or_saveexec_b32 s22, s22
	v_mov_b32_e32 v108, 0x7f800001
	s_xor_b32 exec_lo, exec_lo, s22
	s_cbranch_execz .LBB4_4341
.LBB4_4787:                             ;   in Loop: Header=BB4_3436 Depth=3
	v_cmp_ne_u16_sdwa s23, v14, v2 src0_sel:BYTE_1 src1_sel:DWORD
	v_mov_b32_e32 v108, 0
	s_andn2_b32 s16, s16, exec_lo
	s_and_b32 s23, s23, exec_lo
	s_or_b32 s16, s16, s23
	s_or_b32 exec_lo, exec_lo, s22
	s_and_saveexec_b32 s22, s16
	s_cbranch_execnz .LBB4_4342
	s_branch .LBB4_4343
.LBB4_4788:                             ;   in Loop: Header=BB4_3436 Depth=3
	s_or_saveexec_b32 s22, s22
	v_mov_b32_e32 v109, 0x7f800001
	s_xor_b32 exec_lo, exec_lo, s22
	s_cbranch_execz .LBB4_4347
.LBB4_4789:                             ;   in Loop: Header=BB4_3436 Depth=3
	v_cmp_ne_u16_sdwa s23, v10, v2 src0_sel:BYTE_1 src1_sel:DWORD
	v_mov_b32_e32 v109, 0
	s_andn2_b32 s16, s16, exec_lo
	s_and_b32 s23, s23, exec_lo
	s_or_b32 s16, s16, s23
	s_or_b32 exec_lo, exec_lo, s22
	s_and_saveexec_b32 s22, s16
	s_cbranch_execnz .LBB4_4348
	s_branch .LBB4_4349
.LBB4_4790:                             ;   in Loop: Header=BB4_3436 Depth=3
	s_or_saveexec_b32 s22, s22
	v_mov_b32_e32 v108, 0x7f800001
	s_xor_b32 exec_lo, exec_lo, s22
	s_cbranch_execz .LBB4_4355
.LBB4_4791:                             ;   in Loop: Header=BB4_3436 Depth=3
	v_cmp_ne_u16_sdwa s23, v14, v2 src0_sel:BYTE_1 src1_sel:DWORD
	v_mov_b32_e32 v108, 0
	s_andn2_b32 s16, s16, exec_lo
	s_and_b32 s23, s23, exec_lo
	s_or_b32 s16, s16, s23
	s_or_b32 exec_lo, exec_lo, s22
	s_and_saveexec_b32 s22, s16
	s_cbranch_execnz .LBB4_4356
	s_branch .LBB4_4357
.LBB4_4792:                             ;   in Loop: Header=BB4_3436 Depth=3
	s_or_saveexec_b32 s22, s22
	v_mov_b32_e32 v109, 0x7f800001
	s_xor_b32 exec_lo, exec_lo, s22
	s_cbranch_execz .LBB4_4361
.LBB4_4793:                             ;   in Loop: Header=BB4_3436 Depth=3
	v_cmp_ne_u16_sdwa s23, v10, v2 src0_sel:BYTE_1 src1_sel:DWORD
	v_mov_b32_e32 v109, 0
	s_andn2_b32 s16, s16, exec_lo
	s_and_b32 s23, s23, exec_lo
	s_or_b32 s16, s16, s23
	s_or_b32 exec_lo, exec_lo, s22
	s_and_saveexec_b32 s22, s16
	s_cbranch_execnz .LBB4_4362
	s_branch .LBB4_4363
.LBB4_4794:                             ;   in Loop: Header=BB4_3436 Depth=3
	s_or_saveexec_b32 s16, s16
	v_mov_b32_e32 v110, 0x7f800001
	s_xor_b32 exec_lo, exec_lo, s16
	s_cbranch_execz .LBB4_4377
.LBB4_4795:                             ;   in Loop: Header=BB4_3436 Depth=3
	v_cmp_ne_u16_e32 vcc_lo, 0, v109
	v_mov_b32_e32 v110, 0
	s_andn2_b32 s22, s22, exec_lo
	s_and_b32 s23, vcc_lo, exec_lo
	s_or_b32 s22, s22, s23
	s_or_b32 exec_lo, exec_lo, s16
	s_and_saveexec_b32 s16, s22
	s_cbranch_execnz .LBB4_4378
	s_branch .LBB4_4379
.LBB4_4796:                             ;   in Loop: Header=BB4_3436 Depth=3
	s_or_saveexec_b32 s22, s22
	v_mov_b32_e32 v111, 0x7f800001
	s_xor_b32 exec_lo, exec_lo, s22
	s_cbranch_execz .LBB4_4383
.LBB4_4797:                             ;   in Loop: Header=BB4_3436 Depth=3
	v_cmp_ne_u16_e32 vcc_lo, 0, v120
	v_mov_b32_e32 v111, 0
	s_andn2_b32 s16, s16, exec_lo
	s_and_b32 s23, vcc_lo, exec_lo
	s_or_b32 s16, s16, s23
	s_or_b32 exec_lo, exec_lo, s22
	s_and_saveexec_b32 s22, s16
	s_cbranch_execnz .LBB4_4384
	s_branch .LBB4_4385
.LBB4_4798:                             ;   in Loop: Header=BB4_3436 Depth=3
	s_or_saveexec_b32 s22, s22
	v_mov_b32_e32 v110, 0x7f800001
	s_xor_b32 exec_lo, exec_lo, s22
	s_cbranch_execz .LBB4_4391
.LBB4_4799:                             ;   in Loop: Header=BB4_3436 Depth=3
	v_cmp_ne_u16_e32 vcc_lo, 0, v109
	v_mov_b32_e32 v110, 0
	s_andn2_b32 s16, s16, exec_lo
	s_and_b32 s23, vcc_lo, exec_lo
	s_or_b32 s16, s16, s23
	s_or_b32 exec_lo, exec_lo, s22
	s_and_saveexec_b32 s22, s16
	s_cbranch_execnz .LBB4_4392
	s_branch .LBB4_4393
.LBB4_4800:                             ;   in Loop: Header=BB4_3436 Depth=3
	s_or_saveexec_b32 s22, s22
	v_mov_b32_e32 v109, 0x7f800001
	s_xor_b32 exec_lo, exec_lo, s22
	s_cbranch_execz .LBB4_4397
.LBB4_4801:                             ;   in Loop: Header=BB4_3436 Depth=3
	v_cmp_ne_u16_e32 vcc_lo, 0, v111
	v_mov_b32_e32 v109, 0
	s_andn2_b32 s16, s16, exec_lo
	s_and_b32 s23, vcc_lo, exec_lo
	s_or_b32 s16, s16, s23
	s_or_b32 exec_lo, exec_lo, s22
	s_and_saveexec_b32 s22, s16
	s_cbranch_execnz .LBB4_4398
	s_branch .LBB4_4399
.LBB4_4802:                             ;   in Loop: Header=BB4_3436 Depth=3
	s_or_saveexec_b32 s22, s22
	v_mov_b32_e32 v110, 0x7f800001
	s_xor_b32 exec_lo, exec_lo, s22
	s_cbranch_execz .LBB4_4413
.LBB4_4803:                             ;   in Loop: Header=BB4_3436 Depth=3
	v_cmp_ne_u16_sdwa s23, v14, v2 src0_sel:BYTE_3 src1_sel:DWORD
	v_mov_b32_e32 v110, 0
	s_andn2_b32 s16, s16, exec_lo
	s_and_b32 s23, s23, exec_lo
	s_or_b32 s16, s16, s23
	s_or_b32 exec_lo, exec_lo, s22
	s_and_saveexec_b32 s22, s16
	s_cbranch_execnz .LBB4_4414
	s_branch .LBB4_4415
.LBB4_4804:                             ;   in Loop: Header=BB4_3436 Depth=3
	s_or_saveexec_b32 s22, s22
	v_mov_b32_e32 v111, 0x7f800001
	s_xor_b32 exec_lo, exec_lo, s22
	s_cbranch_execz .LBB4_4419
.LBB4_4805:                             ;   in Loop: Header=BB4_3436 Depth=3
	v_cmp_ne_u16_sdwa s23, v10, v2 src0_sel:BYTE_3 src1_sel:DWORD
	v_mov_b32_e32 v111, 0
	s_andn2_b32 s16, s16, exec_lo
	s_and_b32 s23, s23, exec_lo
	s_or_b32 s16, s16, s23
	s_or_b32 exec_lo, exec_lo, s22
	s_and_saveexec_b32 s22, s16
	s_cbranch_execnz .LBB4_4420
	s_branch .LBB4_4421
.LBB4_4806:                             ;   in Loop: Header=BB4_3436 Depth=3
	s_or_saveexec_b32 s22, s22
	v_mov_b32_e32 v110, 0x7f800001
	s_xor_b32 exec_lo, exec_lo, s22
	s_cbranch_execz .LBB4_4427
.LBB4_4807:                             ;   in Loop: Header=BB4_3436 Depth=3
	v_cmp_ne_u16_sdwa s23, v14, v2 src0_sel:BYTE_3 src1_sel:DWORD
	v_mov_b32_e32 v110, 0
	s_andn2_b32 s16, s16, exec_lo
	s_and_b32 s23, s23, exec_lo
	s_or_b32 s16, s16, s23
	s_or_b32 exec_lo, exec_lo, s22
	s_and_saveexec_b32 s22, s16
	s_cbranch_execnz .LBB4_4428
	s_branch .LBB4_4429
.LBB4_4808:                             ;   in Loop: Header=BB4_3436 Depth=3
	s_or_saveexec_b32 s22, s22
	v_mov_b32_e32 v14, 0x7f800001
	s_xor_b32 exec_lo, exec_lo, s22
	s_cbranch_execz .LBB4_4433
.LBB4_4809:                             ;   in Loop: Header=BB4_3436 Depth=3
	v_cmp_ne_u16_sdwa s23, v10, v2 src0_sel:BYTE_3 src1_sel:DWORD
	v_mov_b32_e32 v14, 0
	s_andn2_b32 s16, s16, exec_lo
	s_and_b32 s23, s23, exec_lo
	s_or_b32 s16, s16, s23
	s_or_b32 exec_lo, exec_lo, s22
	s_and_saveexec_b32 s22, s16
	s_cbranch_execnz .LBB4_4434
	s_branch .LBB4_4435
.LBB4_4810:                             ;   in Loop: Header=BB4_3436 Depth=3
	s_or_saveexec_b32 s22, s22
	v_mov_b32_e32 v14, 0x7f800001
	s_xor_b32 exec_lo, exec_lo, s22
	s_cbranch_execz .LBB4_4449
.LBB4_4811:                             ;   in Loop: Header=BB4_3436 Depth=3
	v_cmp_ne_u16_sdwa s23, v15, v2 src0_sel:BYTE_0 src1_sel:DWORD
	v_mov_b32_e32 v14, 0
	s_andn2_b32 s16, s16, exec_lo
	s_and_b32 s23, s23, exec_lo
	s_or_b32 s16, s16, s23
	s_or_b32 exec_lo, exec_lo, s22
	s_and_saveexec_b32 s22, s16
	s_cbranch_execnz .LBB4_4450
	s_branch .LBB4_4451
.LBB4_4812:                             ;   in Loop: Header=BB4_3436 Depth=3
	s_or_saveexec_b32 s22, s22
	v_mov_b32_e32 v110, 0x7f800001
	s_xor_b32 exec_lo, exec_lo, s22
	s_cbranch_execz .LBB4_4455
.LBB4_4813:                             ;   in Loop: Header=BB4_3436 Depth=3
	v_cmp_ne_u16_sdwa s23, v11, v2 src0_sel:BYTE_0 src1_sel:DWORD
	v_mov_b32_e32 v110, 0
	s_andn2_b32 s16, s16, exec_lo
	s_and_b32 s23, s23, exec_lo
	s_or_b32 s16, s16, s23
	s_or_b32 exec_lo, exec_lo, s22
	s_and_saveexec_b32 s22, s16
	s_cbranch_execnz .LBB4_4456
	s_branch .LBB4_4457
.LBB4_4814:                             ;   in Loop: Header=BB4_3436 Depth=3
	s_or_saveexec_b32 s22, s22
	v_mov_b32_e32 v14, 0x7f800001
	s_xor_b32 exec_lo, exec_lo, s22
	s_cbranch_execz .LBB4_4463
.LBB4_4815:                             ;   in Loop: Header=BB4_3436 Depth=3
	v_cmp_ne_u16_sdwa s23, v15, v2 src0_sel:BYTE_0 src1_sel:DWORD
	v_mov_b32_e32 v14, 0
	s_andn2_b32 s16, s16, exec_lo
	s_and_b32 s23, s23, exec_lo
	s_or_b32 s16, s16, s23
	s_or_b32 exec_lo, exec_lo, s22
	s_and_saveexec_b32 s22, s16
	s_cbranch_execnz .LBB4_4464
	s_branch .LBB4_4465
.LBB4_4816:                             ;   in Loop: Header=BB4_3436 Depth=3
	s_or_saveexec_b32 s22, s22
	v_mov_b32_e32 v110, 0x7f800001
	s_xor_b32 exec_lo, exec_lo, s22
	s_cbranch_execz .LBB4_4469
.LBB4_4817:                             ;   in Loop: Header=BB4_3436 Depth=3
	v_cmp_ne_u16_sdwa s23, v11, v2 src0_sel:BYTE_0 src1_sel:DWORD
	v_mov_b32_e32 v110, 0
	s_andn2_b32 s16, s16, exec_lo
	s_and_b32 s23, s23, exec_lo
	s_or_b32 s16, s16, s23
	s_or_b32 exec_lo, exec_lo, s22
	s_and_saveexec_b32 s22, s16
	s_cbranch_execnz .LBB4_4470
	s_branch .LBB4_4471
.LBB4_4818:                             ;   in Loop: Header=BB4_3436 Depth=3
	s_or_saveexec_b32 s22, s22
	v_mov_b32_e32 v110, 0x7f800001
	s_xor_b32 exec_lo, exec_lo, s22
	s_cbranch_execz .LBB4_4485
.LBB4_4819:                             ;   in Loop: Header=BB4_3436 Depth=3
	v_cmp_ne_u16_sdwa s23, v15, v2 src0_sel:BYTE_1 src1_sel:DWORD
	v_mov_b32_e32 v110, 0
	s_andn2_b32 s16, s16, exec_lo
	s_and_b32 s23, s23, exec_lo
	s_or_b32 s16, s16, s23
	s_or_b32 exec_lo, exec_lo, s22
	s_and_saveexec_b32 s22, s16
	s_cbranch_execnz .LBB4_4486
	s_branch .LBB4_4487
.LBB4_4820:                             ;   in Loop: Header=BB4_3436 Depth=3
	s_or_saveexec_b32 s22, s22
	v_mov_b32_e32 v111, 0x7f800001
	s_xor_b32 exec_lo, exec_lo, s22
	s_cbranch_execz .LBB4_4491
.LBB4_4821:                             ;   in Loop: Header=BB4_3436 Depth=3
	v_cmp_ne_u16_sdwa s23, v11, v2 src0_sel:BYTE_1 src1_sel:DWORD
	v_mov_b32_e32 v111, 0
	s_andn2_b32 s16, s16, exec_lo
	s_and_b32 s23, s23, exec_lo
	s_or_b32 s16, s16, s23
	s_or_b32 exec_lo, exec_lo, s22
	s_and_saveexec_b32 s22, s16
	s_cbranch_execnz .LBB4_4492
	s_branch .LBB4_4493
.LBB4_4822:                             ;   in Loop: Header=BB4_3436 Depth=3
	s_or_saveexec_b32 s22, s22
	v_mov_b32_e32 v110, 0x7f800001
	s_xor_b32 exec_lo, exec_lo, s22
	s_cbranch_execz .LBB4_4499
.LBB4_4823:                             ;   in Loop: Header=BB4_3436 Depth=3
	v_cmp_ne_u16_sdwa s23, v15, v2 src0_sel:BYTE_1 src1_sel:DWORD
	v_mov_b32_e32 v110, 0
	s_andn2_b32 s16, s16, exec_lo
	s_and_b32 s23, s23, exec_lo
	s_or_b32 s16, s16, s23
	s_or_b32 exec_lo, exec_lo, s22
	s_and_saveexec_b32 s22, s16
	s_cbranch_execnz .LBB4_4500
	s_branch .LBB4_4501
.LBB4_4824:                             ;   in Loop: Header=BB4_3436 Depth=3
	s_or_saveexec_b32 s22, s22
	v_mov_b32_e32 v111, 0x7f800001
	s_xor_b32 exec_lo, exec_lo, s22
	s_cbranch_execz .LBB4_4505
.LBB4_4825:                             ;   in Loop: Header=BB4_3436 Depth=3
	v_cmp_ne_u16_sdwa s23, v11, v2 src0_sel:BYTE_1 src1_sel:DWORD
	v_mov_b32_e32 v111, 0
	s_andn2_b32 s16, s16, exec_lo
	s_and_b32 s23, s23, exec_lo
	s_or_b32 s16, s16, s23
	s_or_b32 exec_lo, exec_lo, s22
	s_and_saveexec_b32 s22, s16
	s_cbranch_execnz .LBB4_4506
	s_branch .LBB4_4507
.LBB4_4826:                             ;   in Loop: Header=BB4_3436 Depth=3
	s_or_saveexec_b32 s16, s16
	v_mov_b32_e32 v120, 0x7f800001
	s_xor_b32 exec_lo, exec_lo, s16
	s_cbranch_execz .LBB4_4521
.LBB4_4827:                             ;   in Loop: Header=BB4_3436 Depth=3
	v_cmp_ne_u16_e32 vcc_lo, 0, v111
	v_mov_b32_e32 v120, 0
	s_andn2_b32 s22, s22, exec_lo
	s_and_b32 s23, vcc_lo, exec_lo
	s_or_b32 s22, s22, s23
	s_or_b32 exec_lo, exec_lo, s16
	s_and_saveexec_b32 s16, s22
	s_cbranch_execnz .LBB4_4522
	s_branch .LBB4_4523
.LBB4_4828:                             ;   in Loop: Header=BB4_3436 Depth=3
	s_or_saveexec_b32 s16, s16
	v_mov_b32_e32 v121, 0x7f800001
	s_xor_b32 exec_lo, exec_lo, s16
	s_cbranch_execz .LBB4_4527
.LBB4_4829:                             ;   in Loop: Header=BB4_3436 Depth=3
	v_cmp_ne_u16_e32 vcc_lo, 0, v122
	v_mov_b32_e32 v121, 0
	s_andn2_b32 s22, s22, exec_lo
	s_and_b32 s23, vcc_lo, exec_lo
	s_or_b32 s22, s22, s23
	s_or_b32 exec_lo, exec_lo, s16
	s_and_saveexec_b32 s16, s22
	s_cbranch_execnz .LBB4_4528
	s_branch .LBB4_4529
.LBB4_4830:                             ;   in Loop: Header=BB4_3436 Depth=3
	s_or_saveexec_b32 s22, s22
	v_mov_b32_e32 v120, 0x7f800001
	s_xor_b32 exec_lo, exec_lo, s22
	s_cbranch_execz .LBB4_4535
.LBB4_4831:                             ;   in Loop: Header=BB4_3436 Depth=3
	v_cmp_ne_u16_e32 vcc_lo, 0, v111
	v_mov_b32_e32 v120, 0
	s_andn2_b32 s16, s16, exec_lo
	s_and_b32 s23, vcc_lo, exec_lo
	s_or_b32 s16, s16, s23
	s_or_b32 exec_lo, exec_lo, s22
	s_and_saveexec_b32 s22, s16
	s_cbranch_execnz .LBB4_4536
	s_branch .LBB4_4537
.LBB4_4832:                             ;   in Loop: Header=BB4_3436 Depth=3
	s_or_saveexec_b32 s22, s22
	v_mov_b32_e32 v111, 0x7f800001
	s_xor_b32 exec_lo, exec_lo, s22
	s_cbranch_execz .LBB4_4541
.LBB4_4833:                             ;   in Loop: Header=BB4_3436 Depth=3
	v_cmp_ne_u16_e32 vcc_lo, 0, v121
	v_mov_b32_e32 v111, 0
	s_andn2_b32 s16, s16, exec_lo
	s_and_b32 s23, vcc_lo, exec_lo
	s_or_b32 s16, s16, s23
	s_or_b32 exec_lo, exec_lo, s22
	s_and_saveexec_b32 s22, s16
	s_cbranch_execnz .LBB4_4542
	s_branch .LBB4_4543
.LBB4_4834:                             ;   in Loop: Header=BB4_3436 Depth=3
	s_or_saveexec_b32 s22, s22
	v_mov_b32_e32 v120, 0x7f800001
	s_xor_b32 exec_lo, exec_lo, s22
	s_cbranch_execz .LBB4_4557
.LBB4_4835:                             ;   in Loop: Header=BB4_3436 Depth=3
	v_cmp_ne_u16_sdwa s23, v15, v2 src0_sel:BYTE_3 src1_sel:DWORD
	v_mov_b32_e32 v120, 0
	s_andn2_b32 s16, s16, exec_lo
	s_and_b32 s23, s23, exec_lo
	s_or_b32 s16, s16, s23
	s_or_b32 exec_lo, exec_lo, s22
	s_and_saveexec_b32 s22, s16
	s_cbranch_execnz .LBB4_4558
	s_branch .LBB4_4559
.LBB4_4836:                             ;   in Loop: Header=BB4_3436 Depth=3
	s_or_saveexec_b32 s22, s22
	v_mov_b32_e32 v121, 0x7f800001
	s_xor_b32 exec_lo, exec_lo, s22
	s_cbranch_execz .LBB4_4563
.LBB4_4837:                             ;   in Loop: Header=BB4_3436 Depth=3
	v_cmp_ne_u16_sdwa s23, v11, v2 src0_sel:BYTE_3 src1_sel:DWORD
	v_mov_b32_e32 v121, 0
	s_andn2_b32 s16, s16, exec_lo
	s_and_b32 s23, s23, exec_lo
	s_or_b32 s16, s16, s23
	s_or_b32 exec_lo, exec_lo, s22
	s_and_saveexec_b32 s22, s16
	s_cbranch_execnz .LBB4_4564
	s_branch .LBB4_4565
.LBB4_4838:                             ;   in Loop: Header=BB4_3436 Depth=3
	s_or_saveexec_b32 s22, s22
	v_mov_b32_e32 v120, 0x7f800001
	s_xor_b32 exec_lo, exec_lo, s22
	s_cbranch_execz .LBB4_4571
.LBB4_4839:                             ;   in Loop: Header=BB4_3436 Depth=3
	v_cmp_ne_u16_sdwa s23, v15, v2 src0_sel:BYTE_3 src1_sel:DWORD
	v_mov_b32_e32 v120, 0
	s_andn2_b32 s16, s16, exec_lo
	s_and_b32 s23, s23, exec_lo
	s_or_b32 s16, s16, s23
	s_or_b32 exec_lo, exec_lo, s22
	s_and_saveexec_b32 s22, s16
	s_cbranch_execnz .LBB4_4572
	s_branch .LBB4_4573
.LBB4_4840:                             ;   in Loop: Header=BB4_3436 Depth=3
	s_or_saveexec_b32 s22, s22
	v_mov_b32_e32 v15, 0x7f800001
	s_xor_b32 exec_lo, exec_lo, s22
	s_cbranch_execz .LBB4_4577
.LBB4_4841:                             ;   in Loop: Header=BB4_3436 Depth=3
	v_cmp_ne_u16_sdwa s23, v11, v2 src0_sel:BYTE_3 src1_sel:DWORD
	v_mov_b32_e32 v15, 0
	s_andn2_b32 s16, s16, exec_lo
	s_and_b32 s23, s23, exec_lo
	s_or_b32 s16, s16, s23
	s_or_b32 exec_lo, exec_lo, s22
	s_and_saveexec_b32 s22, s16
	s_cbranch_execnz .LBB4_4578
	s_branch .LBB4_4579
.LBB4_4842:                             ;   in Loop: Header=BB4_3351 Depth=2
	s_or_b32 exec_lo, exec_lo, s18
.LBB4_4843:                             ;   in Loop: Header=BB4_3351 Depth=2
	s_or_b32 exec_lo, exec_lo, s17
	v_lshlrev_b32_e32 v20, 10, v78
	v_mov_b32_e32 v16, 0
	s_mov_b32 s16, 0
	s_mov_b32 s19, exec_lo
                                        ; implicit-def: $vgpr17
                                        ; implicit-def: $vgpr18
	v_cmpx_ne_u32_e64 v76, v20
	s_cbranch_execz .LBB4_5555
; %bb.4844:                             ;   in Loop: Header=BB4_3351 Depth=2
	v_lshlrev_b32_e32 v8, 5, v77
	v_sub_nc_u32_e32 v10, v76, v20
	s_mov_b32 s73, exec_lo
	v_sub_nc_u32_e32 v8, v112, v8
	v_ashrrev_i32_e32 v11, 31, v10
	v_ashrrev_i32_e32 v9, 31, v8
	v_lshrrev_b32_e32 v11, 23, v11
	v_lshrrev_b32_e32 v9, 27, v9
	v_add_nc_u32_e32 v11, v10, v11
	v_add_nc_u32_e32 v9, v8, v9
	v_and_b32_e32 v22, 0xfffffe00, v11
	v_ashrrev_i32_e32 v11, 9, v11
	v_and_b32_e32 v12, 0xffffffe0, v9
	v_sub_nc_u32_e32 v23, v10, v22
	v_ashrrev_i32_e32 v9, 5, v9
	v_sub_nc_u32_e32 v21, v8, v12
	v_cmp_lt_i32_e64 s16, 15, v23
	v_lshlrev_b32_e32 v8, 4, v21
	v_add_co_ci_u32_e64 v11, null, 0, v11, s16
	v_lshl_add_u32 v8, v9, 9, v8
	v_sub_nc_u32_e32 v84, v11, v9
	v_sub_nc_u32_e32 v85, v10, v8
	v_cmpx_lt_i32_e32 15, v85
	s_cbranch_execz .LBB4_5554
; %bb.4845:                             ;   in Loop: Header=BB4_3351 Depth=2
	s_trap 2
	ds_read_b64 v[9:10], v0
	v_add_nc_u32_e32 v8, v8, v20
	s_bitcmp1_b32 s72, 0
	s_mov_b32 s74, 0
	s_cselect_b32 s75, -1, 0
	v_ashrrev_i32_e32 v11, 31, v8
	v_add_co_u32 v86, vcc_lo, v8, v80
	v_add_co_ci_u32_e64 v87, null, v11, v81, vcc_lo
	v_add_co_u32 v96, vcc_lo, v8, v82
	v_add_co_ci_u32_e64 v97, null, v11, v83, vcc_lo
	;; [unrolled: 2-line block ×3, first 2 shown]
	s_waitcnt lgkmcnt(0)
	v_add_co_u32 v18, vcc_lo, v9, v8
	v_add_co_ci_u32_e64 v19, null, v10, v11, vcc_lo
.LBB4_4846:                             ;   Parent Loop BB4_47 Depth=1
                                        ;     Parent Loop BB4_3351 Depth=2
                                        ; =>    This Loop Header: Depth=3
                                        ;         Child Loop BB4_5423 Depth 4
	global_load_dwordx4 v[8:11], v[18:19], off slc
	global_load_dwordx4 v[12:15], v[16:17], off slc
	s_mov_b32 s17, -1
	s_waitcnt vmcnt(1)
	v_and_b32_e32 v98, 7, v8
	v_bfe_u32 v78, v8, 3, 4
	v_lshlrev_b32_e32 v79, 24, v8
	s_waitcnt vmcnt(0)
	v_cmp_gt_i16_sdwa s18, v12, v117 src0_sel:BYTE_0 src1_sel:DWORD
	v_ffbh_u32_e32 v99, v98
	v_cmp_eq_u32_e32 vcc_lo, 0, v78
	v_min_u32_e32 v99, 32, v99
	v_subrev_nc_u32_e32 v77, 28, v99
	v_sub_nc_u32_e32 v99, 29, v99
	v_lshlrev_b32_e32 v77, v77, v8
	v_cndmask_b32_e32 v99, v78, v99, vcc_lo
	v_and_b32_e32 v77, 7, v77
	v_lshl_add_u32 v99, v99, 23, 0x3b800000
	v_cndmask_b32_e32 v98, v98, v77, vcc_lo
	v_and_b32_e32 v77, 0x80000000, v79
	s_and_b32 vcc_lo, exec_lo, s75
	v_lshlrev_b32_e32 v98, 20, v98
	v_or3_b32 v98, v77, v99, v98
                                        ; implicit-def: $vgpr99
	s_cbranch_vccz .LBB4_4860
; %bb.4847:                             ;   in Loop: Header=BB4_4846 Depth=3
	s_mov_b32 s17, 0
	s_and_saveexec_b32 s22, s18
	s_xor_b32 s18, exec_lo, s22
	s_cbranch_execz .LBB4_5425
; %bb.4848:                             ;   in Loop: Header=BB4_4846 Depth=3
	v_cmp_eq_u16_sdwa s23, v12, v118 src0_sel:BYTE_0 src1_sel:DWORD
	s_mov_b32 s17, -1
	s_and_saveexec_b32 s22, s23
; %bb.4849:                             ;   in Loop: Header=BB4_4846 Depth=3
	s_xor_b32 s17, exec_lo, -1
; %bb.4850:                             ;   in Loop: Header=BB4_4846 Depth=3
	s_or_b32 exec_lo, exec_lo, s22
	s_and_b32 s17, s17, exec_lo
	s_or_saveexec_b32 s18, s18
	v_mov_b32_e32 v99, 0x7f800001
	s_xor_b32 exec_lo, exec_lo, s18
	s_cbranch_execnz .LBB4_5426
.LBB4_4851:                             ;   in Loop: Header=BB4_4846 Depth=3
	s_or_b32 exec_lo, exec_lo, s18
	s_and_saveexec_b32 s18, s17
	s_cbranch_execz .LBB4_4853
.LBB4_4852:                             ;   in Loop: Header=BB4_4846 Depth=3
	v_and_b32_e32 v99, 7, v12
	v_bfe_u32 v79, v12, 3, 4
	v_lshlrev_b32_e32 v88, 24, v12
	v_ffbh_u32_e32 v77, v99
	v_cmp_eq_u32_e32 vcc_lo, 0, v79
	v_min_u32_e32 v77, 32, v77
	v_subrev_nc_u32_e32 v78, 28, v77
	v_sub_nc_u32_e32 v77, 29, v77
	v_lshlrev_b32_e32 v78, v78, v12
	v_cndmask_b32_e32 v77, v79, v77, vcc_lo
	v_and_b32_e32 v78, 7, v78
	v_lshl_add_u32 v77, v77, 23, 0x3b800000
	v_cndmask_b32_e32 v99, v99, v78, vcc_lo
	v_and_b32_e32 v78, 0x80000000, v88
	v_lshlrev_b32_e32 v99, 20, v99
	v_or3_b32 v99, v78, v77, v99
.LBB4_4853:                             ;   in Loop: Header=BB4_4846 Depth=3
	s_or_b32 exec_lo, exec_lo, s18
	v_cmp_gt_i16_sdwa s18, v8, v117 src0_sel:BYTE_0 src1_sel:DWORD
	s_mov_b32 s17, 0
	s_and_saveexec_b32 s22, s18
	s_xor_b32 s18, exec_lo, s22
	s_cbranch_execz .LBB4_5427
; %bb.4854:                             ;   in Loop: Header=BB4_4846 Depth=3
	v_cmp_eq_u16_sdwa s23, v8, v118 src0_sel:BYTE_0 src1_sel:DWORD
	s_mov_b32 s17, -1
	s_and_saveexec_b32 s22, s23
; %bb.4855:                             ;   in Loop: Header=BB4_4846 Depth=3
	s_xor_b32 s17, exec_lo, -1
; %bb.4856:                             ;   in Loop: Header=BB4_4846 Depth=3
	s_or_b32 exec_lo, exec_lo, s22
	s_and_b32 s17, s17, exec_lo
	s_or_saveexec_b32 s18, s18
	v_mov_b32_e32 v77, 0x7f800001
	s_xor_b32 exec_lo, exec_lo, s18
	s_cbranch_execnz .LBB4_5428
.LBB4_4857:                             ;   in Loop: Header=BB4_4846 Depth=3
	s_or_b32 exec_lo, exec_lo, s18
	s_and_saveexec_b32 s18, s17
.LBB4_4858:                             ;   in Loop: Header=BB4_4846 Depth=3
	v_mov_b32_e32 v77, v98
.LBB4_4859:                             ;   in Loop: Header=BB4_4846 Depth=3
	s_or_b32 exec_lo, exec_lo, s18
	v_max_f32_e32 v77, v77, v77
	v_max_f32_e32 v99, v99, v99
	s_mov_b32 s17, 0
	v_max_f32_e32 v99, v99, v77
.LBB4_4860:                             ;   in Loop: Header=BB4_4846 Depth=3
	s_and_b32 vcc_lo, exec_lo, s17
	s_cbranch_vccz .LBB4_4874
; %bb.4861:                             ;   in Loop: Header=BB4_4846 Depth=3
	v_cmp_gt_i16_sdwa s18, v12, v117 src0_sel:BYTE_0 src1_sel:DWORD
	s_mov_b32 s17, 0
	s_and_saveexec_b32 s22, s18
	s_xor_b32 s18, exec_lo, s22
	s_cbranch_execz .LBB4_5429
; %bb.4862:                             ;   in Loop: Header=BB4_4846 Depth=3
	v_cmp_eq_u16_sdwa s23, v12, v118 src0_sel:BYTE_0 src1_sel:DWORD
	s_mov_b32 s17, -1
	s_and_saveexec_b32 s22, s23
; %bb.4863:                             ;   in Loop: Header=BB4_4846 Depth=3
	s_xor_b32 s17, exec_lo, -1
; %bb.4864:                             ;   in Loop: Header=BB4_4846 Depth=3
	s_or_b32 exec_lo, exec_lo, s22
	s_and_b32 s17, s17, exec_lo
	s_or_saveexec_b32 s18, s18
	v_mov_b32_e32 v99, 0x7f800001
	s_xor_b32 exec_lo, exec_lo, s18
	s_cbranch_execnz .LBB4_5430
.LBB4_4865:                             ;   in Loop: Header=BB4_4846 Depth=3
	s_or_b32 exec_lo, exec_lo, s18
	s_and_saveexec_b32 s18, s17
	s_cbranch_execz .LBB4_4867
.LBB4_4866:                             ;   in Loop: Header=BB4_4846 Depth=3
	v_and_b32_e32 v99, 7, v12
	v_bfe_u32 v79, v12, 3, 4
	v_lshlrev_b32_e32 v88, 24, v12
	v_ffbh_u32_e32 v77, v99
	v_cmp_eq_u32_e32 vcc_lo, 0, v79
	v_min_u32_e32 v77, 32, v77
	v_subrev_nc_u32_e32 v78, 28, v77
	v_sub_nc_u32_e32 v77, 29, v77
	v_lshlrev_b32_e32 v78, v78, v12
	v_cndmask_b32_e32 v77, v79, v77, vcc_lo
	v_and_b32_e32 v78, 7, v78
	v_lshl_add_u32 v77, v77, 23, 0x3b800000
	v_cndmask_b32_e32 v99, v99, v78, vcc_lo
	v_and_b32_e32 v78, 0x80000000, v88
	v_lshlrev_b32_e32 v99, 20, v99
	v_or3_b32 v99, v78, v77, v99
.LBB4_4867:                             ;   in Loop: Header=BB4_4846 Depth=3
	s_or_b32 exec_lo, exec_lo, s18
	v_cmp_gt_i16_sdwa s18, v8, v117 src0_sel:BYTE_0 src1_sel:DWORD
	s_mov_b32 s17, 0
	s_and_saveexec_b32 s22, s18
	s_xor_b32 s18, exec_lo, s22
	s_cbranch_execz .LBB4_5431
; %bb.4868:                             ;   in Loop: Header=BB4_4846 Depth=3
	v_cmp_eq_u16_sdwa s23, v8, v118 src0_sel:BYTE_0 src1_sel:DWORD
	s_mov_b32 s17, -1
	s_and_saveexec_b32 s22, s23
; %bb.4869:                             ;   in Loop: Header=BB4_4846 Depth=3
	s_xor_b32 s17, exec_lo, -1
; %bb.4870:                             ;   in Loop: Header=BB4_4846 Depth=3
	s_or_b32 exec_lo, exec_lo, s22
	s_and_b32 s17, s17, exec_lo
	s_or_saveexec_b32 s18, s18
	v_mov_b32_e32 v77, 0x7f800001
	s_xor_b32 exec_lo, exec_lo, s18
	s_cbranch_execnz .LBB4_5432
.LBB4_4871:                             ;   in Loop: Header=BB4_4846 Depth=3
	s_or_b32 exec_lo, exec_lo, s18
	s_and_saveexec_b32 s18, s17
.LBB4_4872:                             ;   in Loop: Header=BB4_4846 Depth=3
	v_mov_b32_e32 v77, v98
.LBB4_4873:                             ;   in Loop: Header=BB4_4846 Depth=3
	s_or_b32 exec_lo, exec_lo, s18
	v_max_f32_e32 v98, v77, v77
	v_max_f32_e32 v99, v99, v99
	v_min_f32_e32 v99, v99, v98
.LBB4_4874:                             ;   in Loop: Header=BB4_4846 Depth=3
	v_and_b32_e32 v98, 0x7f800000, v99
	v_cmp_ne_u32_e32 vcc_lo, 0x7f800000, v98
	v_mov_b32_e32 v98, 0x80
	s_and_saveexec_b32 s18, vcc_lo
	s_cbranch_execz .LBB4_4882
; %bb.4875:                             ;   in Loop: Header=BB4_4846 Depth=3
	v_mov_b32_e32 v98, 0
	s_mov_b32 s22, exec_lo
	v_cmpx_ne_u32_e32 0, v99
	s_cbranch_execz .LBB4_4881
; %bb.4876:                             ;   in Loop: Header=BB4_4846 Depth=3
	v_bfe_u32 v98, v99, 23, 8
	v_and_b32_e32 v77, 0x7fffff, v99
	v_sub_nc_u32_e32 v78, 0x78, v98
	v_cmp_gt_u32_e32 vcc_lo, 0x79, v98
	v_or_b32_e32 v79, 0x800000, v77
	v_cndmask_b32_e32 v78, 0, v78, vcc_lo
	v_cmp_eq_u32_e32 vcc_lo, 0, v98
	v_add_nc_u32_e32 v98, 0xffffff89, v98
	v_cndmask_b32_e64 v78, v78, 0x77, vcc_lo
	v_cndmask_b32_e32 v77, v79, v77, vcc_lo
	v_cndmask_b32_e64 v98, v98, 0xffffff8a, vcc_lo
	v_lshl_add_u32 v79, 0x100000, v78, -1
	v_lshrrev_b32_e32 v88, v78, v77
	v_lshlrev_b32_e64 v90, v78, 0x80000
	v_add_nc_u32_e32 v78, v78, v98
	v_and_b32_e32 v77, v79, v77
	v_bfe_u32 v89, v88, 20, 1
	v_cmp_eq_u32_e64 s17, v77, v90
	v_add_nc_u32_e32 v79, -1, v89
	v_cndmask_b32_e64 v77, 0, v79, s17
	v_lshrrev_b32_e32 v79, 23, v88
	s_mov_b32 s17, exec_lo
	v_add_nc_u32_e32 v77, v77, v88
	v_xor_b32_e32 v79, 1, v79
	v_and_b32_e32 v98, 0xfffff, v77
	v_add_nc_u32_e32 v77, v98, v88
                                        ; implicit-def: $vgpr98
	v_cmpx_ne_u32_e64 v78, v79
	s_xor_b32 s17, exec_lo, s17
; %bb.4877:                             ;   in Loop: Header=BB4_4846 Depth=3
	v_cmp_lt_u32_e32 vcc_lo, 0xffffff, v77
	v_sub_nc_u32_e32 v98, v78, v79
	v_cndmask_b32_e64 v78, 0, 1, vcc_lo
	v_add_co_ci_u32_e64 v98, null, 0, v98, vcc_lo
	v_lshrrev_b32_e32 v77, v78, v77
; %bb.4878:                             ;   in Loop: Header=BB4_4846 Depth=3
	s_andn2_saveexec_b32 s17, s17
; %bb.4879:                             ;   in Loop: Header=BB4_4846 Depth=3
	v_bfe_u32 v98, v77, 23, 1
; %bb.4880:                             ;   in Loop: Header=BB4_4846 Depth=3
	s_or_b32 exec_lo, exec_lo, s17
	v_lshrrev_b32_e32 v77, 20, v77
	v_min_i32_e32 v78, 15, v98
	v_cmp_gt_i32_e32 vcc_lo, 16, v98
	v_and_b32_sdwa v99, v99, v118 dst_sel:DWORD dst_unused:UNUSED_PAD src0_sel:BYTE_3 src1_sel:DWORD
	v_lshlrev_b32_e32 v78, 3, v78
	v_cndmask_b32_e32 v77, 7, v77, vcc_lo
	v_and_b32_e32 v78, 0xf8, v78
	v_and_b32_e32 v79, 7, v77
	v_or_b32_e32 v98, v98, v77
	v_or3_b32 v99, v78, v99, v79
	v_cmp_ne_u32_e32 vcc_lo, 0, v98
	v_cndmask_b32_e32 v98, 0, v99, vcc_lo
.LBB4_4881:                             ;   in Loop: Header=BB4_4846 Depth=3
	s_or_b32 exec_lo, exec_lo, s22
.LBB4_4882:                             ;   in Loop: Header=BB4_4846 Depth=3
	s_or_b32 exec_lo, exec_lo, s18
	v_and_b32_sdwa v99, v119, v8 dst_sel:DWORD dst_unused:UNUSED_PAD src0_sel:DWORD src1_sel:BYTE_1
	v_cmp_gt_i16_sdwa s18, v12, v117 src0_sel:BYTE_1 src1_sel:DWORD
	s_mov_b32 s17, -1
	v_and_b32_e32 v77, 7, v99
	v_bfe_u32 v88, v99, 3, 4
	v_ffbh_u32_e32 v78, v77
	v_cmp_eq_u32_e32 vcc_lo, 0, v88
	v_min_u32_e32 v78, 32, v78
	v_subrev_nc_u32_e32 v79, 28, v78
	v_sub_nc_u32_e32 v78, 29, v78
	v_lshlrev_b32_e32 v99, v79, v99
	v_lshlrev_b32_sdwa v79, v41, v8 dst_sel:DWORD dst_unused:UNUSED_PAD src0_sel:DWORD src1_sel:BYTE_1
	v_cndmask_b32_e32 v78, v88, v78, vcc_lo
	v_and_b32_e32 v99, 7, v99
	v_lshl_add_u32 v78, v78, 23, 0x3b800000
	v_cndmask_b32_e32 v99, v77, v99, vcc_lo
	v_and_b32_e32 v77, 0x80000000, v79
	s_and_b32 vcc_lo, exec_lo, s75
	v_lshlrev_b32_e32 v99, 20, v99
	v_or3_b32 v99, v77, v78, v99
                                        ; implicit-def: $vgpr77
	s_cbranch_vccz .LBB4_4896
; %bb.4883:                             ;   in Loop: Header=BB4_4846 Depth=3
	s_mov_b32 s17, 0
	s_and_saveexec_b32 s22, s18
	s_xor_b32 s18, exec_lo, s22
	s_cbranch_execz .LBB4_5433
; %bb.4884:                             ;   in Loop: Header=BB4_4846 Depth=3
	v_cmp_eq_u16_sdwa s23, v12, v118 src0_sel:BYTE_1 src1_sel:DWORD
	s_mov_b32 s17, -1
	s_and_saveexec_b32 s22, s23
; %bb.4885:                             ;   in Loop: Header=BB4_4846 Depth=3
	s_xor_b32 s17, exec_lo, -1
; %bb.4886:                             ;   in Loop: Header=BB4_4846 Depth=3
	s_or_b32 exec_lo, exec_lo, s22
	s_and_b32 s17, s17, exec_lo
	s_or_saveexec_b32 s18, s18
	v_mov_b32_e32 v77, 0x7f800001
	s_xor_b32 exec_lo, exec_lo, s18
	s_cbranch_execnz .LBB4_5434
.LBB4_4887:                             ;   in Loop: Header=BB4_4846 Depth=3
	s_or_b32 exec_lo, exec_lo, s18
	s_and_saveexec_b32 s18, s17
	s_cbranch_execz .LBB4_4889
.LBB4_4888:                             ;   in Loop: Header=BB4_4846 Depth=3
	v_and_b32_sdwa v77, v119, v12 dst_sel:DWORD dst_unused:UNUSED_PAD src0_sel:DWORD src1_sel:BYTE_1
	v_and_b32_e32 v78, 7, v77
	v_bfe_u32 v89, v77, 3, 4
	v_ffbh_u32_e32 v79, v78
	v_cmp_eq_u32_e32 vcc_lo, 0, v89
	v_min_u32_e32 v79, 32, v79
	v_subrev_nc_u32_e32 v88, 28, v79
	v_sub_nc_u32_e32 v79, 29, v79
	v_lshlrev_b32_e32 v77, v88, v77
	v_lshlrev_b32_e32 v88, 16, v12
	v_cndmask_b32_e32 v79, v89, v79, vcc_lo
	v_and_b32_e32 v77, 7, v77
	v_lshl_add_u32 v79, v79, 23, 0x3b800000
	v_cndmask_b32_e32 v77, v78, v77, vcc_lo
	v_and_b32_e32 v78, 0x80000000, v88
	v_lshlrev_b32_e32 v77, 20, v77
	v_or3_b32 v77, v78, v79, v77
.LBB4_4889:                             ;   in Loop: Header=BB4_4846 Depth=3
	s_or_b32 exec_lo, exec_lo, s18
	v_cmp_gt_i16_sdwa s18, v8, v117 src0_sel:BYTE_1 src1_sel:DWORD
	s_mov_b32 s17, 0
	s_and_saveexec_b32 s22, s18
	s_xor_b32 s18, exec_lo, s22
	s_cbranch_execz .LBB4_5435
; %bb.4890:                             ;   in Loop: Header=BB4_4846 Depth=3
	v_cmp_eq_u16_sdwa s23, v8, v118 src0_sel:BYTE_1 src1_sel:DWORD
	s_mov_b32 s17, -1
	s_and_saveexec_b32 s22, s23
; %bb.4891:                             ;   in Loop: Header=BB4_4846 Depth=3
	s_xor_b32 s17, exec_lo, -1
; %bb.4892:                             ;   in Loop: Header=BB4_4846 Depth=3
	s_or_b32 exec_lo, exec_lo, s22
	s_and_b32 s17, s17, exec_lo
	s_or_saveexec_b32 s18, s18
	v_mov_b32_e32 v78, 0x7f800001
	s_xor_b32 exec_lo, exec_lo, s18
	s_cbranch_execnz .LBB4_5436
.LBB4_4893:                             ;   in Loop: Header=BB4_4846 Depth=3
	s_or_b32 exec_lo, exec_lo, s18
	s_and_saveexec_b32 s18, s17
.LBB4_4894:                             ;   in Loop: Header=BB4_4846 Depth=3
	v_mov_b32_e32 v78, v99
.LBB4_4895:                             ;   in Loop: Header=BB4_4846 Depth=3
	s_or_b32 exec_lo, exec_lo, s18
	v_max_f32_e32 v78, v78, v78
	v_max_f32_e32 v77, v77, v77
	s_mov_b32 s17, 0
	v_max_f32_e32 v77, v77, v78
.LBB4_4896:                             ;   in Loop: Header=BB4_4846 Depth=3
	s_and_b32 vcc_lo, exec_lo, s17
	s_cbranch_vccz .LBB4_4910
; %bb.4897:                             ;   in Loop: Header=BB4_4846 Depth=3
	v_cmp_gt_i16_sdwa s18, v12, v117 src0_sel:BYTE_1 src1_sel:DWORD
	s_mov_b32 s17, 0
	s_and_saveexec_b32 s22, s18
	s_xor_b32 s18, exec_lo, s22
	s_cbranch_execz .LBB4_5437
; %bb.4898:                             ;   in Loop: Header=BB4_4846 Depth=3
	v_cmp_eq_u16_sdwa s23, v12, v118 src0_sel:BYTE_1 src1_sel:DWORD
	s_mov_b32 s17, -1
	s_and_saveexec_b32 s22, s23
; %bb.4899:                             ;   in Loop: Header=BB4_4846 Depth=3
	s_xor_b32 s17, exec_lo, -1
; %bb.4900:                             ;   in Loop: Header=BB4_4846 Depth=3
	s_or_b32 exec_lo, exec_lo, s22
	s_and_b32 s17, s17, exec_lo
	s_or_saveexec_b32 s18, s18
	v_mov_b32_e32 v77, 0x7f800001
	s_xor_b32 exec_lo, exec_lo, s18
	s_cbranch_execnz .LBB4_5438
.LBB4_4901:                             ;   in Loop: Header=BB4_4846 Depth=3
	s_or_b32 exec_lo, exec_lo, s18
	s_and_saveexec_b32 s18, s17
	s_cbranch_execz .LBB4_4903
.LBB4_4902:                             ;   in Loop: Header=BB4_4846 Depth=3
	v_and_b32_sdwa v77, v119, v12 dst_sel:DWORD dst_unused:UNUSED_PAD src0_sel:DWORD src1_sel:BYTE_1
	v_and_b32_e32 v78, 7, v77
	v_bfe_u32 v89, v77, 3, 4
	v_ffbh_u32_e32 v79, v78
	v_cmp_eq_u32_e32 vcc_lo, 0, v89
	v_min_u32_e32 v79, 32, v79
	v_subrev_nc_u32_e32 v88, 28, v79
	v_sub_nc_u32_e32 v79, 29, v79
	v_lshlrev_b32_e32 v77, v88, v77
	v_lshlrev_b32_e32 v88, 16, v12
	v_cndmask_b32_e32 v79, v89, v79, vcc_lo
	v_and_b32_e32 v77, 7, v77
	v_lshl_add_u32 v79, v79, 23, 0x3b800000
	v_cndmask_b32_e32 v77, v78, v77, vcc_lo
	v_and_b32_e32 v78, 0x80000000, v88
	v_lshlrev_b32_e32 v77, 20, v77
	v_or3_b32 v77, v78, v79, v77
.LBB4_4903:                             ;   in Loop: Header=BB4_4846 Depth=3
	s_or_b32 exec_lo, exec_lo, s18
	v_cmp_gt_i16_sdwa s18, v8, v117 src0_sel:BYTE_1 src1_sel:DWORD
	s_mov_b32 s17, 0
	s_and_saveexec_b32 s22, s18
	s_xor_b32 s18, exec_lo, s22
	s_cbranch_execz .LBB4_5439
; %bb.4904:                             ;   in Loop: Header=BB4_4846 Depth=3
	v_cmp_eq_u16_sdwa s23, v8, v118 src0_sel:BYTE_1 src1_sel:DWORD
	s_mov_b32 s17, -1
	s_and_saveexec_b32 s22, s23
; %bb.4905:                             ;   in Loop: Header=BB4_4846 Depth=3
	s_xor_b32 s17, exec_lo, -1
; %bb.4906:                             ;   in Loop: Header=BB4_4846 Depth=3
	s_or_b32 exec_lo, exec_lo, s22
	s_and_b32 s17, s17, exec_lo
	s_or_saveexec_b32 s18, s18
	v_mov_b32_e32 v78, 0x7f800001
	s_xor_b32 exec_lo, exec_lo, s18
	s_cbranch_execnz .LBB4_5440
.LBB4_4907:                             ;   in Loop: Header=BB4_4846 Depth=3
	s_or_b32 exec_lo, exec_lo, s18
	s_and_saveexec_b32 s18, s17
.LBB4_4908:                             ;   in Loop: Header=BB4_4846 Depth=3
	v_mov_b32_e32 v78, v99
.LBB4_4909:                             ;   in Loop: Header=BB4_4846 Depth=3
	s_or_b32 exec_lo, exec_lo, s18
	v_max_f32_e32 v99, v78, v78
	v_max_f32_e32 v77, v77, v77
	v_min_f32_e32 v77, v77, v99
.LBB4_4910:                             ;   in Loop: Header=BB4_4846 Depth=3
	v_and_b32_e32 v99, 0x7f800000, v77
	v_cmp_ne_u32_e32 vcc_lo, 0x7f800000, v99
	v_mov_b32_e32 v99, 0x8000
	s_and_saveexec_b32 s18, vcc_lo
	s_cbranch_execz .LBB4_4918
; %bb.4911:                             ;   in Loop: Header=BB4_4846 Depth=3
	v_mov_b32_e32 v99, 0
	s_mov_b32 s22, exec_lo
	v_cmpx_ne_u32_e32 0, v77
	s_cbranch_execz .LBB4_4917
; %bb.4912:                             ;   in Loop: Header=BB4_4846 Depth=3
	v_bfe_u32 v99, v77, 23, 8
	v_and_b32_e32 v78, 0x7fffff, v77
	v_sub_nc_u32_e32 v79, 0x78, v99
	v_cmp_gt_u32_e32 vcc_lo, 0x79, v99
	v_or_b32_e32 v88, 0x800000, v78
	v_cndmask_b32_e32 v79, 0, v79, vcc_lo
	v_cmp_eq_u32_e32 vcc_lo, 0, v99
	v_add_nc_u32_e32 v99, 0xffffff89, v99
	v_cndmask_b32_e64 v79, v79, 0x77, vcc_lo
	v_cndmask_b32_e32 v78, v88, v78, vcc_lo
	v_cndmask_b32_e64 v99, v99, 0xffffff8a, vcc_lo
	v_lshl_add_u32 v88, 0x100000, v79, -1
	v_lshrrev_b32_e32 v89, v79, v78
	v_lshlrev_b32_e64 v91, v79, 0x80000
	v_add_nc_u32_e32 v79, v79, v99
	v_and_b32_e32 v78, v88, v78
	v_bfe_u32 v90, v89, 20, 1
	v_cmp_eq_u32_e64 s17, v78, v91
	v_add_nc_u32_e32 v88, -1, v90
	v_cndmask_b32_e64 v78, 0, v88, s17
	v_lshrrev_b32_e32 v88, 23, v89
	s_mov_b32 s17, exec_lo
	v_add_nc_u32_e32 v78, v78, v89
	v_xor_b32_e32 v88, 1, v88
	v_and_b32_e32 v99, 0xfffff, v78
	v_add_nc_u32_e32 v78, v99, v89
                                        ; implicit-def: $vgpr99
	v_cmpx_ne_u32_e64 v79, v88
	s_xor_b32 s17, exec_lo, s17
; %bb.4913:                             ;   in Loop: Header=BB4_4846 Depth=3
	v_cmp_lt_u32_e32 vcc_lo, 0xffffff, v78
	v_sub_nc_u32_e32 v99, v79, v88
	v_cndmask_b32_e64 v79, 0, 1, vcc_lo
	v_add_co_ci_u32_e64 v99, null, 0, v99, vcc_lo
	v_lshrrev_b32_e32 v78, v79, v78
; %bb.4914:                             ;   in Loop: Header=BB4_4846 Depth=3
	s_andn2_saveexec_b32 s17, s17
; %bb.4915:                             ;   in Loop: Header=BB4_4846 Depth=3
	v_bfe_u32 v99, v78, 23, 1
; %bb.4916:                             ;   in Loop: Header=BB4_4846 Depth=3
	s_or_b32 exec_lo, exec_lo, s17
	v_lshrrev_b32_e32 v78, 20, v78
	v_min_i32_e32 v79, 15, v99
	v_cmp_gt_i32_e32 vcc_lo, 16, v99
	v_and_b32_sdwa v77, v77, v118 dst_sel:DWORD dst_unused:UNUSED_PAD src0_sel:BYTE_3 src1_sel:DWORD
	v_lshlrev_b32_e32 v79, 3, v79
	v_cndmask_b32_e32 v78, 7, v78, vcc_lo
	v_and_b32_e32 v79, 0xf8, v79
	v_and_b32_e32 v88, 7, v78
	v_or_b32_e32 v99, v99, v78
	v_or3_b32 v77, v77, v79, v88
	v_cmp_ne_u32_e32 vcc_lo, 0, v99
	v_lshlrev_b32_e32 v77, 8, v77
	v_cndmask_b32_e32 v99, 0, v77, vcc_lo
.LBB4_4917:                             ;   in Loop: Header=BB4_4846 Depth=3
	s_or_b32 exec_lo, exec_lo, s22
.LBB4_4918:                             ;   in Loop: Header=BB4_4846 Depth=3
	s_or_b32 exec_lo, exec_lo, s18
	v_bfe_u32 v77, v8, 16, 3
	v_bfe_u32 v88, v8, 19, 4
	v_lshlrev_b32_e32 v89, 8, v8
	s_mov_b32 s18, -1
	v_ffbh_u32_e32 v78, v77
	v_cmp_eq_u32_e32 vcc_lo, 0, v88
	v_min_u32_e32 v78, 32, v78
	v_subrev_nc_u32_e32 v79, 28, v78
	v_sub_nc_u32_e32 v78, 29, v78
	v_lshlrev_b32_sdwa v79, v79, v8 dst_sel:DWORD dst_unused:UNUSED_PAD src0_sel:DWORD src1_sel:WORD_1
	v_cndmask_b32_e32 v78, v88, v78, vcc_lo
	v_and_b32_e32 v79, 7, v79
	v_lshl_add_u32 v88, v78, 23, 0x3b800000
	v_and_b32_sdwa v78, v12, v40 dst_sel:DWORD dst_unused:UNUSED_PAD src0_sel:WORD_1 src1_sel:DWORD
	v_cndmask_b32_e32 v77, v77, v79, vcc_lo
	v_and_b32_e32 v79, 0x80000000, v89
	v_cmp_lt_i16_e64 s17, 0x7f, v78
	s_and_b32 vcc_lo, exec_lo, s75
	v_lshlrev_b32_e32 v77, 20, v77
	v_or3_b32 v77, v79, v88, v77
                                        ; implicit-def: $vgpr79
	s_cbranch_vccz .LBB4_4932
; %bb.4919:                             ;   in Loop: Header=BB4_4846 Depth=3
	s_mov_b32 s18, 0
	s_and_saveexec_b32 s22, s17
	s_xor_b32 s17, exec_lo, s22
	s_cbranch_execz .LBB4_5441
; %bb.4920:                             ;   in Loop: Header=BB4_4846 Depth=3
	s_mov_b32 s18, -1
	s_mov_b32 s22, exec_lo
	v_cmpx_eq_u16_e32 0x80, v78
; %bb.4921:                             ;   in Loop: Header=BB4_4846 Depth=3
	s_xor_b32 s18, exec_lo, -1
; %bb.4922:                             ;   in Loop: Header=BB4_4846 Depth=3
	s_or_b32 exec_lo, exec_lo, s22
	s_and_b32 s18, s18, exec_lo
	s_or_saveexec_b32 s17, s17
	v_mov_b32_e32 v79, 0x7f800001
	s_xor_b32 exec_lo, exec_lo, s17
	s_cbranch_execnz .LBB4_5442
.LBB4_4923:                             ;   in Loop: Header=BB4_4846 Depth=3
	s_or_b32 exec_lo, exec_lo, s17
	s_and_saveexec_b32 s17, s18
	s_cbranch_execz .LBB4_4925
.LBB4_4924:                             ;   in Loop: Header=BB4_4846 Depth=3
	v_bfe_u32 v79, v12, 16, 3
	v_bfe_u32 v90, v12, 19, 4
	v_lshlrev_b32_sdwa v91, v41, v12 dst_sel:DWORD dst_unused:UNUSED_PAD src0_sel:DWORD src1_sel:WORD_1
	v_ffbh_u32_e32 v88, v79
	v_cmp_eq_u32_e32 vcc_lo, 0, v90
	v_min_u32_e32 v88, 32, v88
	v_subrev_nc_u32_e32 v89, 28, v88
	v_sub_nc_u32_e32 v88, 29, v88
	v_lshlrev_b32_sdwa v89, v89, v12 dst_sel:DWORD dst_unused:UNUSED_PAD src0_sel:DWORD src1_sel:WORD_1
	v_cndmask_b32_e32 v88, v90, v88, vcc_lo
	v_and_b32_e32 v89, 7, v89
	v_lshl_add_u32 v88, v88, 23, 0x3b800000
	v_cndmask_b32_e32 v79, v79, v89, vcc_lo
	v_and_b32_e32 v89, 0x80000000, v91
	v_lshlrev_b32_e32 v79, 20, v79
	v_or3_b32 v79, v89, v88, v79
.LBB4_4925:                             ;   in Loop: Header=BB4_4846 Depth=3
	s_or_b32 exec_lo, exec_lo, s17
	v_and_b32_sdwa v89, v8, v40 dst_sel:DWORD dst_unused:UNUSED_PAD src0_sel:WORD_1 src1_sel:DWORD
	s_mov_b32 s17, 0
	s_mov_b32 s18, exec_lo
	v_cmpx_lt_i16_e32 0x7f, v89
	s_xor_b32 s18, exec_lo, s18
	s_cbranch_execz .LBB4_5443
; %bb.4926:                             ;   in Loop: Header=BB4_4846 Depth=3
	s_mov_b32 s17, -1
	s_mov_b32 s22, exec_lo
	v_cmpx_eq_u16_e32 0x80, v89
; %bb.4927:                             ;   in Loop: Header=BB4_4846 Depth=3
	s_xor_b32 s17, exec_lo, -1
; %bb.4928:                             ;   in Loop: Header=BB4_4846 Depth=3
	s_or_b32 exec_lo, exec_lo, s22
	s_and_b32 s17, s17, exec_lo
                                        ; implicit-def: $vgpr89
	s_or_saveexec_b32 s18, s18
	v_mov_b32_e32 v88, 0x7f800001
	s_xor_b32 exec_lo, exec_lo, s18
	s_cbranch_execnz .LBB4_5444
.LBB4_4929:                             ;   in Loop: Header=BB4_4846 Depth=3
	s_or_b32 exec_lo, exec_lo, s18
	s_and_saveexec_b32 s18, s17
.LBB4_4930:                             ;   in Loop: Header=BB4_4846 Depth=3
	v_mov_b32_e32 v88, v77
.LBB4_4931:                             ;   in Loop: Header=BB4_4846 Depth=3
	s_or_b32 exec_lo, exec_lo, s18
	v_max_f32_e32 v88, v88, v88
	v_max_f32_e32 v79, v79, v79
	s_mov_b32 s18, 0
	v_max_f32_e32 v79, v79, v88
.LBB4_4932:                             ;   in Loop: Header=BB4_4846 Depth=3
	s_and_b32 vcc_lo, exec_lo, s18
	s_cbranch_vccz .LBB4_4946
; %bb.4933:                             ;   in Loop: Header=BB4_4846 Depth=3
	s_mov_b32 s17, 0
	s_mov_b32 s18, exec_lo
	v_cmpx_lt_i16_e32 0x7f, v78
	s_xor_b32 s18, exec_lo, s18
	s_cbranch_execz .LBB4_5445
; %bb.4934:                             ;   in Loop: Header=BB4_4846 Depth=3
	s_mov_b32 s17, -1
	s_mov_b32 s22, exec_lo
	v_cmpx_eq_u16_e32 0x80, v78
; %bb.4935:                             ;   in Loop: Header=BB4_4846 Depth=3
	s_xor_b32 s17, exec_lo, -1
; %bb.4936:                             ;   in Loop: Header=BB4_4846 Depth=3
	s_or_b32 exec_lo, exec_lo, s22
	s_and_b32 s17, s17, exec_lo
                                        ; implicit-def: $vgpr78
	s_or_saveexec_b32 s18, s18
	v_mov_b32_e32 v79, 0x7f800001
	s_xor_b32 exec_lo, exec_lo, s18
	s_cbranch_execnz .LBB4_5446
.LBB4_4937:                             ;   in Loop: Header=BB4_4846 Depth=3
	s_or_b32 exec_lo, exec_lo, s18
	s_and_saveexec_b32 s18, s17
	s_cbranch_execz .LBB4_4939
.LBB4_4938:                             ;   in Loop: Header=BB4_4846 Depth=3
	v_bfe_u32 v78, v12, 16, 3
	v_bfe_u32 v89, v12, 19, 4
	v_lshlrev_b32_sdwa v90, v41, v12 dst_sel:DWORD dst_unused:UNUSED_PAD src0_sel:DWORD src1_sel:WORD_1
	v_ffbh_u32_e32 v79, v78
	v_cmp_eq_u32_e32 vcc_lo, 0, v89
	v_min_u32_e32 v79, 32, v79
	v_subrev_nc_u32_e32 v88, 28, v79
	v_sub_nc_u32_e32 v79, 29, v79
	v_lshlrev_b32_sdwa v88, v88, v12 dst_sel:DWORD dst_unused:UNUSED_PAD src0_sel:DWORD src1_sel:WORD_1
	v_cndmask_b32_e32 v79, v89, v79, vcc_lo
	v_and_b32_e32 v88, 7, v88
	v_lshl_add_u32 v79, v79, 23, 0x3b800000
	v_cndmask_b32_e32 v78, v78, v88, vcc_lo
	v_and_b32_e32 v88, 0x80000000, v90
	v_lshlrev_b32_e32 v78, 20, v78
	v_or3_b32 v79, v88, v79, v78
.LBB4_4939:                             ;   in Loop: Header=BB4_4846 Depth=3
	s_or_b32 exec_lo, exec_lo, s18
	v_and_b32_sdwa v88, v8, v40 dst_sel:DWORD dst_unused:UNUSED_PAD src0_sel:WORD_1 src1_sel:DWORD
	s_mov_b32 s17, 0
	s_mov_b32 s18, exec_lo
	v_cmpx_lt_i16_e32 0x7f, v88
	s_xor_b32 s18, exec_lo, s18
	s_cbranch_execz .LBB4_5447
; %bb.4940:                             ;   in Loop: Header=BB4_4846 Depth=3
	s_mov_b32 s17, -1
	s_mov_b32 s22, exec_lo
	v_cmpx_eq_u16_e32 0x80, v88
; %bb.4941:                             ;   in Loop: Header=BB4_4846 Depth=3
	s_xor_b32 s17, exec_lo, -1
; %bb.4942:                             ;   in Loop: Header=BB4_4846 Depth=3
	s_or_b32 exec_lo, exec_lo, s22
	s_and_b32 s17, s17, exec_lo
                                        ; implicit-def: $vgpr88
	s_or_saveexec_b32 s18, s18
	v_mov_b32_e32 v78, 0x7f800001
	s_xor_b32 exec_lo, exec_lo, s18
	s_cbranch_execnz .LBB4_5448
.LBB4_4943:                             ;   in Loop: Header=BB4_4846 Depth=3
	s_or_b32 exec_lo, exec_lo, s18
	s_and_saveexec_b32 s18, s17
.LBB4_4944:                             ;   in Loop: Header=BB4_4846 Depth=3
	v_mov_b32_e32 v78, v77
.LBB4_4945:                             ;   in Loop: Header=BB4_4846 Depth=3
	s_or_b32 exec_lo, exec_lo, s18
	v_max_f32_e32 v77, v78, v78
	v_max_f32_e32 v78, v79, v79
	v_min_f32_e32 v79, v78, v77
.LBB4_4946:                             ;   in Loop: Header=BB4_4846 Depth=3
	v_and_b32_e32 v77, 0x7f800000, v79
	v_cmp_ne_u32_e32 vcc_lo, 0x7f800000, v77
	v_mov_b32_e32 v77, 0x80
	s_and_saveexec_b32 s18, vcc_lo
	s_cbranch_execz .LBB4_4954
; %bb.4947:                             ;   in Loop: Header=BB4_4846 Depth=3
	v_mov_b32_e32 v77, 0
	s_mov_b32 s22, exec_lo
	v_cmpx_ne_u32_e32 0, v79
	s_cbranch_execz .LBB4_4953
; %bb.4948:                             ;   in Loop: Header=BB4_4846 Depth=3
	v_bfe_u32 v77, v79, 23, 8
	v_and_b32_e32 v78, 0x7fffff, v79
	v_sub_nc_u32_e32 v88, 0x78, v77
	v_cmp_gt_u32_e32 vcc_lo, 0x79, v77
	v_or_b32_e32 v89, 0x800000, v78
	v_cndmask_b32_e32 v88, 0, v88, vcc_lo
	v_cmp_eq_u32_e32 vcc_lo, 0, v77
	v_add_nc_u32_e32 v77, 0xffffff89, v77
	v_cndmask_b32_e64 v88, v88, 0x77, vcc_lo
	v_cndmask_b32_e32 v78, v89, v78, vcc_lo
	v_cndmask_b32_e64 v77, v77, 0xffffff8a, vcc_lo
	v_lshl_add_u32 v89, 0x100000, v88, -1
	v_lshrrev_b32_e32 v90, v88, v78
	v_lshlrev_b32_e64 v92, v88, 0x80000
	v_add_nc_u32_e32 v88, v88, v77
	v_and_b32_e32 v78, v89, v78
	v_bfe_u32 v91, v90, 20, 1
	v_cmp_eq_u32_e64 s17, v78, v92
	v_add_nc_u32_e32 v89, -1, v91
	v_cndmask_b32_e64 v78, 0, v89, s17
	v_lshrrev_b32_e32 v89, 23, v90
	s_mov_b32 s17, exec_lo
	v_add_nc_u32_e32 v78, v78, v90
	v_xor_b32_e32 v89, 1, v89
	v_and_b32_e32 v77, 0xfffff, v78
	v_add_nc_u32_e32 v78, v77, v90
                                        ; implicit-def: $vgpr77
	v_cmpx_ne_u32_e64 v88, v89
	s_xor_b32 s17, exec_lo, s17
; %bb.4949:                             ;   in Loop: Header=BB4_4846 Depth=3
	v_cmp_lt_u32_e32 vcc_lo, 0xffffff, v78
	v_sub_nc_u32_e32 v77, v88, v89
	v_cndmask_b32_e64 v88, 0, 1, vcc_lo
	v_add_co_ci_u32_e64 v77, null, 0, v77, vcc_lo
	v_lshrrev_b32_e32 v78, v88, v78
; %bb.4950:                             ;   in Loop: Header=BB4_4846 Depth=3
	s_andn2_saveexec_b32 s17, s17
; %bb.4951:                             ;   in Loop: Header=BB4_4846 Depth=3
	v_bfe_u32 v77, v78, 23, 1
; %bb.4952:                             ;   in Loop: Header=BB4_4846 Depth=3
	s_or_b32 exec_lo, exec_lo, s17
	v_lshrrev_b32_e32 v78, 20, v78
	v_min_i32_e32 v88, 15, v77
	v_cmp_gt_i32_e32 vcc_lo, 16, v77
	v_and_b32_sdwa v79, v79, v118 dst_sel:DWORD dst_unused:UNUSED_PAD src0_sel:BYTE_3 src1_sel:DWORD
	v_lshlrev_b32_e32 v88, 3, v88
	v_cndmask_b32_e32 v78, 7, v78, vcc_lo
	v_and_b32_e32 v88, 0xf8, v88
	v_and_b32_e32 v89, 7, v78
	v_or_b32_e32 v77, v77, v78
	v_or3_b32 v78, v88, v79, v89
	v_cmp_ne_u32_e32 vcc_lo, 0, v77
	v_cndmask_b32_e32 v77, 0, v78, vcc_lo
.LBB4_4953:                             ;   in Loop: Header=BB4_4846 Depth=3
	s_or_b32 exec_lo, exec_lo, s22
.LBB4_4954:                             ;   in Loop: Header=BB4_4846 Depth=3
	s_or_b32 exec_lo, exec_lo, s18
	v_bfe_u32 v78, v8, 24, 3
	v_bfe_u32 v89, v8, 27, 4
	v_cmp_gt_i16_sdwa s18, v12, v117 src0_sel:BYTE_3 src1_sel:DWORD
	s_mov_b32 s17, -1
	v_ffbh_u32_e32 v79, v78
	v_cmp_eq_u32_e32 vcc_lo, 0, v89
	v_min_u32_e32 v79, 32, v79
	v_subrev_nc_u32_e32 v88, 28, v79
	v_sub_nc_u32_e32 v79, 29, v79
	v_lshlrev_b32_sdwa v88, v88, v8 dst_sel:DWORD dst_unused:UNUSED_PAD src0_sel:DWORD src1_sel:BYTE_3
	v_cndmask_b32_e32 v79, v89, v79, vcc_lo
	v_and_b32_e32 v88, 7, v88
	v_lshl_add_u32 v79, v79, 23, 0x3b800000
	v_cndmask_b32_e32 v78, v78, v88, vcc_lo
	v_and_b32_e32 v88, 0x80000000, v8
	s_and_b32 vcc_lo, exec_lo, s75
	v_lshlrev_b32_e32 v78, 20, v78
	v_or3_b32 v78, v88, v79, v78
                                        ; implicit-def: $vgpr79
	s_cbranch_vccz .LBB4_4968
; %bb.4955:                             ;   in Loop: Header=BB4_4846 Depth=3
	s_mov_b32 s17, 0
	s_and_saveexec_b32 s22, s18
	s_xor_b32 s18, exec_lo, s22
	s_cbranch_execz .LBB4_5449
; %bb.4956:                             ;   in Loop: Header=BB4_4846 Depth=3
	v_cmp_eq_u16_sdwa s23, v12, v118 src0_sel:BYTE_3 src1_sel:DWORD
	s_mov_b32 s17, -1
	s_and_saveexec_b32 s22, s23
; %bb.4957:                             ;   in Loop: Header=BB4_4846 Depth=3
	s_xor_b32 s17, exec_lo, -1
; %bb.4958:                             ;   in Loop: Header=BB4_4846 Depth=3
	s_or_b32 exec_lo, exec_lo, s22
	s_and_b32 s17, s17, exec_lo
	s_or_saveexec_b32 s18, s18
	v_mov_b32_e32 v79, 0x7f800001
	s_xor_b32 exec_lo, exec_lo, s18
	s_cbranch_execnz .LBB4_5450
.LBB4_4959:                             ;   in Loop: Header=BB4_4846 Depth=3
	s_or_b32 exec_lo, exec_lo, s18
	s_and_saveexec_b32 s18, s17
	s_cbranch_execz .LBB4_4961
.LBB4_4960:                             ;   in Loop: Header=BB4_4846 Depth=3
	v_bfe_u32 v79, v12, 24, 3
	v_bfe_u32 v90, v12, 27, 4
	v_ffbh_u32_e32 v88, v79
	v_cmp_eq_u32_e32 vcc_lo, 0, v90
	v_min_u32_e32 v88, 32, v88
	v_subrev_nc_u32_e32 v89, 28, v88
	v_sub_nc_u32_e32 v88, 29, v88
	v_lshlrev_b32_sdwa v89, v89, v12 dst_sel:DWORD dst_unused:UNUSED_PAD src0_sel:DWORD src1_sel:BYTE_3
	v_cndmask_b32_e32 v88, v90, v88, vcc_lo
	v_and_b32_e32 v89, 7, v89
	v_lshl_add_u32 v88, v88, 23, 0x3b800000
	v_cndmask_b32_e32 v79, v79, v89, vcc_lo
	v_and_b32_e32 v89, 0x80000000, v12
	v_lshlrev_b32_e32 v79, 20, v79
	v_or3_b32 v79, v89, v88, v79
.LBB4_4961:                             ;   in Loop: Header=BB4_4846 Depth=3
	s_or_b32 exec_lo, exec_lo, s18
	v_cmp_gt_i16_sdwa s18, v8, v117 src0_sel:BYTE_3 src1_sel:DWORD
	s_mov_b32 s17, 0
	s_and_saveexec_b32 s22, s18
	s_xor_b32 s18, exec_lo, s22
	s_cbranch_execz .LBB4_5451
; %bb.4962:                             ;   in Loop: Header=BB4_4846 Depth=3
	v_cmp_eq_u16_sdwa s23, v8, v118 src0_sel:BYTE_3 src1_sel:DWORD
	s_mov_b32 s17, -1
	s_and_saveexec_b32 s22, s23
; %bb.4963:                             ;   in Loop: Header=BB4_4846 Depth=3
	s_xor_b32 s17, exec_lo, -1
; %bb.4964:                             ;   in Loop: Header=BB4_4846 Depth=3
	s_or_b32 exec_lo, exec_lo, s22
	s_and_b32 s17, s17, exec_lo
	s_or_saveexec_b32 s18, s18
	v_mov_b32_e32 v88, 0x7f800001
	s_xor_b32 exec_lo, exec_lo, s18
	s_cbranch_execnz .LBB4_5452
.LBB4_4965:                             ;   in Loop: Header=BB4_4846 Depth=3
	s_or_b32 exec_lo, exec_lo, s18
	s_and_saveexec_b32 s18, s17
.LBB4_4966:                             ;   in Loop: Header=BB4_4846 Depth=3
	v_mov_b32_e32 v88, v78
.LBB4_4967:                             ;   in Loop: Header=BB4_4846 Depth=3
	s_or_b32 exec_lo, exec_lo, s18
	v_max_f32_e32 v88, v88, v88
	v_max_f32_e32 v79, v79, v79
	s_mov_b32 s17, 0
	v_max_f32_e32 v79, v79, v88
.LBB4_4968:                             ;   in Loop: Header=BB4_4846 Depth=3
	s_and_b32 vcc_lo, exec_lo, s17
	s_cbranch_vccz .LBB4_4982
; %bb.4969:                             ;   in Loop: Header=BB4_4846 Depth=3
	v_cmp_gt_i16_sdwa s18, v12, v117 src0_sel:BYTE_3 src1_sel:DWORD
	s_mov_b32 s17, 0
	s_and_saveexec_b32 s22, s18
	s_xor_b32 s18, exec_lo, s22
	s_cbranch_execz .LBB4_5453
; %bb.4970:                             ;   in Loop: Header=BB4_4846 Depth=3
	v_cmp_eq_u16_sdwa s23, v12, v118 src0_sel:BYTE_3 src1_sel:DWORD
	s_mov_b32 s17, -1
	s_and_saveexec_b32 s22, s23
; %bb.4971:                             ;   in Loop: Header=BB4_4846 Depth=3
	s_xor_b32 s17, exec_lo, -1
; %bb.4972:                             ;   in Loop: Header=BB4_4846 Depth=3
	s_or_b32 exec_lo, exec_lo, s22
	s_and_b32 s17, s17, exec_lo
	s_or_saveexec_b32 s18, s18
	v_mov_b32_e32 v79, 0x7f800001
	s_xor_b32 exec_lo, exec_lo, s18
	s_cbranch_execnz .LBB4_5454
.LBB4_4973:                             ;   in Loop: Header=BB4_4846 Depth=3
	s_or_b32 exec_lo, exec_lo, s18
	s_and_saveexec_b32 s18, s17
	s_cbranch_execz .LBB4_4975
.LBB4_4974:                             ;   in Loop: Header=BB4_4846 Depth=3
	v_bfe_u32 v79, v12, 24, 3
	v_bfe_u32 v90, v12, 27, 4
	v_ffbh_u32_e32 v88, v79
	v_cmp_eq_u32_e32 vcc_lo, 0, v90
	v_min_u32_e32 v88, 32, v88
	v_subrev_nc_u32_e32 v89, 28, v88
	v_sub_nc_u32_e32 v88, 29, v88
	v_lshlrev_b32_sdwa v89, v89, v12 dst_sel:DWORD dst_unused:UNUSED_PAD src0_sel:DWORD src1_sel:BYTE_3
	v_cndmask_b32_e32 v88, v90, v88, vcc_lo
	v_and_b32_e32 v12, 0x80000000, v12
	v_and_b32_e32 v89, 7, v89
	v_lshl_add_u32 v88, v88, 23, 0x3b800000
	v_cndmask_b32_e32 v79, v79, v89, vcc_lo
	v_lshlrev_b32_e32 v79, 20, v79
	v_or3_b32 v79, v12, v88, v79
.LBB4_4975:                             ;   in Loop: Header=BB4_4846 Depth=3
	s_or_b32 exec_lo, exec_lo, s18
	v_cmp_gt_i16_sdwa s18, v8, v117 src0_sel:BYTE_3 src1_sel:DWORD
	s_mov_b32 s17, 0
	s_and_saveexec_b32 s22, s18
	s_xor_b32 s18, exec_lo, s22
	s_cbranch_execz .LBB4_5455
; %bb.4976:                             ;   in Loop: Header=BB4_4846 Depth=3
	v_cmp_eq_u16_sdwa s23, v8, v118 src0_sel:BYTE_3 src1_sel:DWORD
	s_mov_b32 s17, -1
	s_and_saveexec_b32 s22, s23
; %bb.4977:                             ;   in Loop: Header=BB4_4846 Depth=3
	s_xor_b32 s17, exec_lo, -1
; %bb.4978:                             ;   in Loop: Header=BB4_4846 Depth=3
	s_or_b32 exec_lo, exec_lo, s22
	s_and_b32 s17, s17, exec_lo
	s_or_saveexec_b32 s18, s18
	v_mov_b32_e32 v12, 0x7f800001
	s_xor_b32 exec_lo, exec_lo, s18
	s_cbranch_execnz .LBB4_5456
.LBB4_4979:                             ;   in Loop: Header=BB4_4846 Depth=3
	s_or_b32 exec_lo, exec_lo, s18
	s_and_saveexec_b32 s18, s17
.LBB4_4980:                             ;   in Loop: Header=BB4_4846 Depth=3
	v_mov_b32_e32 v12, v78
.LBB4_4981:                             ;   in Loop: Header=BB4_4846 Depth=3
	s_or_b32 exec_lo, exec_lo, s18
	v_max_f32_e32 v8, v12, v12
	v_max_f32_e32 v12, v79, v79
	v_min_f32_e32 v79, v12, v8
.LBB4_4982:                             ;   in Loop: Header=BB4_4846 Depth=3
	v_and_b32_e32 v8, 0x7f800000, v79
	v_mov_b32_e32 v12, 0x8000
	s_mov_b32 s18, exec_lo
	v_cmpx_ne_u32_e32 0x7f800000, v8
	s_cbranch_execz .LBB4_4990
; %bb.4983:                             ;   in Loop: Header=BB4_4846 Depth=3
	v_mov_b32_e32 v12, 0
	s_mov_b32 s22, exec_lo
	v_cmpx_ne_u32_e32 0, v79
	s_cbranch_execz .LBB4_4989
; %bb.4984:                             ;   in Loop: Header=BB4_4846 Depth=3
	v_bfe_u32 v8, v79, 23, 8
	v_and_b32_e32 v12, 0x7fffff, v79
	v_sub_nc_u32_e32 v78, 0x78, v8
	v_cmp_gt_u32_e32 vcc_lo, 0x79, v8
	v_or_b32_e32 v88, 0x800000, v12
	v_cndmask_b32_e32 v78, 0, v78, vcc_lo
	v_cmp_eq_u32_e32 vcc_lo, 0, v8
	v_add_nc_u32_e32 v8, 0xffffff89, v8
	v_cndmask_b32_e64 v78, v78, 0x77, vcc_lo
	v_cndmask_b32_e32 v12, v88, v12, vcc_lo
	v_cndmask_b32_e64 v8, v8, 0xffffff8a, vcc_lo
	v_lshl_add_u32 v88, 0x100000, v78, -1
	v_lshrrev_b32_e32 v89, v78, v12
	v_lshlrev_b32_e64 v91, v78, 0x80000
	v_add_nc_u32_e32 v78, v78, v8
	v_and_b32_e32 v12, v88, v12
	v_bfe_u32 v90, v89, 20, 1
	v_cmp_eq_u32_e64 s17, v12, v91
	v_add_nc_u32_e32 v88, -1, v90
	v_cndmask_b32_e64 v12, 0, v88, s17
	v_lshrrev_b32_e32 v88, 23, v89
	s_mov_b32 s17, exec_lo
	v_add_nc_u32_e32 v12, v12, v89
	v_xor_b32_e32 v88, 1, v88
	v_and_b32_e32 v8, 0xfffff, v12
	v_add_nc_u32_e32 v12, v8, v89
                                        ; implicit-def: $vgpr8
	v_cmpx_ne_u32_e64 v78, v88
	s_xor_b32 s17, exec_lo, s17
; %bb.4985:                             ;   in Loop: Header=BB4_4846 Depth=3
	v_cmp_lt_u32_e32 vcc_lo, 0xffffff, v12
	v_sub_nc_u32_e32 v8, v78, v88
	v_cndmask_b32_e64 v78, 0, 1, vcc_lo
	v_add_co_ci_u32_e64 v8, null, 0, v8, vcc_lo
	v_lshrrev_b32_e32 v12, v78, v12
; %bb.4986:                             ;   in Loop: Header=BB4_4846 Depth=3
	s_andn2_saveexec_b32 s17, s17
; %bb.4987:                             ;   in Loop: Header=BB4_4846 Depth=3
	v_bfe_u32 v8, v12, 23, 1
; %bb.4988:                             ;   in Loop: Header=BB4_4846 Depth=3
	s_or_b32 exec_lo, exec_lo, s17
	v_lshrrev_b32_e32 v12, 20, v12
	v_min_i32_e32 v78, 15, v8
	v_cmp_gt_i32_e32 vcc_lo, 16, v8
	v_and_b32_sdwa v79, v79, v118 dst_sel:DWORD dst_unused:UNUSED_PAD src0_sel:BYTE_3 src1_sel:DWORD
	v_lshlrev_b32_e32 v78, 3, v78
	v_cndmask_b32_e32 v12, 7, v12, vcc_lo
	v_and_b32_e32 v78, 0xf8, v78
	v_and_b32_e32 v88, 7, v12
	v_or_b32_e32 v8, v8, v12
	v_or3_b32 v78, v79, v78, v88
	v_cmp_ne_u32_e32 vcc_lo, 0, v8
	v_lshlrev_b32_e32 v12, 8, v78
	v_cndmask_b32_e32 v12, 0, v12, vcc_lo
.LBB4_4989:                             ;   in Loop: Header=BB4_4846 Depth=3
	s_or_b32 exec_lo, exec_lo, s22
.LBB4_4990:                             ;   in Loop: Header=BB4_4846 Depth=3
	s_or_b32 exec_lo, exec_lo, s18
	v_and_b32_e32 v8, 7, v9
	v_bfe_u32 v88, v9, 3, 4
	v_lshlrev_b32_e32 v89, 24, v9
	v_cmp_gt_i16_sdwa s18, v13, v117 src0_sel:BYTE_0 src1_sel:DWORD
	s_mov_b32 s17, -1
	v_ffbh_u32_e32 v78, v8
	v_cmp_eq_u32_e32 vcc_lo, 0, v88
	v_min_u32_e32 v78, 32, v78
	v_subrev_nc_u32_e32 v79, 28, v78
	v_sub_nc_u32_e32 v78, 29, v78
	v_lshlrev_b32_e32 v79, v79, v9
	v_cndmask_b32_e32 v78, v88, v78, vcc_lo
	v_and_b32_e32 v79, 7, v79
	v_lshl_add_u32 v78, v78, 23, 0x3b800000
	v_cndmask_b32_e32 v8, v8, v79, vcc_lo
	v_and_b32_e32 v79, 0x80000000, v89
	s_and_b32 vcc_lo, exec_lo, s75
	v_lshlrev_b32_e32 v8, 20, v8
	v_or3_b32 v8, v79, v78, v8
                                        ; implicit-def: $vgpr79
	s_cbranch_vccz .LBB4_5004
; %bb.4991:                             ;   in Loop: Header=BB4_4846 Depth=3
	s_mov_b32 s17, 0
	s_and_saveexec_b32 s22, s18
	s_xor_b32 s18, exec_lo, s22
	s_cbranch_execz .LBB4_5457
; %bb.4992:                             ;   in Loop: Header=BB4_4846 Depth=3
	v_cmp_eq_u16_sdwa s23, v13, v118 src0_sel:BYTE_0 src1_sel:DWORD
	s_mov_b32 s17, -1
	s_and_saveexec_b32 s22, s23
; %bb.4993:                             ;   in Loop: Header=BB4_4846 Depth=3
	s_xor_b32 s17, exec_lo, -1
; %bb.4994:                             ;   in Loop: Header=BB4_4846 Depth=3
	s_or_b32 exec_lo, exec_lo, s22
	s_and_b32 s17, s17, exec_lo
	s_or_saveexec_b32 s18, s18
	v_mov_b32_e32 v78, 0x7f800001
	s_xor_b32 exec_lo, exec_lo, s18
	s_cbranch_execnz .LBB4_5458
.LBB4_4995:                             ;   in Loop: Header=BB4_4846 Depth=3
	s_or_b32 exec_lo, exec_lo, s18
	s_and_saveexec_b32 s18, s17
	s_cbranch_execz .LBB4_4997
.LBB4_4996:                             ;   in Loop: Header=BB4_4846 Depth=3
	v_and_b32_e32 v78, 7, v13
	v_bfe_u32 v89, v13, 3, 4
	v_lshlrev_b32_e32 v90, 24, v13
	v_ffbh_u32_e32 v79, v78
	v_cmp_eq_u32_e32 vcc_lo, 0, v89
	v_min_u32_e32 v79, 32, v79
	v_subrev_nc_u32_e32 v88, 28, v79
	v_sub_nc_u32_e32 v79, 29, v79
	v_lshlrev_b32_e32 v88, v88, v13
	v_cndmask_b32_e32 v79, v89, v79, vcc_lo
	v_and_b32_e32 v88, 7, v88
	v_lshl_add_u32 v79, v79, 23, 0x3b800000
	v_cndmask_b32_e32 v78, v78, v88, vcc_lo
	v_and_b32_e32 v88, 0x80000000, v90
	v_lshlrev_b32_e32 v78, 20, v78
	v_or3_b32 v78, v88, v79, v78
.LBB4_4997:                             ;   in Loop: Header=BB4_4846 Depth=3
	s_or_b32 exec_lo, exec_lo, s18
	v_cmp_gt_i16_sdwa s18, v9, v117 src0_sel:BYTE_0 src1_sel:DWORD
	s_mov_b32 s17, 0
	s_and_saveexec_b32 s22, s18
	s_xor_b32 s18, exec_lo, s22
	s_cbranch_execz .LBB4_5459
; %bb.4998:                             ;   in Loop: Header=BB4_4846 Depth=3
	v_cmp_eq_u16_sdwa s23, v9, v118 src0_sel:BYTE_0 src1_sel:DWORD
	s_mov_b32 s17, -1
	s_and_saveexec_b32 s22, s23
; %bb.4999:                             ;   in Loop: Header=BB4_4846 Depth=3
	s_xor_b32 s17, exec_lo, -1
; %bb.5000:                             ;   in Loop: Header=BB4_4846 Depth=3
	s_or_b32 exec_lo, exec_lo, s22
	s_and_b32 s17, s17, exec_lo
	s_or_saveexec_b32 s18, s18
	v_mov_b32_e32 v79, 0x7f800001
	s_xor_b32 exec_lo, exec_lo, s18
	s_cbranch_execnz .LBB4_5460
.LBB4_5001:                             ;   in Loop: Header=BB4_4846 Depth=3
	s_or_b32 exec_lo, exec_lo, s18
	s_and_saveexec_b32 s18, s17
.LBB4_5002:                             ;   in Loop: Header=BB4_4846 Depth=3
	v_mov_b32_e32 v79, v8
.LBB4_5003:                             ;   in Loop: Header=BB4_4846 Depth=3
	s_or_b32 exec_lo, exec_lo, s18
	v_max_f32_e32 v79, v79, v79
	v_max_f32_e32 v78, v78, v78
	s_mov_b32 s17, 0
	v_max_f32_e32 v79, v78, v79
.LBB4_5004:                             ;   in Loop: Header=BB4_4846 Depth=3
	s_and_b32 vcc_lo, exec_lo, s17
	s_cbranch_vccz .LBB4_5018
; %bb.5005:                             ;   in Loop: Header=BB4_4846 Depth=3
	v_cmp_gt_i16_sdwa s18, v13, v117 src0_sel:BYTE_0 src1_sel:DWORD
	s_mov_b32 s17, 0
	s_and_saveexec_b32 s22, s18
	s_xor_b32 s18, exec_lo, s22
	s_cbranch_execz .LBB4_5461
; %bb.5006:                             ;   in Loop: Header=BB4_4846 Depth=3
	v_cmp_eq_u16_sdwa s23, v13, v118 src0_sel:BYTE_0 src1_sel:DWORD
	s_mov_b32 s17, -1
	s_and_saveexec_b32 s22, s23
; %bb.5007:                             ;   in Loop: Header=BB4_4846 Depth=3
	s_xor_b32 s17, exec_lo, -1
; %bb.5008:                             ;   in Loop: Header=BB4_4846 Depth=3
	s_or_b32 exec_lo, exec_lo, s22
	s_and_b32 s17, s17, exec_lo
	s_or_saveexec_b32 s18, s18
	v_mov_b32_e32 v78, 0x7f800001
	s_xor_b32 exec_lo, exec_lo, s18
	s_cbranch_execnz .LBB4_5462
.LBB4_5009:                             ;   in Loop: Header=BB4_4846 Depth=3
	s_or_b32 exec_lo, exec_lo, s18
	s_and_saveexec_b32 s18, s17
	s_cbranch_execz .LBB4_5011
.LBB4_5010:                             ;   in Loop: Header=BB4_4846 Depth=3
	v_and_b32_e32 v78, 7, v13
	v_bfe_u32 v89, v13, 3, 4
	v_lshlrev_b32_e32 v90, 24, v13
	v_ffbh_u32_e32 v79, v78
	v_cmp_eq_u32_e32 vcc_lo, 0, v89
	v_min_u32_e32 v79, 32, v79
	v_subrev_nc_u32_e32 v88, 28, v79
	v_sub_nc_u32_e32 v79, 29, v79
	v_lshlrev_b32_e32 v88, v88, v13
	v_cndmask_b32_e32 v79, v89, v79, vcc_lo
	v_and_b32_e32 v88, 7, v88
	v_lshl_add_u32 v79, v79, 23, 0x3b800000
	v_cndmask_b32_e32 v78, v78, v88, vcc_lo
	v_and_b32_e32 v88, 0x80000000, v90
	v_lshlrev_b32_e32 v78, 20, v78
	v_or3_b32 v78, v88, v79, v78
.LBB4_5011:                             ;   in Loop: Header=BB4_4846 Depth=3
	s_or_b32 exec_lo, exec_lo, s18
	v_cmp_gt_i16_sdwa s18, v9, v117 src0_sel:BYTE_0 src1_sel:DWORD
	s_mov_b32 s17, 0
	s_and_saveexec_b32 s22, s18
	s_xor_b32 s18, exec_lo, s22
	s_cbranch_execz .LBB4_5463
; %bb.5012:                             ;   in Loop: Header=BB4_4846 Depth=3
	v_cmp_eq_u16_sdwa s23, v9, v118 src0_sel:BYTE_0 src1_sel:DWORD
	s_mov_b32 s17, -1
	s_and_saveexec_b32 s22, s23
; %bb.5013:                             ;   in Loop: Header=BB4_4846 Depth=3
	s_xor_b32 s17, exec_lo, -1
; %bb.5014:                             ;   in Loop: Header=BB4_4846 Depth=3
	s_or_b32 exec_lo, exec_lo, s22
	s_and_b32 s17, s17, exec_lo
	s_or_saveexec_b32 s18, s18
	v_mov_b32_e32 v79, 0x7f800001
	s_xor_b32 exec_lo, exec_lo, s18
	s_cbranch_execnz .LBB4_5464
.LBB4_5015:                             ;   in Loop: Header=BB4_4846 Depth=3
	s_or_b32 exec_lo, exec_lo, s18
	s_and_saveexec_b32 s18, s17
.LBB4_5016:                             ;   in Loop: Header=BB4_4846 Depth=3
	v_mov_b32_e32 v79, v8
.LBB4_5017:                             ;   in Loop: Header=BB4_4846 Depth=3
	s_or_b32 exec_lo, exec_lo, s18
	v_max_f32_e32 v8, v79, v79
	v_max_f32_e32 v78, v78, v78
	v_min_f32_e32 v79, v78, v8
.LBB4_5018:                             ;   in Loop: Header=BB4_4846 Depth=3
	v_and_b32_e32 v8, 0x7f800000, v79
	v_mov_b32_e32 v78, 0x80
	s_mov_b32 s18, exec_lo
	v_cmpx_ne_u32_e32 0x7f800000, v8
	s_cbranch_execz .LBB4_5026
; %bb.5019:                             ;   in Loop: Header=BB4_4846 Depth=3
	v_mov_b32_e32 v78, 0
	s_mov_b32 s22, exec_lo
	v_cmpx_ne_u32_e32 0, v79
	s_cbranch_execz .LBB4_5025
; %bb.5020:                             ;   in Loop: Header=BB4_4846 Depth=3
	v_bfe_u32 v8, v79, 23, 8
	v_and_b32_e32 v78, 0x7fffff, v79
	v_sub_nc_u32_e32 v88, 0x78, v8
	v_cmp_gt_u32_e32 vcc_lo, 0x79, v8
	v_or_b32_e32 v89, 0x800000, v78
	v_cndmask_b32_e32 v88, 0, v88, vcc_lo
	v_cmp_eq_u32_e32 vcc_lo, 0, v8
	v_add_nc_u32_e32 v8, 0xffffff89, v8
	v_cndmask_b32_e64 v88, v88, 0x77, vcc_lo
	v_cndmask_b32_e32 v78, v89, v78, vcc_lo
	v_cndmask_b32_e64 v8, v8, 0xffffff8a, vcc_lo
	v_lshl_add_u32 v89, 0x100000, v88, -1
	v_lshrrev_b32_e32 v90, v88, v78
	v_lshlrev_b32_e64 v92, v88, 0x80000
	v_add_nc_u32_e32 v88, v88, v8
	v_and_b32_e32 v78, v89, v78
	v_bfe_u32 v91, v90, 20, 1
	v_cmp_eq_u32_e64 s17, v78, v92
	v_add_nc_u32_e32 v89, -1, v91
	v_cndmask_b32_e64 v78, 0, v89, s17
	v_lshrrev_b32_e32 v89, 23, v90
	s_mov_b32 s17, exec_lo
	v_add_nc_u32_e32 v78, v78, v90
	v_xor_b32_e32 v89, 1, v89
	v_and_b32_e32 v8, 0xfffff, v78
	v_add_nc_u32_e32 v78, v8, v90
                                        ; implicit-def: $vgpr8
	v_cmpx_ne_u32_e64 v88, v89
	s_xor_b32 s17, exec_lo, s17
; %bb.5021:                             ;   in Loop: Header=BB4_4846 Depth=3
	v_cmp_lt_u32_e32 vcc_lo, 0xffffff, v78
	v_sub_nc_u32_e32 v8, v88, v89
	v_cndmask_b32_e64 v88, 0, 1, vcc_lo
	v_add_co_ci_u32_e64 v8, null, 0, v8, vcc_lo
	v_lshrrev_b32_e32 v78, v88, v78
; %bb.5022:                             ;   in Loop: Header=BB4_4846 Depth=3
	s_andn2_saveexec_b32 s17, s17
; %bb.5023:                             ;   in Loop: Header=BB4_4846 Depth=3
	v_bfe_u32 v8, v78, 23, 1
; %bb.5024:                             ;   in Loop: Header=BB4_4846 Depth=3
	s_or_b32 exec_lo, exec_lo, s17
	v_lshrrev_b32_e32 v78, 20, v78
	v_min_i32_e32 v88, 15, v8
	v_cmp_gt_i32_e32 vcc_lo, 16, v8
	v_and_b32_sdwa v79, v79, v118 dst_sel:DWORD dst_unused:UNUSED_PAD src0_sel:BYTE_3 src1_sel:DWORD
	v_lshlrev_b32_e32 v88, 3, v88
	v_cndmask_b32_e32 v78, 7, v78, vcc_lo
	v_and_b32_e32 v88, 0xf8, v88
	v_and_b32_e32 v89, 7, v78
	v_or_b32_e32 v8, v8, v78
	v_or3_b32 v78, v88, v79, v89
	v_cmp_ne_u32_e32 vcc_lo, 0, v8
	v_cndmask_b32_e32 v78, 0, v78, vcc_lo
.LBB4_5025:                             ;   in Loop: Header=BB4_4846 Depth=3
	s_or_b32 exec_lo, exec_lo, s22
.LBB4_5026:                             ;   in Loop: Header=BB4_4846 Depth=3
	s_or_b32 exec_lo, exec_lo, s18
	v_and_b32_sdwa v8, v119, v9 dst_sel:DWORD dst_unused:UNUSED_PAD src0_sel:DWORD src1_sel:BYTE_1
	v_cmp_gt_i16_sdwa s18, v13, v117 src0_sel:BYTE_1 src1_sel:DWORD
	s_mov_b32 s17, -1
	v_and_b32_e32 v79, 7, v8
	v_bfe_u32 v90, v8, 3, 4
	v_ffbh_u32_e32 v88, v79
	v_cmp_eq_u32_e32 vcc_lo, 0, v90
	v_min_u32_e32 v88, 32, v88
	v_subrev_nc_u32_e32 v89, 28, v88
	v_sub_nc_u32_e32 v88, 29, v88
	v_lshlrev_b32_e32 v8, v89, v8
	v_lshlrev_b32_sdwa v89, v41, v9 dst_sel:DWORD dst_unused:UNUSED_PAD src0_sel:DWORD src1_sel:BYTE_1
	v_cndmask_b32_e32 v88, v90, v88, vcc_lo
	v_and_b32_e32 v8, 7, v8
	v_lshl_add_u32 v88, v88, 23, 0x3b800000
	v_cndmask_b32_e32 v8, v79, v8, vcc_lo
	v_and_b32_e32 v79, 0x80000000, v89
	s_and_b32 vcc_lo, exec_lo, s75
	v_lshlrev_b32_e32 v8, 20, v8
	v_or3_b32 v8, v79, v88, v8
                                        ; implicit-def: $vgpr88
	s_cbranch_vccz .LBB4_5040
; %bb.5027:                             ;   in Loop: Header=BB4_4846 Depth=3
	s_mov_b32 s17, 0
	s_and_saveexec_b32 s22, s18
	s_xor_b32 s18, exec_lo, s22
	s_cbranch_execz .LBB4_5465
; %bb.5028:                             ;   in Loop: Header=BB4_4846 Depth=3
	v_cmp_eq_u16_sdwa s23, v13, v118 src0_sel:BYTE_1 src1_sel:DWORD
	s_mov_b32 s17, -1
	s_and_saveexec_b32 s22, s23
; %bb.5029:                             ;   in Loop: Header=BB4_4846 Depth=3
	s_xor_b32 s17, exec_lo, -1
; %bb.5030:                             ;   in Loop: Header=BB4_4846 Depth=3
	s_or_b32 exec_lo, exec_lo, s22
	s_and_b32 s17, s17, exec_lo
	s_or_saveexec_b32 s18, s18
	v_mov_b32_e32 v79, 0x7f800001
	s_xor_b32 exec_lo, exec_lo, s18
	s_cbranch_execnz .LBB4_5466
.LBB4_5031:                             ;   in Loop: Header=BB4_4846 Depth=3
	s_or_b32 exec_lo, exec_lo, s18
	s_and_saveexec_b32 s18, s17
	s_cbranch_execz .LBB4_5033
.LBB4_5032:                             ;   in Loop: Header=BB4_4846 Depth=3
	v_and_b32_sdwa v79, v119, v13 dst_sel:DWORD dst_unused:UNUSED_PAD src0_sel:DWORD src1_sel:BYTE_1
	v_and_b32_e32 v88, 7, v79
	v_bfe_u32 v91, v79, 3, 4
	v_ffbh_u32_e32 v89, v88
	v_cmp_eq_u32_e32 vcc_lo, 0, v91
	v_min_u32_e32 v89, 32, v89
	v_subrev_nc_u32_e32 v90, 28, v89
	v_sub_nc_u32_e32 v89, 29, v89
	v_lshlrev_b32_e32 v79, v90, v79
	v_lshlrev_b32_e32 v90, 16, v13
	v_cndmask_b32_e32 v89, v91, v89, vcc_lo
	v_and_b32_e32 v79, 7, v79
	v_lshl_add_u32 v89, v89, 23, 0x3b800000
	v_cndmask_b32_e32 v79, v88, v79, vcc_lo
	v_and_b32_e32 v88, 0x80000000, v90
	v_lshlrev_b32_e32 v79, 20, v79
	v_or3_b32 v79, v88, v89, v79
.LBB4_5033:                             ;   in Loop: Header=BB4_4846 Depth=3
	s_or_b32 exec_lo, exec_lo, s18
	v_cmp_gt_i16_sdwa s18, v9, v117 src0_sel:BYTE_1 src1_sel:DWORD
	s_mov_b32 s17, 0
	s_and_saveexec_b32 s22, s18
	s_xor_b32 s18, exec_lo, s22
	s_cbranch_execz .LBB4_5467
; %bb.5034:                             ;   in Loop: Header=BB4_4846 Depth=3
	v_cmp_eq_u16_sdwa s23, v9, v118 src0_sel:BYTE_1 src1_sel:DWORD
	s_mov_b32 s17, -1
	s_and_saveexec_b32 s22, s23
; %bb.5035:                             ;   in Loop: Header=BB4_4846 Depth=3
	s_xor_b32 s17, exec_lo, -1
; %bb.5036:                             ;   in Loop: Header=BB4_4846 Depth=3
	s_or_b32 exec_lo, exec_lo, s22
	s_and_b32 s17, s17, exec_lo
	s_or_saveexec_b32 s18, s18
	v_mov_b32_e32 v88, 0x7f800001
	s_xor_b32 exec_lo, exec_lo, s18
	s_cbranch_execnz .LBB4_5468
.LBB4_5037:                             ;   in Loop: Header=BB4_4846 Depth=3
	s_or_b32 exec_lo, exec_lo, s18
	s_and_saveexec_b32 s18, s17
.LBB4_5038:                             ;   in Loop: Header=BB4_4846 Depth=3
	v_mov_b32_e32 v88, v8
.LBB4_5039:                             ;   in Loop: Header=BB4_4846 Depth=3
	s_or_b32 exec_lo, exec_lo, s18
	v_max_f32_e32 v88, v88, v88
	v_max_f32_e32 v79, v79, v79
	s_mov_b32 s17, 0
	v_max_f32_e32 v88, v79, v88
.LBB4_5040:                             ;   in Loop: Header=BB4_4846 Depth=3
	s_and_b32 vcc_lo, exec_lo, s17
	s_cbranch_vccz .LBB4_5054
; %bb.5041:                             ;   in Loop: Header=BB4_4846 Depth=3
	v_cmp_gt_i16_sdwa s18, v13, v117 src0_sel:BYTE_1 src1_sel:DWORD
	s_mov_b32 s17, 0
	s_and_saveexec_b32 s22, s18
	s_xor_b32 s18, exec_lo, s22
	s_cbranch_execz .LBB4_5469
; %bb.5042:                             ;   in Loop: Header=BB4_4846 Depth=3
	v_cmp_eq_u16_sdwa s23, v13, v118 src0_sel:BYTE_1 src1_sel:DWORD
	s_mov_b32 s17, -1
	s_and_saveexec_b32 s22, s23
; %bb.5043:                             ;   in Loop: Header=BB4_4846 Depth=3
	s_xor_b32 s17, exec_lo, -1
; %bb.5044:                             ;   in Loop: Header=BB4_4846 Depth=3
	s_or_b32 exec_lo, exec_lo, s22
	s_and_b32 s17, s17, exec_lo
	s_or_saveexec_b32 s18, s18
	v_mov_b32_e32 v79, 0x7f800001
	s_xor_b32 exec_lo, exec_lo, s18
	s_cbranch_execnz .LBB4_5470
.LBB4_5045:                             ;   in Loop: Header=BB4_4846 Depth=3
	s_or_b32 exec_lo, exec_lo, s18
	s_and_saveexec_b32 s18, s17
	s_cbranch_execz .LBB4_5047
.LBB4_5046:                             ;   in Loop: Header=BB4_4846 Depth=3
	v_and_b32_sdwa v79, v119, v13 dst_sel:DWORD dst_unused:UNUSED_PAD src0_sel:DWORD src1_sel:BYTE_1
	v_and_b32_e32 v88, 7, v79
	v_bfe_u32 v91, v79, 3, 4
	v_ffbh_u32_e32 v89, v88
	v_cmp_eq_u32_e32 vcc_lo, 0, v91
	v_min_u32_e32 v89, 32, v89
	v_subrev_nc_u32_e32 v90, 28, v89
	v_sub_nc_u32_e32 v89, 29, v89
	v_lshlrev_b32_e32 v79, v90, v79
	v_lshlrev_b32_e32 v90, 16, v13
	v_cndmask_b32_e32 v89, v91, v89, vcc_lo
	v_and_b32_e32 v79, 7, v79
	v_lshl_add_u32 v89, v89, 23, 0x3b800000
	v_cndmask_b32_e32 v79, v88, v79, vcc_lo
	v_and_b32_e32 v88, 0x80000000, v90
	v_lshlrev_b32_e32 v79, 20, v79
	v_or3_b32 v79, v88, v89, v79
.LBB4_5047:                             ;   in Loop: Header=BB4_4846 Depth=3
	s_or_b32 exec_lo, exec_lo, s18
	v_cmp_gt_i16_sdwa s18, v9, v117 src0_sel:BYTE_1 src1_sel:DWORD
	s_mov_b32 s17, 0
	s_and_saveexec_b32 s22, s18
	s_xor_b32 s18, exec_lo, s22
	s_cbranch_execz .LBB4_5471
; %bb.5048:                             ;   in Loop: Header=BB4_4846 Depth=3
	v_cmp_eq_u16_sdwa s23, v9, v118 src0_sel:BYTE_1 src1_sel:DWORD
	s_mov_b32 s17, -1
	s_and_saveexec_b32 s22, s23
; %bb.5049:                             ;   in Loop: Header=BB4_4846 Depth=3
	s_xor_b32 s17, exec_lo, -1
; %bb.5050:                             ;   in Loop: Header=BB4_4846 Depth=3
	s_or_b32 exec_lo, exec_lo, s22
	s_and_b32 s17, s17, exec_lo
	s_or_saveexec_b32 s18, s18
	v_mov_b32_e32 v88, 0x7f800001
	s_xor_b32 exec_lo, exec_lo, s18
	s_cbranch_execnz .LBB4_5472
.LBB4_5051:                             ;   in Loop: Header=BB4_4846 Depth=3
	s_or_b32 exec_lo, exec_lo, s18
	s_and_saveexec_b32 s18, s17
.LBB4_5052:                             ;   in Loop: Header=BB4_4846 Depth=3
	v_mov_b32_e32 v88, v8
.LBB4_5053:                             ;   in Loop: Header=BB4_4846 Depth=3
	s_or_b32 exec_lo, exec_lo, s18
	v_max_f32_e32 v8, v88, v88
	v_max_f32_e32 v79, v79, v79
	v_min_f32_e32 v88, v79, v8
.LBB4_5054:                             ;   in Loop: Header=BB4_4846 Depth=3
	v_and_b32_e32 v8, 0x7f800000, v88
	v_mov_b32_e32 v79, 0x8000
	s_mov_b32 s18, exec_lo
	v_cmpx_ne_u32_e32 0x7f800000, v8
	s_cbranch_execz .LBB4_5062
; %bb.5055:                             ;   in Loop: Header=BB4_4846 Depth=3
	v_mov_b32_e32 v79, 0
	s_mov_b32 s22, exec_lo
	v_cmpx_ne_u32_e32 0, v88
	s_cbranch_execz .LBB4_5061
; %bb.5056:                             ;   in Loop: Header=BB4_4846 Depth=3
	v_bfe_u32 v8, v88, 23, 8
	v_and_b32_e32 v79, 0x7fffff, v88
	v_sub_nc_u32_e32 v89, 0x78, v8
	v_cmp_gt_u32_e32 vcc_lo, 0x79, v8
	v_or_b32_e32 v90, 0x800000, v79
	v_cndmask_b32_e32 v89, 0, v89, vcc_lo
	v_cmp_eq_u32_e32 vcc_lo, 0, v8
	v_add_nc_u32_e32 v8, 0xffffff89, v8
	v_cndmask_b32_e64 v89, v89, 0x77, vcc_lo
	v_cndmask_b32_e32 v79, v90, v79, vcc_lo
	v_cndmask_b32_e64 v8, v8, 0xffffff8a, vcc_lo
	v_lshl_add_u32 v90, 0x100000, v89, -1
	v_lshrrev_b32_e32 v91, v89, v79
	v_lshlrev_b32_e64 v93, v89, 0x80000
	v_add_nc_u32_e32 v89, v89, v8
	v_and_b32_e32 v79, v90, v79
	v_bfe_u32 v92, v91, 20, 1
	v_cmp_eq_u32_e64 s17, v79, v93
	v_add_nc_u32_e32 v90, -1, v92
	v_cndmask_b32_e64 v79, 0, v90, s17
	v_lshrrev_b32_e32 v90, 23, v91
	s_mov_b32 s17, exec_lo
	v_add_nc_u32_e32 v79, v79, v91
	v_xor_b32_e32 v90, 1, v90
	v_and_b32_e32 v8, 0xfffff, v79
	v_add_nc_u32_e32 v79, v8, v91
                                        ; implicit-def: $vgpr8
	v_cmpx_ne_u32_e64 v89, v90
	s_xor_b32 s17, exec_lo, s17
; %bb.5057:                             ;   in Loop: Header=BB4_4846 Depth=3
	v_cmp_lt_u32_e32 vcc_lo, 0xffffff, v79
	v_sub_nc_u32_e32 v8, v89, v90
	v_cndmask_b32_e64 v89, 0, 1, vcc_lo
	v_add_co_ci_u32_e64 v8, null, 0, v8, vcc_lo
	v_lshrrev_b32_e32 v79, v89, v79
; %bb.5058:                             ;   in Loop: Header=BB4_4846 Depth=3
	s_andn2_saveexec_b32 s17, s17
; %bb.5059:                             ;   in Loop: Header=BB4_4846 Depth=3
	v_bfe_u32 v8, v79, 23, 1
; %bb.5060:                             ;   in Loop: Header=BB4_4846 Depth=3
	s_or_b32 exec_lo, exec_lo, s17
	v_lshrrev_b32_e32 v79, 20, v79
	v_min_i32_e32 v89, 15, v8
	v_cmp_gt_i32_e32 vcc_lo, 16, v8
	v_and_b32_sdwa v88, v88, v118 dst_sel:DWORD dst_unused:UNUSED_PAD src0_sel:BYTE_3 src1_sel:DWORD
	v_lshlrev_b32_e32 v89, 3, v89
	v_cndmask_b32_e32 v79, 7, v79, vcc_lo
	v_and_b32_e32 v89, 0xf8, v89
	v_and_b32_e32 v90, 7, v79
	v_or_b32_e32 v8, v8, v79
	v_or3_b32 v88, v88, v89, v90
	v_cmp_ne_u32_e32 vcc_lo, 0, v8
	v_lshlrev_b32_e32 v79, 8, v88
	v_cndmask_b32_e32 v79, 0, v79, vcc_lo
.LBB4_5061:                             ;   in Loop: Header=BB4_4846 Depth=3
	s_or_b32 exec_lo, exec_lo, s22
.LBB4_5062:                             ;   in Loop: Header=BB4_4846 Depth=3
	s_or_b32 exec_lo, exec_lo, s18
	v_bfe_u32 v8, v9, 16, 3
	v_bfe_u32 v90, v9, 19, 4
	v_lshlrev_b32_e32 v91, 8, v9
	s_mov_b32 s18, -1
	v_ffbh_u32_e32 v88, v8
	v_cmp_eq_u32_e32 vcc_lo, 0, v90
	v_min_u32_e32 v88, 32, v88
	v_subrev_nc_u32_e32 v89, 28, v88
	v_sub_nc_u32_e32 v88, 29, v88
	v_lshlrev_b32_sdwa v89, v89, v9 dst_sel:DWORD dst_unused:UNUSED_PAD src0_sel:DWORD src1_sel:WORD_1
	v_cndmask_b32_e32 v88, v90, v88, vcc_lo
	v_and_b32_e32 v89, 7, v89
	v_lshl_add_u32 v90, v88, 23, 0x3b800000
	v_and_b32_sdwa v88, v13, v40 dst_sel:DWORD dst_unused:UNUSED_PAD src0_sel:WORD_1 src1_sel:DWORD
	v_cndmask_b32_e32 v8, v8, v89, vcc_lo
	v_and_b32_e32 v89, 0x80000000, v91
	v_cmp_lt_i16_e64 s17, 0x7f, v88
	s_and_b32 vcc_lo, exec_lo, s75
	v_lshlrev_b32_e32 v8, 20, v8
	v_or3_b32 v8, v89, v90, v8
                                        ; implicit-def: $vgpr89
	s_cbranch_vccz .LBB4_5076
; %bb.5063:                             ;   in Loop: Header=BB4_4846 Depth=3
	s_mov_b32 s18, 0
	s_and_saveexec_b32 s22, s17
	s_xor_b32 s17, exec_lo, s22
	s_cbranch_execz .LBB4_5473
; %bb.5064:                             ;   in Loop: Header=BB4_4846 Depth=3
	s_mov_b32 s18, -1
	s_mov_b32 s22, exec_lo
	v_cmpx_eq_u16_e32 0x80, v88
; %bb.5065:                             ;   in Loop: Header=BB4_4846 Depth=3
	s_xor_b32 s18, exec_lo, -1
; %bb.5066:                             ;   in Loop: Header=BB4_4846 Depth=3
	s_or_b32 exec_lo, exec_lo, s22
	s_and_b32 s18, s18, exec_lo
	s_or_saveexec_b32 s17, s17
	v_mov_b32_e32 v89, 0x7f800001
	s_xor_b32 exec_lo, exec_lo, s17
	s_cbranch_execnz .LBB4_5474
.LBB4_5067:                             ;   in Loop: Header=BB4_4846 Depth=3
	s_or_b32 exec_lo, exec_lo, s17
	s_and_saveexec_b32 s17, s18
	s_cbranch_execz .LBB4_5069
.LBB4_5068:                             ;   in Loop: Header=BB4_4846 Depth=3
	v_bfe_u32 v89, v13, 16, 3
	v_bfe_u32 v92, v13, 19, 4
	v_lshlrev_b32_sdwa v93, v41, v13 dst_sel:DWORD dst_unused:UNUSED_PAD src0_sel:DWORD src1_sel:WORD_1
	v_ffbh_u32_e32 v90, v89
	v_cmp_eq_u32_e32 vcc_lo, 0, v92
	v_min_u32_e32 v90, 32, v90
	v_subrev_nc_u32_e32 v91, 28, v90
	v_sub_nc_u32_e32 v90, 29, v90
	v_lshlrev_b32_sdwa v91, v91, v13 dst_sel:DWORD dst_unused:UNUSED_PAD src0_sel:DWORD src1_sel:WORD_1
	v_cndmask_b32_e32 v90, v92, v90, vcc_lo
	v_and_b32_e32 v91, 7, v91
	v_lshl_add_u32 v90, v90, 23, 0x3b800000
	v_cndmask_b32_e32 v89, v89, v91, vcc_lo
	v_and_b32_e32 v91, 0x80000000, v93
	v_lshlrev_b32_e32 v89, 20, v89
	v_or3_b32 v89, v91, v90, v89
.LBB4_5069:                             ;   in Loop: Header=BB4_4846 Depth=3
	s_or_b32 exec_lo, exec_lo, s17
	v_and_b32_sdwa v91, v9, v40 dst_sel:DWORD dst_unused:UNUSED_PAD src0_sel:WORD_1 src1_sel:DWORD
	s_mov_b32 s17, 0
	s_mov_b32 s18, exec_lo
	v_cmpx_lt_i16_e32 0x7f, v91
	s_xor_b32 s18, exec_lo, s18
	s_cbranch_execz .LBB4_5475
; %bb.5070:                             ;   in Loop: Header=BB4_4846 Depth=3
	s_mov_b32 s17, -1
	s_mov_b32 s22, exec_lo
	v_cmpx_eq_u16_e32 0x80, v91
; %bb.5071:                             ;   in Loop: Header=BB4_4846 Depth=3
	s_xor_b32 s17, exec_lo, -1
; %bb.5072:                             ;   in Loop: Header=BB4_4846 Depth=3
	s_or_b32 exec_lo, exec_lo, s22
	s_and_b32 s17, s17, exec_lo
                                        ; implicit-def: $vgpr91
	s_or_saveexec_b32 s18, s18
	v_mov_b32_e32 v90, 0x7f800001
	s_xor_b32 exec_lo, exec_lo, s18
	s_cbranch_execnz .LBB4_5476
.LBB4_5073:                             ;   in Loop: Header=BB4_4846 Depth=3
	s_or_b32 exec_lo, exec_lo, s18
	s_and_saveexec_b32 s18, s17
.LBB4_5074:                             ;   in Loop: Header=BB4_4846 Depth=3
	v_mov_b32_e32 v90, v8
.LBB4_5075:                             ;   in Loop: Header=BB4_4846 Depth=3
	s_or_b32 exec_lo, exec_lo, s18
	v_max_f32_e32 v90, v90, v90
	v_max_f32_e32 v89, v89, v89
	s_mov_b32 s18, 0
	v_max_f32_e32 v89, v89, v90
.LBB4_5076:                             ;   in Loop: Header=BB4_4846 Depth=3
	s_and_b32 vcc_lo, exec_lo, s18
	s_cbranch_vccz .LBB4_5090
; %bb.5077:                             ;   in Loop: Header=BB4_4846 Depth=3
	s_mov_b32 s17, 0
	s_mov_b32 s18, exec_lo
	v_cmpx_lt_i16_e32 0x7f, v88
	s_xor_b32 s18, exec_lo, s18
	s_cbranch_execz .LBB4_5477
; %bb.5078:                             ;   in Loop: Header=BB4_4846 Depth=3
	s_mov_b32 s17, -1
	s_mov_b32 s22, exec_lo
	v_cmpx_eq_u16_e32 0x80, v88
; %bb.5079:                             ;   in Loop: Header=BB4_4846 Depth=3
	s_xor_b32 s17, exec_lo, -1
; %bb.5080:                             ;   in Loop: Header=BB4_4846 Depth=3
	s_or_b32 exec_lo, exec_lo, s22
	s_and_b32 s17, s17, exec_lo
                                        ; implicit-def: $vgpr88
	s_or_saveexec_b32 s18, s18
	v_mov_b32_e32 v89, 0x7f800001
	s_xor_b32 exec_lo, exec_lo, s18
	s_cbranch_execnz .LBB4_5478
.LBB4_5081:                             ;   in Loop: Header=BB4_4846 Depth=3
	s_or_b32 exec_lo, exec_lo, s18
	s_and_saveexec_b32 s18, s17
	s_cbranch_execz .LBB4_5083
.LBB4_5082:                             ;   in Loop: Header=BB4_4846 Depth=3
	v_bfe_u32 v88, v13, 16, 3
	v_bfe_u32 v91, v13, 19, 4
	v_lshlrev_b32_sdwa v92, v41, v13 dst_sel:DWORD dst_unused:UNUSED_PAD src0_sel:DWORD src1_sel:WORD_1
	v_ffbh_u32_e32 v89, v88
	v_cmp_eq_u32_e32 vcc_lo, 0, v91
	v_min_u32_e32 v89, 32, v89
	v_subrev_nc_u32_e32 v90, 28, v89
	v_sub_nc_u32_e32 v89, 29, v89
	v_lshlrev_b32_sdwa v90, v90, v13 dst_sel:DWORD dst_unused:UNUSED_PAD src0_sel:DWORD src1_sel:WORD_1
	v_cndmask_b32_e32 v89, v91, v89, vcc_lo
	v_and_b32_e32 v90, 7, v90
	v_lshl_add_u32 v89, v89, 23, 0x3b800000
	v_cndmask_b32_e32 v88, v88, v90, vcc_lo
	v_and_b32_e32 v90, 0x80000000, v92
	v_lshlrev_b32_e32 v88, 20, v88
	v_or3_b32 v89, v90, v89, v88
.LBB4_5083:                             ;   in Loop: Header=BB4_4846 Depth=3
	s_or_b32 exec_lo, exec_lo, s18
	v_and_b32_sdwa v90, v9, v40 dst_sel:DWORD dst_unused:UNUSED_PAD src0_sel:WORD_1 src1_sel:DWORD
	s_mov_b32 s17, 0
	s_mov_b32 s18, exec_lo
	v_cmpx_lt_i16_e32 0x7f, v90
	s_xor_b32 s18, exec_lo, s18
	s_cbranch_execz .LBB4_5479
; %bb.5084:                             ;   in Loop: Header=BB4_4846 Depth=3
	s_mov_b32 s17, -1
	s_mov_b32 s22, exec_lo
	v_cmpx_eq_u16_e32 0x80, v90
; %bb.5085:                             ;   in Loop: Header=BB4_4846 Depth=3
	s_xor_b32 s17, exec_lo, -1
; %bb.5086:                             ;   in Loop: Header=BB4_4846 Depth=3
	s_or_b32 exec_lo, exec_lo, s22
	s_and_b32 s17, s17, exec_lo
                                        ; implicit-def: $vgpr90
	s_or_saveexec_b32 s18, s18
	v_mov_b32_e32 v88, 0x7f800001
	s_xor_b32 exec_lo, exec_lo, s18
	s_cbranch_execnz .LBB4_5480
.LBB4_5087:                             ;   in Loop: Header=BB4_4846 Depth=3
	s_or_b32 exec_lo, exec_lo, s18
	s_and_saveexec_b32 s18, s17
.LBB4_5088:                             ;   in Loop: Header=BB4_4846 Depth=3
	v_mov_b32_e32 v88, v8
.LBB4_5089:                             ;   in Loop: Header=BB4_4846 Depth=3
	s_or_b32 exec_lo, exec_lo, s18
	v_max_f32_e32 v8, v88, v88
	v_max_f32_e32 v88, v89, v89
	v_min_f32_e32 v89, v88, v8
.LBB4_5090:                             ;   in Loop: Header=BB4_4846 Depth=3
	v_and_b32_e32 v8, 0x7f800000, v89
	v_mov_b32_e32 v88, 0x80
	s_mov_b32 s18, exec_lo
	v_cmpx_ne_u32_e32 0x7f800000, v8
	s_cbranch_execz .LBB4_5098
; %bb.5091:                             ;   in Loop: Header=BB4_4846 Depth=3
	v_mov_b32_e32 v88, 0
	s_mov_b32 s22, exec_lo
	v_cmpx_ne_u32_e32 0, v89
	s_cbranch_execz .LBB4_5097
; %bb.5092:                             ;   in Loop: Header=BB4_4846 Depth=3
	v_bfe_u32 v8, v89, 23, 8
	v_and_b32_e32 v88, 0x7fffff, v89
	v_sub_nc_u32_e32 v90, 0x78, v8
	v_cmp_gt_u32_e32 vcc_lo, 0x79, v8
	v_or_b32_e32 v91, 0x800000, v88
	v_cndmask_b32_e32 v90, 0, v90, vcc_lo
	v_cmp_eq_u32_e32 vcc_lo, 0, v8
	v_add_nc_u32_e32 v8, 0xffffff89, v8
	v_cndmask_b32_e64 v90, v90, 0x77, vcc_lo
	v_cndmask_b32_e32 v88, v91, v88, vcc_lo
	v_cndmask_b32_e64 v8, v8, 0xffffff8a, vcc_lo
	v_lshl_add_u32 v91, 0x100000, v90, -1
	v_lshrrev_b32_e32 v92, v90, v88
	v_lshlrev_b32_e64 v94, v90, 0x80000
	v_add_nc_u32_e32 v90, v90, v8
	v_and_b32_e32 v88, v91, v88
	v_bfe_u32 v93, v92, 20, 1
	v_cmp_eq_u32_e64 s17, v88, v94
	v_add_nc_u32_e32 v91, -1, v93
	v_cndmask_b32_e64 v88, 0, v91, s17
	v_lshrrev_b32_e32 v91, 23, v92
	s_mov_b32 s17, exec_lo
	v_add_nc_u32_e32 v88, v88, v92
	v_xor_b32_e32 v91, 1, v91
	v_and_b32_e32 v8, 0xfffff, v88
	v_add_nc_u32_e32 v88, v8, v92
                                        ; implicit-def: $vgpr8
	v_cmpx_ne_u32_e64 v90, v91
	s_xor_b32 s17, exec_lo, s17
; %bb.5093:                             ;   in Loop: Header=BB4_4846 Depth=3
	v_cmp_lt_u32_e32 vcc_lo, 0xffffff, v88
	v_sub_nc_u32_e32 v8, v90, v91
	v_cndmask_b32_e64 v90, 0, 1, vcc_lo
	v_add_co_ci_u32_e64 v8, null, 0, v8, vcc_lo
	v_lshrrev_b32_e32 v88, v90, v88
; %bb.5094:                             ;   in Loop: Header=BB4_4846 Depth=3
	s_andn2_saveexec_b32 s17, s17
; %bb.5095:                             ;   in Loop: Header=BB4_4846 Depth=3
	v_bfe_u32 v8, v88, 23, 1
; %bb.5096:                             ;   in Loop: Header=BB4_4846 Depth=3
	s_or_b32 exec_lo, exec_lo, s17
	v_lshrrev_b32_e32 v88, 20, v88
	v_min_i32_e32 v90, 15, v8
	v_cmp_gt_i32_e32 vcc_lo, 16, v8
	v_and_b32_sdwa v89, v89, v118 dst_sel:DWORD dst_unused:UNUSED_PAD src0_sel:BYTE_3 src1_sel:DWORD
	v_lshlrev_b32_e32 v90, 3, v90
	v_cndmask_b32_e32 v88, 7, v88, vcc_lo
	v_and_b32_e32 v90, 0xf8, v90
	v_and_b32_e32 v91, 7, v88
	v_or_b32_e32 v8, v8, v88
	v_or3_b32 v88, v90, v89, v91
	v_cmp_ne_u32_e32 vcc_lo, 0, v8
	v_cndmask_b32_e32 v88, 0, v88, vcc_lo
.LBB4_5097:                             ;   in Loop: Header=BB4_4846 Depth=3
	s_or_b32 exec_lo, exec_lo, s22
.LBB4_5098:                             ;   in Loop: Header=BB4_4846 Depth=3
	s_or_b32 exec_lo, exec_lo, s18
	v_bfe_u32 v8, v9, 24, 3
	v_bfe_u32 v91, v9, 27, 4
	v_cmp_gt_i16_sdwa s18, v13, v117 src0_sel:BYTE_3 src1_sel:DWORD
	s_mov_b32 s17, -1
	v_ffbh_u32_e32 v89, v8
	v_cmp_eq_u32_e32 vcc_lo, 0, v91
	v_min_u32_e32 v89, 32, v89
	v_subrev_nc_u32_e32 v90, 28, v89
	v_sub_nc_u32_e32 v89, 29, v89
	v_lshlrev_b32_sdwa v90, v90, v9 dst_sel:DWORD dst_unused:UNUSED_PAD src0_sel:DWORD src1_sel:BYTE_3
	v_cndmask_b32_e32 v89, v91, v89, vcc_lo
	v_and_b32_e32 v90, 7, v90
	v_lshl_add_u32 v89, v89, 23, 0x3b800000
	v_cndmask_b32_e32 v8, v8, v90, vcc_lo
	v_and_b32_e32 v90, 0x80000000, v9
	s_and_b32 vcc_lo, exec_lo, s75
	v_lshlrev_b32_e32 v8, 20, v8
	v_or3_b32 v8, v90, v89, v8
                                        ; implicit-def: $vgpr89
	s_cbranch_vccz .LBB4_5112
; %bb.5099:                             ;   in Loop: Header=BB4_4846 Depth=3
	s_mov_b32 s17, 0
	s_and_saveexec_b32 s22, s18
	s_xor_b32 s18, exec_lo, s22
	s_cbranch_execz .LBB4_5481
; %bb.5100:                             ;   in Loop: Header=BB4_4846 Depth=3
	v_cmp_eq_u16_sdwa s23, v13, v118 src0_sel:BYTE_3 src1_sel:DWORD
	s_mov_b32 s17, -1
	s_and_saveexec_b32 s22, s23
; %bb.5101:                             ;   in Loop: Header=BB4_4846 Depth=3
	s_xor_b32 s17, exec_lo, -1
; %bb.5102:                             ;   in Loop: Header=BB4_4846 Depth=3
	s_or_b32 exec_lo, exec_lo, s22
	s_and_b32 s17, s17, exec_lo
	s_or_saveexec_b32 s18, s18
	v_mov_b32_e32 v89, 0x7f800001
	s_xor_b32 exec_lo, exec_lo, s18
	s_cbranch_execnz .LBB4_5482
.LBB4_5103:                             ;   in Loop: Header=BB4_4846 Depth=3
	s_or_b32 exec_lo, exec_lo, s18
	s_and_saveexec_b32 s18, s17
	s_cbranch_execz .LBB4_5105
.LBB4_5104:                             ;   in Loop: Header=BB4_4846 Depth=3
	v_bfe_u32 v89, v13, 24, 3
	v_bfe_u32 v92, v13, 27, 4
	v_ffbh_u32_e32 v90, v89
	v_cmp_eq_u32_e32 vcc_lo, 0, v92
	v_min_u32_e32 v90, 32, v90
	v_subrev_nc_u32_e32 v91, 28, v90
	v_sub_nc_u32_e32 v90, 29, v90
	v_lshlrev_b32_sdwa v91, v91, v13 dst_sel:DWORD dst_unused:UNUSED_PAD src0_sel:DWORD src1_sel:BYTE_3
	v_cndmask_b32_e32 v90, v92, v90, vcc_lo
	v_and_b32_e32 v91, 7, v91
	v_lshl_add_u32 v90, v90, 23, 0x3b800000
	v_cndmask_b32_e32 v89, v89, v91, vcc_lo
	v_and_b32_e32 v91, 0x80000000, v13
	v_lshlrev_b32_e32 v89, 20, v89
	v_or3_b32 v89, v91, v90, v89
.LBB4_5105:                             ;   in Loop: Header=BB4_4846 Depth=3
	s_or_b32 exec_lo, exec_lo, s18
	v_cmp_gt_i16_sdwa s18, v9, v117 src0_sel:BYTE_3 src1_sel:DWORD
	s_mov_b32 s17, 0
	s_and_saveexec_b32 s22, s18
	s_xor_b32 s18, exec_lo, s22
	s_cbranch_execz .LBB4_5483
; %bb.5106:                             ;   in Loop: Header=BB4_4846 Depth=3
	v_cmp_eq_u16_sdwa s23, v9, v118 src0_sel:BYTE_3 src1_sel:DWORD
	s_mov_b32 s17, -1
	s_and_saveexec_b32 s22, s23
; %bb.5107:                             ;   in Loop: Header=BB4_4846 Depth=3
	s_xor_b32 s17, exec_lo, -1
; %bb.5108:                             ;   in Loop: Header=BB4_4846 Depth=3
	s_or_b32 exec_lo, exec_lo, s22
	s_and_b32 s17, s17, exec_lo
	s_or_saveexec_b32 s18, s18
	v_mov_b32_e32 v90, 0x7f800001
	s_xor_b32 exec_lo, exec_lo, s18
	s_cbranch_execnz .LBB4_5484
.LBB4_5109:                             ;   in Loop: Header=BB4_4846 Depth=3
	s_or_b32 exec_lo, exec_lo, s18
	s_and_saveexec_b32 s18, s17
.LBB4_5110:                             ;   in Loop: Header=BB4_4846 Depth=3
	v_mov_b32_e32 v90, v8
.LBB4_5111:                             ;   in Loop: Header=BB4_4846 Depth=3
	s_or_b32 exec_lo, exec_lo, s18
	v_max_f32_e32 v90, v90, v90
	v_max_f32_e32 v89, v89, v89
	s_mov_b32 s17, 0
	v_max_f32_e32 v89, v89, v90
.LBB4_5112:                             ;   in Loop: Header=BB4_4846 Depth=3
	s_and_b32 vcc_lo, exec_lo, s17
	s_cbranch_vccz .LBB4_5126
; %bb.5113:                             ;   in Loop: Header=BB4_4846 Depth=3
	v_cmp_gt_i16_sdwa s18, v13, v117 src0_sel:BYTE_3 src1_sel:DWORD
	s_mov_b32 s17, 0
	s_and_saveexec_b32 s22, s18
	s_xor_b32 s18, exec_lo, s22
	s_cbranch_execz .LBB4_5485
; %bb.5114:                             ;   in Loop: Header=BB4_4846 Depth=3
	v_cmp_eq_u16_sdwa s23, v13, v118 src0_sel:BYTE_3 src1_sel:DWORD
	s_mov_b32 s17, -1
	s_and_saveexec_b32 s22, s23
; %bb.5115:                             ;   in Loop: Header=BB4_4846 Depth=3
	s_xor_b32 s17, exec_lo, -1
; %bb.5116:                             ;   in Loop: Header=BB4_4846 Depth=3
	s_or_b32 exec_lo, exec_lo, s22
	s_and_b32 s17, s17, exec_lo
	s_or_saveexec_b32 s18, s18
	v_mov_b32_e32 v89, 0x7f800001
	s_xor_b32 exec_lo, exec_lo, s18
	s_cbranch_execnz .LBB4_5486
.LBB4_5117:                             ;   in Loop: Header=BB4_4846 Depth=3
	s_or_b32 exec_lo, exec_lo, s18
	s_and_saveexec_b32 s18, s17
	s_cbranch_execz .LBB4_5119
.LBB4_5118:                             ;   in Loop: Header=BB4_4846 Depth=3
	v_bfe_u32 v89, v13, 24, 3
	v_bfe_u32 v92, v13, 27, 4
	v_ffbh_u32_e32 v90, v89
	v_cmp_eq_u32_e32 vcc_lo, 0, v92
	v_min_u32_e32 v90, 32, v90
	v_subrev_nc_u32_e32 v91, 28, v90
	v_sub_nc_u32_e32 v90, 29, v90
	v_lshlrev_b32_sdwa v91, v91, v13 dst_sel:DWORD dst_unused:UNUSED_PAD src0_sel:DWORD src1_sel:BYTE_3
	v_cndmask_b32_e32 v90, v92, v90, vcc_lo
	v_and_b32_e32 v13, 0x80000000, v13
	v_and_b32_e32 v91, 7, v91
	v_lshl_add_u32 v90, v90, 23, 0x3b800000
	v_cndmask_b32_e32 v89, v89, v91, vcc_lo
	v_lshlrev_b32_e32 v89, 20, v89
	v_or3_b32 v89, v13, v90, v89
.LBB4_5119:                             ;   in Loop: Header=BB4_4846 Depth=3
	s_or_b32 exec_lo, exec_lo, s18
	v_cmp_gt_i16_sdwa s18, v9, v117 src0_sel:BYTE_3 src1_sel:DWORD
	s_mov_b32 s17, 0
	s_and_saveexec_b32 s22, s18
	s_xor_b32 s18, exec_lo, s22
	s_cbranch_execz .LBB4_5487
; %bb.5120:                             ;   in Loop: Header=BB4_4846 Depth=3
	v_cmp_eq_u16_sdwa s23, v9, v118 src0_sel:BYTE_3 src1_sel:DWORD
	s_mov_b32 s17, -1
	s_and_saveexec_b32 s22, s23
; %bb.5121:                             ;   in Loop: Header=BB4_4846 Depth=3
	s_xor_b32 s17, exec_lo, -1
; %bb.5122:                             ;   in Loop: Header=BB4_4846 Depth=3
	s_or_b32 exec_lo, exec_lo, s22
	s_and_b32 s17, s17, exec_lo
	s_or_saveexec_b32 s18, s18
	v_mov_b32_e32 v13, 0x7f800001
	s_xor_b32 exec_lo, exec_lo, s18
	s_cbranch_execnz .LBB4_5488
.LBB4_5123:                             ;   in Loop: Header=BB4_4846 Depth=3
	s_or_b32 exec_lo, exec_lo, s18
	s_and_saveexec_b32 s18, s17
.LBB4_5124:                             ;   in Loop: Header=BB4_4846 Depth=3
	v_mov_b32_e32 v13, v8
.LBB4_5125:                             ;   in Loop: Header=BB4_4846 Depth=3
	s_or_b32 exec_lo, exec_lo, s18
	v_max_f32_e32 v8, v13, v13
	v_max_f32_e32 v9, v89, v89
	v_min_f32_e32 v89, v9, v8
.LBB4_5126:                             ;   in Loop: Header=BB4_4846 Depth=3
	v_and_b32_e32 v8, 0x7f800000, v89
	v_mov_b32_e32 v13, 0x8000
	s_mov_b32 s18, exec_lo
	v_cmpx_ne_u32_e32 0x7f800000, v8
	s_cbranch_execz .LBB4_5134
; %bb.5127:                             ;   in Loop: Header=BB4_4846 Depth=3
	v_mov_b32_e32 v13, 0
	s_mov_b32 s22, exec_lo
	v_cmpx_ne_u32_e32 0, v89
	s_cbranch_execz .LBB4_5133
; %bb.5128:                             ;   in Loop: Header=BB4_4846 Depth=3
	v_bfe_u32 v8, v89, 23, 8
	v_and_b32_e32 v9, 0x7fffff, v89
	v_sub_nc_u32_e32 v13, 0x78, v8
	v_cmp_gt_u32_e32 vcc_lo, 0x79, v8
	v_or_b32_e32 v90, 0x800000, v9
	v_cndmask_b32_e32 v13, 0, v13, vcc_lo
	v_cmp_eq_u32_e32 vcc_lo, 0, v8
	v_add_nc_u32_e32 v8, 0xffffff89, v8
	v_cndmask_b32_e64 v13, v13, 0x77, vcc_lo
	v_cndmask_b32_e32 v9, v90, v9, vcc_lo
	v_cndmask_b32_e64 v8, v8, 0xffffff8a, vcc_lo
	v_lshl_add_u32 v90, 0x100000, v13, -1
	v_lshrrev_b32_e32 v91, v13, v9
	v_lshlrev_b32_e64 v93, v13, 0x80000
	v_add_nc_u32_e32 v13, v13, v8
	v_and_b32_e32 v9, v90, v9
	v_bfe_u32 v92, v91, 20, 1
	v_cmp_eq_u32_e64 s17, v9, v93
	v_add_nc_u32_e32 v90, -1, v92
	v_cndmask_b32_e64 v9, 0, v90, s17
	v_lshrrev_b32_e32 v90, 23, v91
	s_mov_b32 s17, exec_lo
	v_add_nc_u32_e32 v9, v9, v91
	v_xor_b32_e32 v90, 1, v90
	v_and_b32_e32 v8, 0xfffff, v9
	v_add_nc_u32_e32 v9, v8, v91
                                        ; implicit-def: $vgpr8
	v_cmpx_ne_u32_e64 v13, v90
	s_xor_b32 s17, exec_lo, s17
; %bb.5129:                             ;   in Loop: Header=BB4_4846 Depth=3
	v_cmp_lt_u32_e32 vcc_lo, 0xffffff, v9
	v_sub_nc_u32_e32 v8, v13, v90
	v_cndmask_b32_e64 v13, 0, 1, vcc_lo
	v_add_co_ci_u32_e64 v8, null, 0, v8, vcc_lo
	v_lshrrev_b32_e32 v9, v13, v9
; %bb.5130:                             ;   in Loop: Header=BB4_4846 Depth=3
	s_andn2_saveexec_b32 s17, s17
; %bb.5131:                             ;   in Loop: Header=BB4_4846 Depth=3
	v_bfe_u32 v8, v9, 23, 1
; %bb.5132:                             ;   in Loop: Header=BB4_4846 Depth=3
	s_or_b32 exec_lo, exec_lo, s17
	v_lshrrev_b32_e32 v9, 20, v9
	v_min_i32_e32 v13, 15, v8
	v_cmp_gt_i32_e32 vcc_lo, 16, v8
	v_and_b32_sdwa v89, v89, v118 dst_sel:DWORD dst_unused:UNUSED_PAD src0_sel:BYTE_3 src1_sel:DWORD
	v_lshlrev_b32_e32 v13, 3, v13
	v_cndmask_b32_e32 v9, 7, v9, vcc_lo
	v_and_b32_e32 v13, 0xf8, v13
	v_and_b32_e32 v90, 7, v9
	v_or_b32_e32 v8, v8, v9
	v_or3_b32 v13, v89, v13, v90
	v_cmp_ne_u32_e32 vcc_lo, 0, v8
	v_lshlrev_b32_e32 v9, 8, v13
	v_cndmask_b32_e32 v13, 0, v9, vcc_lo
.LBB4_5133:                             ;   in Loop: Header=BB4_4846 Depth=3
	s_or_b32 exec_lo, exec_lo, s22
.LBB4_5134:                             ;   in Loop: Header=BB4_4846 Depth=3
	s_or_b32 exec_lo, exec_lo, s18
	v_and_b32_e32 v8, 7, v10
	v_bfe_u32 v90, v10, 3, 4
	v_lshlrev_b32_e32 v91, 24, v10
	v_cmp_gt_i16_sdwa s18, v14, v117 src0_sel:BYTE_0 src1_sel:DWORD
	s_mov_b32 s17, -1
	v_ffbh_u32_e32 v9, v8
	v_cmp_eq_u32_e32 vcc_lo, 0, v90
	v_min_u32_e32 v9, 32, v9
	v_subrev_nc_u32_e32 v89, 28, v9
	v_sub_nc_u32_e32 v9, 29, v9
	v_lshlrev_b32_e32 v89, v89, v10
	v_cndmask_b32_e32 v9, v90, v9, vcc_lo
	v_and_b32_e32 v89, 7, v89
	v_lshl_add_u32 v9, v9, 23, 0x3b800000
	v_cndmask_b32_e32 v8, v8, v89, vcc_lo
	v_and_b32_e32 v89, 0x80000000, v91
	s_and_b32 vcc_lo, exec_lo, s75
	v_lshlrev_b32_e32 v8, 20, v8
	v_or3_b32 v8, v89, v9, v8
                                        ; implicit-def: $vgpr9
	s_cbranch_vccz .LBB4_5148
; %bb.5135:                             ;   in Loop: Header=BB4_4846 Depth=3
	s_mov_b32 s17, 0
	s_and_saveexec_b32 s22, s18
	s_xor_b32 s18, exec_lo, s22
	s_cbranch_execz .LBB4_5489
; %bb.5136:                             ;   in Loop: Header=BB4_4846 Depth=3
	v_cmp_eq_u16_sdwa s23, v14, v118 src0_sel:BYTE_0 src1_sel:DWORD
	s_mov_b32 s17, -1
	s_and_saveexec_b32 s22, s23
; %bb.5137:                             ;   in Loop: Header=BB4_4846 Depth=3
	s_xor_b32 s17, exec_lo, -1
; %bb.5138:                             ;   in Loop: Header=BB4_4846 Depth=3
	s_or_b32 exec_lo, exec_lo, s22
	s_and_b32 s17, s17, exec_lo
	s_or_saveexec_b32 s18, s18
	v_mov_b32_e32 v9, 0x7f800001
	s_xor_b32 exec_lo, exec_lo, s18
	s_cbranch_execnz .LBB4_5490
.LBB4_5139:                             ;   in Loop: Header=BB4_4846 Depth=3
	s_or_b32 exec_lo, exec_lo, s18
	s_and_saveexec_b32 s18, s17
	s_cbranch_execz .LBB4_5141
.LBB4_5140:                             ;   in Loop: Header=BB4_4846 Depth=3
	v_and_b32_e32 v9, 7, v14
	v_bfe_u32 v91, v14, 3, 4
	v_lshlrev_b32_e32 v92, 24, v14
	v_ffbh_u32_e32 v89, v9
	v_cmp_eq_u32_e32 vcc_lo, 0, v91
	v_min_u32_e32 v89, 32, v89
	v_subrev_nc_u32_e32 v90, 28, v89
	v_sub_nc_u32_e32 v89, 29, v89
	v_lshlrev_b32_e32 v90, v90, v14
	v_cndmask_b32_e32 v89, v91, v89, vcc_lo
	v_and_b32_e32 v90, 7, v90
	v_lshl_add_u32 v89, v89, 23, 0x3b800000
	v_cndmask_b32_e32 v9, v9, v90, vcc_lo
	v_and_b32_e32 v90, 0x80000000, v92
	v_lshlrev_b32_e32 v9, 20, v9
	v_or3_b32 v9, v90, v89, v9
.LBB4_5141:                             ;   in Loop: Header=BB4_4846 Depth=3
	s_or_b32 exec_lo, exec_lo, s18
	v_cmp_gt_i16_sdwa s18, v10, v117 src0_sel:BYTE_0 src1_sel:DWORD
	s_mov_b32 s17, 0
	s_and_saveexec_b32 s22, s18
	s_xor_b32 s18, exec_lo, s22
	s_cbranch_execz .LBB4_5491
; %bb.5142:                             ;   in Loop: Header=BB4_4846 Depth=3
	v_cmp_eq_u16_sdwa s23, v10, v118 src0_sel:BYTE_0 src1_sel:DWORD
	s_mov_b32 s17, -1
	s_and_saveexec_b32 s22, s23
; %bb.5143:                             ;   in Loop: Header=BB4_4846 Depth=3
	s_xor_b32 s17, exec_lo, -1
; %bb.5144:                             ;   in Loop: Header=BB4_4846 Depth=3
	s_or_b32 exec_lo, exec_lo, s22
	s_and_b32 s17, s17, exec_lo
	s_or_saveexec_b32 s18, s18
	v_mov_b32_e32 v89, 0x7f800001
	s_xor_b32 exec_lo, exec_lo, s18
	s_cbranch_execnz .LBB4_5492
.LBB4_5145:                             ;   in Loop: Header=BB4_4846 Depth=3
	s_or_b32 exec_lo, exec_lo, s18
	s_and_saveexec_b32 s18, s17
.LBB4_5146:                             ;   in Loop: Header=BB4_4846 Depth=3
	v_mov_b32_e32 v89, v8
.LBB4_5147:                             ;   in Loop: Header=BB4_4846 Depth=3
	s_or_b32 exec_lo, exec_lo, s18
	v_max_f32_e32 v89, v89, v89
	v_max_f32_e32 v9, v9, v9
	s_mov_b32 s17, 0
	v_max_f32_e32 v9, v9, v89
.LBB4_5148:                             ;   in Loop: Header=BB4_4846 Depth=3
	s_and_b32 vcc_lo, exec_lo, s17
	s_cbranch_vccz .LBB4_5162
; %bb.5149:                             ;   in Loop: Header=BB4_4846 Depth=3
	v_cmp_gt_i16_sdwa s18, v14, v117 src0_sel:BYTE_0 src1_sel:DWORD
	s_mov_b32 s17, 0
	s_and_saveexec_b32 s22, s18
	s_xor_b32 s18, exec_lo, s22
	s_cbranch_execz .LBB4_5493
; %bb.5150:                             ;   in Loop: Header=BB4_4846 Depth=3
	v_cmp_eq_u16_sdwa s23, v14, v118 src0_sel:BYTE_0 src1_sel:DWORD
	s_mov_b32 s17, -1
	s_and_saveexec_b32 s22, s23
; %bb.5151:                             ;   in Loop: Header=BB4_4846 Depth=3
	s_xor_b32 s17, exec_lo, -1
; %bb.5152:                             ;   in Loop: Header=BB4_4846 Depth=3
	s_or_b32 exec_lo, exec_lo, s22
	s_and_b32 s17, s17, exec_lo
	s_or_saveexec_b32 s18, s18
	v_mov_b32_e32 v9, 0x7f800001
	s_xor_b32 exec_lo, exec_lo, s18
	s_cbranch_execnz .LBB4_5494
.LBB4_5153:                             ;   in Loop: Header=BB4_4846 Depth=3
	s_or_b32 exec_lo, exec_lo, s18
	s_and_saveexec_b32 s18, s17
	s_cbranch_execz .LBB4_5155
.LBB4_5154:                             ;   in Loop: Header=BB4_4846 Depth=3
	v_and_b32_e32 v9, 7, v14
	v_bfe_u32 v91, v14, 3, 4
	v_lshlrev_b32_e32 v92, 24, v14
	v_ffbh_u32_e32 v89, v9
	v_cmp_eq_u32_e32 vcc_lo, 0, v91
	v_min_u32_e32 v89, 32, v89
	v_subrev_nc_u32_e32 v90, 28, v89
	v_sub_nc_u32_e32 v89, 29, v89
	v_lshlrev_b32_e32 v90, v90, v14
	v_cndmask_b32_e32 v89, v91, v89, vcc_lo
	v_and_b32_e32 v90, 7, v90
	v_lshl_add_u32 v89, v89, 23, 0x3b800000
	v_cndmask_b32_e32 v9, v9, v90, vcc_lo
	v_and_b32_e32 v90, 0x80000000, v92
	v_lshlrev_b32_e32 v9, 20, v9
	v_or3_b32 v9, v90, v89, v9
.LBB4_5155:                             ;   in Loop: Header=BB4_4846 Depth=3
	s_or_b32 exec_lo, exec_lo, s18
	v_cmp_gt_i16_sdwa s18, v10, v117 src0_sel:BYTE_0 src1_sel:DWORD
	s_mov_b32 s17, 0
	s_and_saveexec_b32 s22, s18
	s_xor_b32 s18, exec_lo, s22
	s_cbranch_execz .LBB4_5495
; %bb.5156:                             ;   in Loop: Header=BB4_4846 Depth=3
	v_cmp_eq_u16_sdwa s23, v10, v118 src0_sel:BYTE_0 src1_sel:DWORD
	s_mov_b32 s17, -1
	s_and_saveexec_b32 s22, s23
; %bb.5157:                             ;   in Loop: Header=BB4_4846 Depth=3
	s_xor_b32 s17, exec_lo, -1
; %bb.5158:                             ;   in Loop: Header=BB4_4846 Depth=3
	s_or_b32 exec_lo, exec_lo, s22
	s_and_b32 s17, s17, exec_lo
	s_or_saveexec_b32 s18, s18
	v_mov_b32_e32 v89, 0x7f800001
	s_xor_b32 exec_lo, exec_lo, s18
	s_cbranch_execnz .LBB4_5496
.LBB4_5159:                             ;   in Loop: Header=BB4_4846 Depth=3
	s_or_b32 exec_lo, exec_lo, s18
	s_and_saveexec_b32 s18, s17
.LBB4_5160:                             ;   in Loop: Header=BB4_4846 Depth=3
	v_mov_b32_e32 v89, v8
.LBB4_5161:                             ;   in Loop: Header=BB4_4846 Depth=3
	s_or_b32 exec_lo, exec_lo, s18
	v_max_f32_e32 v8, v89, v89
	v_max_f32_e32 v9, v9, v9
	v_min_f32_e32 v9, v9, v8
.LBB4_5162:                             ;   in Loop: Header=BB4_4846 Depth=3
	v_and_b32_e32 v8, 0x7f800000, v9
	v_mov_b32_e32 v89, 0x80
	s_mov_b32 s18, exec_lo
	v_cmpx_ne_u32_e32 0x7f800000, v8
	s_cbranch_execz .LBB4_5170
; %bb.5163:                             ;   in Loop: Header=BB4_4846 Depth=3
	v_mov_b32_e32 v89, 0
	s_mov_b32 s22, exec_lo
	v_cmpx_ne_u32_e32 0, v9
	s_cbranch_execz .LBB4_5169
; %bb.5164:                             ;   in Loop: Header=BB4_4846 Depth=3
	v_bfe_u32 v8, v9, 23, 8
	v_and_b32_e32 v89, 0x7fffff, v9
	v_sub_nc_u32_e32 v90, 0x78, v8
	v_cmp_gt_u32_e32 vcc_lo, 0x79, v8
	v_or_b32_e32 v91, 0x800000, v89
	v_cndmask_b32_e32 v90, 0, v90, vcc_lo
	v_cmp_eq_u32_e32 vcc_lo, 0, v8
	v_add_nc_u32_e32 v8, 0xffffff89, v8
	v_cndmask_b32_e64 v90, v90, 0x77, vcc_lo
	v_cndmask_b32_e32 v89, v91, v89, vcc_lo
	v_cndmask_b32_e64 v8, v8, 0xffffff8a, vcc_lo
	v_lshl_add_u32 v91, 0x100000, v90, -1
	v_lshrrev_b32_e32 v92, v90, v89
	v_lshlrev_b32_e64 v94, v90, 0x80000
	v_add_nc_u32_e32 v90, v90, v8
	v_and_b32_e32 v89, v91, v89
	v_bfe_u32 v93, v92, 20, 1
	v_cmp_eq_u32_e64 s17, v89, v94
	v_add_nc_u32_e32 v91, -1, v93
	v_cndmask_b32_e64 v89, 0, v91, s17
	v_lshrrev_b32_e32 v91, 23, v92
	s_mov_b32 s17, exec_lo
	v_add_nc_u32_e32 v89, v89, v92
	v_xor_b32_e32 v91, 1, v91
	v_and_b32_e32 v8, 0xfffff, v89
	v_add_nc_u32_e32 v89, v8, v92
                                        ; implicit-def: $vgpr8
	v_cmpx_ne_u32_e64 v90, v91
	s_xor_b32 s17, exec_lo, s17
; %bb.5165:                             ;   in Loop: Header=BB4_4846 Depth=3
	v_cmp_lt_u32_e32 vcc_lo, 0xffffff, v89
	v_sub_nc_u32_e32 v8, v90, v91
	v_cndmask_b32_e64 v90, 0, 1, vcc_lo
	v_add_co_ci_u32_e64 v8, null, 0, v8, vcc_lo
	v_lshrrev_b32_e32 v89, v90, v89
; %bb.5166:                             ;   in Loop: Header=BB4_4846 Depth=3
	s_andn2_saveexec_b32 s17, s17
; %bb.5167:                             ;   in Loop: Header=BB4_4846 Depth=3
	v_bfe_u32 v8, v89, 23, 1
; %bb.5168:                             ;   in Loop: Header=BB4_4846 Depth=3
	s_or_b32 exec_lo, exec_lo, s17
	v_lshrrev_b32_e32 v89, 20, v89
	v_min_i32_e32 v90, 15, v8
	v_cmp_gt_i32_e32 vcc_lo, 16, v8
	v_and_b32_sdwa v9, v9, v118 dst_sel:DWORD dst_unused:UNUSED_PAD src0_sel:BYTE_3 src1_sel:DWORD
	v_lshlrev_b32_e32 v90, 3, v90
	v_cndmask_b32_e32 v89, 7, v89, vcc_lo
	v_and_b32_e32 v90, 0xf8, v90
	v_and_b32_e32 v91, 7, v89
	v_or_b32_e32 v8, v8, v89
	v_or3_b32 v9, v90, v9, v91
	v_cmp_ne_u32_e32 vcc_lo, 0, v8
	v_cndmask_b32_e32 v89, 0, v9, vcc_lo
.LBB4_5169:                             ;   in Loop: Header=BB4_4846 Depth=3
	s_or_b32 exec_lo, exec_lo, s22
.LBB4_5170:                             ;   in Loop: Header=BB4_4846 Depth=3
	s_or_b32 exec_lo, exec_lo, s18
	v_and_b32_sdwa v8, v119, v10 dst_sel:DWORD dst_unused:UNUSED_PAD src0_sel:DWORD src1_sel:BYTE_1
	v_cmp_gt_i16_sdwa s18, v14, v117 src0_sel:BYTE_1 src1_sel:DWORD
	s_mov_b32 s17, -1
	v_and_b32_e32 v9, 7, v8
	v_bfe_u32 v92, v8, 3, 4
	v_ffbh_u32_e32 v90, v9
	v_cmp_eq_u32_e32 vcc_lo, 0, v92
	v_min_u32_e32 v90, 32, v90
	v_subrev_nc_u32_e32 v91, 28, v90
	v_sub_nc_u32_e32 v90, 29, v90
	v_lshlrev_b32_e32 v8, v91, v8
	v_lshlrev_b32_sdwa v91, v41, v10 dst_sel:DWORD dst_unused:UNUSED_PAD src0_sel:DWORD src1_sel:BYTE_1
	v_cndmask_b32_e32 v90, v92, v90, vcc_lo
	v_and_b32_e32 v8, 7, v8
	v_lshl_add_u32 v90, v90, 23, 0x3b800000
	v_cndmask_b32_e32 v8, v9, v8, vcc_lo
	v_and_b32_e32 v9, 0x80000000, v91
	s_and_b32 vcc_lo, exec_lo, s75
	v_lshlrev_b32_e32 v8, 20, v8
	v_or3_b32 v8, v9, v90, v8
                                        ; implicit-def: $vgpr9
	s_cbranch_vccz .LBB4_5184
; %bb.5171:                             ;   in Loop: Header=BB4_4846 Depth=3
	s_mov_b32 s17, 0
	s_and_saveexec_b32 s22, s18
	s_xor_b32 s18, exec_lo, s22
	s_cbranch_execz .LBB4_5497
; %bb.5172:                             ;   in Loop: Header=BB4_4846 Depth=3
	v_cmp_eq_u16_sdwa s23, v14, v118 src0_sel:BYTE_1 src1_sel:DWORD
	s_mov_b32 s17, -1
	s_and_saveexec_b32 s22, s23
; %bb.5173:                             ;   in Loop: Header=BB4_4846 Depth=3
	s_xor_b32 s17, exec_lo, -1
; %bb.5174:                             ;   in Loop: Header=BB4_4846 Depth=3
	s_or_b32 exec_lo, exec_lo, s22
	s_and_b32 s17, s17, exec_lo
	s_or_saveexec_b32 s18, s18
	v_mov_b32_e32 v9, 0x7f800001
	s_xor_b32 exec_lo, exec_lo, s18
	s_cbranch_execnz .LBB4_5498
.LBB4_5175:                             ;   in Loop: Header=BB4_4846 Depth=3
	s_or_b32 exec_lo, exec_lo, s18
	s_and_saveexec_b32 s18, s17
	s_cbranch_execz .LBB4_5177
.LBB4_5176:                             ;   in Loop: Header=BB4_4846 Depth=3
	v_and_b32_sdwa v9, v119, v14 dst_sel:DWORD dst_unused:UNUSED_PAD src0_sel:DWORD src1_sel:BYTE_1
	v_and_b32_e32 v90, 7, v9
	v_bfe_u32 v93, v9, 3, 4
	v_ffbh_u32_e32 v91, v90
	v_cmp_eq_u32_e32 vcc_lo, 0, v93
	v_min_u32_e32 v91, 32, v91
	v_subrev_nc_u32_e32 v92, 28, v91
	v_sub_nc_u32_e32 v91, 29, v91
	v_lshlrev_b32_e32 v9, v92, v9
	v_lshlrev_b32_e32 v92, 16, v14
	v_cndmask_b32_e32 v91, v93, v91, vcc_lo
	v_and_b32_e32 v9, 7, v9
	v_lshl_add_u32 v91, v91, 23, 0x3b800000
	v_cndmask_b32_e32 v9, v90, v9, vcc_lo
	v_and_b32_e32 v90, 0x80000000, v92
	v_lshlrev_b32_e32 v9, 20, v9
	v_or3_b32 v9, v90, v91, v9
.LBB4_5177:                             ;   in Loop: Header=BB4_4846 Depth=3
	s_or_b32 exec_lo, exec_lo, s18
	v_cmp_gt_i16_sdwa s18, v10, v117 src0_sel:BYTE_1 src1_sel:DWORD
	s_mov_b32 s17, 0
	s_and_saveexec_b32 s22, s18
	s_xor_b32 s18, exec_lo, s22
	s_cbranch_execz .LBB4_5499
; %bb.5178:                             ;   in Loop: Header=BB4_4846 Depth=3
	v_cmp_eq_u16_sdwa s23, v10, v118 src0_sel:BYTE_1 src1_sel:DWORD
	s_mov_b32 s17, -1
	s_and_saveexec_b32 s22, s23
; %bb.5179:                             ;   in Loop: Header=BB4_4846 Depth=3
	s_xor_b32 s17, exec_lo, -1
; %bb.5180:                             ;   in Loop: Header=BB4_4846 Depth=3
	s_or_b32 exec_lo, exec_lo, s22
	s_and_b32 s17, s17, exec_lo
	s_or_saveexec_b32 s18, s18
	v_mov_b32_e32 v90, 0x7f800001
	s_xor_b32 exec_lo, exec_lo, s18
	s_cbranch_execnz .LBB4_5500
.LBB4_5181:                             ;   in Loop: Header=BB4_4846 Depth=3
	s_or_b32 exec_lo, exec_lo, s18
	s_and_saveexec_b32 s18, s17
.LBB4_5182:                             ;   in Loop: Header=BB4_4846 Depth=3
	v_mov_b32_e32 v90, v8
.LBB4_5183:                             ;   in Loop: Header=BB4_4846 Depth=3
	s_or_b32 exec_lo, exec_lo, s18
	v_max_f32_e32 v90, v90, v90
	v_max_f32_e32 v9, v9, v9
	s_mov_b32 s17, 0
	v_max_f32_e32 v9, v9, v90
.LBB4_5184:                             ;   in Loop: Header=BB4_4846 Depth=3
	s_and_b32 vcc_lo, exec_lo, s17
	s_cbranch_vccz .LBB4_5198
; %bb.5185:                             ;   in Loop: Header=BB4_4846 Depth=3
	v_cmp_gt_i16_sdwa s18, v14, v117 src0_sel:BYTE_1 src1_sel:DWORD
	s_mov_b32 s17, 0
	s_and_saveexec_b32 s22, s18
	s_xor_b32 s18, exec_lo, s22
	s_cbranch_execz .LBB4_5501
; %bb.5186:                             ;   in Loop: Header=BB4_4846 Depth=3
	v_cmp_eq_u16_sdwa s23, v14, v118 src0_sel:BYTE_1 src1_sel:DWORD
	s_mov_b32 s17, -1
	s_and_saveexec_b32 s22, s23
; %bb.5187:                             ;   in Loop: Header=BB4_4846 Depth=3
	s_xor_b32 s17, exec_lo, -1
; %bb.5188:                             ;   in Loop: Header=BB4_4846 Depth=3
	s_or_b32 exec_lo, exec_lo, s22
	s_and_b32 s17, s17, exec_lo
	s_or_saveexec_b32 s18, s18
	v_mov_b32_e32 v9, 0x7f800001
	s_xor_b32 exec_lo, exec_lo, s18
	s_cbranch_execnz .LBB4_5502
.LBB4_5189:                             ;   in Loop: Header=BB4_4846 Depth=3
	s_or_b32 exec_lo, exec_lo, s18
	s_and_saveexec_b32 s18, s17
	s_cbranch_execz .LBB4_5191
.LBB4_5190:                             ;   in Loop: Header=BB4_4846 Depth=3
	v_and_b32_sdwa v9, v119, v14 dst_sel:DWORD dst_unused:UNUSED_PAD src0_sel:DWORD src1_sel:BYTE_1
	v_and_b32_e32 v90, 7, v9
	v_bfe_u32 v93, v9, 3, 4
	v_ffbh_u32_e32 v91, v90
	v_cmp_eq_u32_e32 vcc_lo, 0, v93
	v_min_u32_e32 v91, 32, v91
	v_subrev_nc_u32_e32 v92, 28, v91
	v_sub_nc_u32_e32 v91, 29, v91
	v_lshlrev_b32_e32 v9, v92, v9
	v_lshlrev_b32_e32 v92, 16, v14
	v_cndmask_b32_e32 v91, v93, v91, vcc_lo
	v_and_b32_e32 v9, 7, v9
	v_lshl_add_u32 v91, v91, 23, 0x3b800000
	v_cndmask_b32_e32 v9, v90, v9, vcc_lo
	v_and_b32_e32 v90, 0x80000000, v92
	v_lshlrev_b32_e32 v9, 20, v9
	v_or3_b32 v9, v90, v91, v9
.LBB4_5191:                             ;   in Loop: Header=BB4_4846 Depth=3
	s_or_b32 exec_lo, exec_lo, s18
	v_cmp_gt_i16_sdwa s18, v10, v117 src0_sel:BYTE_1 src1_sel:DWORD
	s_mov_b32 s17, 0
	s_and_saveexec_b32 s22, s18
	s_xor_b32 s18, exec_lo, s22
	s_cbranch_execz .LBB4_5503
; %bb.5192:                             ;   in Loop: Header=BB4_4846 Depth=3
	v_cmp_eq_u16_sdwa s23, v10, v118 src0_sel:BYTE_1 src1_sel:DWORD
	s_mov_b32 s17, -1
	s_and_saveexec_b32 s22, s23
; %bb.5193:                             ;   in Loop: Header=BB4_4846 Depth=3
	s_xor_b32 s17, exec_lo, -1
; %bb.5194:                             ;   in Loop: Header=BB4_4846 Depth=3
	s_or_b32 exec_lo, exec_lo, s22
	s_and_b32 s17, s17, exec_lo
	s_or_saveexec_b32 s18, s18
	v_mov_b32_e32 v90, 0x7f800001
	s_xor_b32 exec_lo, exec_lo, s18
	s_cbranch_execnz .LBB4_5504
.LBB4_5195:                             ;   in Loop: Header=BB4_4846 Depth=3
	s_or_b32 exec_lo, exec_lo, s18
	s_and_saveexec_b32 s18, s17
.LBB4_5196:                             ;   in Loop: Header=BB4_4846 Depth=3
	v_mov_b32_e32 v90, v8
.LBB4_5197:                             ;   in Loop: Header=BB4_4846 Depth=3
	s_or_b32 exec_lo, exec_lo, s18
	v_max_f32_e32 v8, v90, v90
	v_max_f32_e32 v9, v9, v9
	v_min_f32_e32 v9, v9, v8
.LBB4_5198:                             ;   in Loop: Header=BB4_4846 Depth=3
	v_and_b32_e32 v8, 0x7f800000, v9
	v_mov_b32_e32 v90, 0x8000
	s_mov_b32 s18, exec_lo
	v_cmpx_ne_u32_e32 0x7f800000, v8
	s_cbranch_execz .LBB4_5206
; %bb.5199:                             ;   in Loop: Header=BB4_4846 Depth=3
	v_mov_b32_e32 v90, 0
	s_mov_b32 s22, exec_lo
	v_cmpx_ne_u32_e32 0, v9
	s_cbranch_execz .LBB4_5205
; %bb.5200:                             ;   in Loop: Header=BB4_4846 Depth=3
	v_bfe_u32 v8, v9, 23, 8
	v_and_b32_e32 v90, 0x7fffff, v9
	v_sub_nc_u32_e32 v91, 0x78, v8
	v_cmp_gt_u32_e32 vcc_lo, 0x79, v8
	v_or_b32_e32 v92, 0x800000, v90
	v_cndmask_b32_e32 v91, 0, v91, vcc_lo
	v_cmp_eq_u32_e32 vcc_lo, 0, v8
	v_add_nc_u32_e32 v8, 0xffffff89, v8
	v_cndmask_b32_e64 v91, v91, 0x77, vcc_lo
	v_cndmask_b32_e32 v90, v92, v90, vcc_lo
	v_cndmask_b32_e64 v8, v8, 0xffffff8a, vcc_lo
	v_lshl_add_u32 v92, 0x100000, v91, -1
	v_lshrrev_b32_e32 v93, v91, v90
	v_lshlrev_b32_e64 v95, v91, 0x80000
	v_add_nc_u32_e32 v91, v91, v8
	v_and_b32_e32 v90, v92, v90
	v_bfe_u32 v94, v93, 20, 1
	v_cmp_eq_u32_e64 s17, v90, v95
	v_add_nc_u32_e32 v92, -1, v94
	v_cndmask_b32_e64 v90, 0, v92, s17
	v_lshrrev_b32_e32 v92, 23, v93
	s_mov_b32 s17, exec_lo
	v_add_nc_u32_e32 v90, v90, v93
	v_xor_b32_e32 v92, 1, v92
	v_and_b32_e32 v8, 0xfffff, v90
	v_add_nc_u32_e32 v90, v8, v93
                                        ; implicit-def: $vgpr8
	v_cmpx_ne_u32_e64 v91, v92
	s_xor_b32 s17, exec_lo, s17
; %bb.5201:                             ;   in Loop: Header=BB4_4846 Depth=3
	v_cmp_lt_u32_e32 vcc_lo, 0xffffff, v90
	v_sub_nc_u32_e32 v8, v91, v92
	v_cndmask_b32_e64 v91, 0, 1, vcc_lo
	v_add_co_ci_u32_e64 v8, null, 0, v8, vcc_lo
	v_lshrrev_b32_e32 v90, v91, v90
; %bb.5202:                             ;   in Loop: Header=BB4_4846 Depth=3
	s_andn2_saveexec_b32 s17, s17
; %bb.5203:                             ;   in Loop: Header=BB4_4846 Depth=3
	v_bfe_u32 v8, v90, 23, 1
; %bb.5204:                             ;   in Loop: Header=BB4_4846 Depth=3
	s_or_b32 exec_lo, exec_lo, s17
	v_lshrrev_b32_e32 v90, 20, v90
	v_min_i32_e32 v91, 15, v8
	v_cmp_gt_i32_e32 vcc_lo, 16, v8
	v_and_b32_sdwa v9, v9, v118 dst_sel:DWORD dst_unused:UNUSED_PAD src0_sel:BYTE_3 src1_sel:DWORD
	v_lshlrev_b32_e32 v91, 3, v91
	v_cndmask_b32_e32 v90, 7, v90, vcc_lo
	v_and_b32_e32 v91, 0xf8, v91
	v_and_b32_e32 v92, 7, v90
	v_or_b32_e32 v8, v8, v90
	v_or3_b32 v9, v9, v91, v92
	v_cmp_ne_u32_e32 vcc_lo, 0, v8
	v_lshlrev_b32_e32 v9, 8, v9
	v_cndmask_b32_e32 v90, 0, v9, vcc_lo
.LBB4_5205:                             ;   in Loop: Header=BB4_4846 Depth=3
	s_or_b32 exec_lo, exec_lo, s22
.LBB4_5206:                             ;   in Loop: Header=BB4_4846 Depth=3
	s_or_b32 exec_lo, exec_lo, s18
	v_bfe_u32 v8, v10, 16, 3
	v_bfe_u32 v92, v10, 19, 4
	v_lshlrev_b32_e32 v93, 8, v10
	s_mov_b32 s18, -1
	v_ffbh_u32_e32 v9, v8
	v_cmp_eq_u32_e32 vcc_lo, 0, v92
	v_min_u32_e32 v9, 32, v9
	v_subrev_nc_u32_e32 v91, 28, v9
	v_sub_nc_u32_e32 v9, 29, v9
	v_lshlrev_b32_sdwa v91, v91, v10 dst_sel:DWORD dst_unused:UNUSED_PAD src0_sel:DWORD src1_sel:WORD_1
	v_cndmask_b32_e32 v9, v92, v9, vcc_lo
	v_and_b32_e32 v91, 7, v91
	v_lshl_add_u32 v92, v9, 23, 0x3b800000
	v_and_b32_sdwa v9, v14, v40 dst_sel:DWORD dst_unused:UNUSED_PAD src0_sel:WORD_1 src1_sel:DWORD
	v_cndmask_b32_e32 v8, v8, v91, vcc_lo
	v_and_b32_e32 v91, 0x80000000, v93
	v_cmp_lt_i16_e64 s17, 0x7f, v9
	s_and_b32 vcc_lo, exec_lo, s75
	v_lshlrev_b32_e32 v8, 20, v8
	v_or3_b32 v8, v91, v92, v8
                                        ; implicit-def: $vgpr92
	s_cbranch_vccz .LBB4_5220
; %bb.5207:                             ;   in Loop: Header=BB4_4846 Depth=3
	s_mov_b32 s18, 0
	s_and_saveexec_b32 s22, s17
	s_xor_b32 s17, exec_lo, s22
	s_cbranch_execz .LBB4_5505
; %bb.5208:                             ;   in Loop: Header=BB4_4846 Depth=3
	s_mov_b32 s18, -1
	s_mov_b32 s22, exec_lo
	v_cmpx_eq_u16_e32 0x80, v9
; %bb.5209:                             ;   in Loop: Header=BB4_4846 Depth=3
	s_xor_b32 s18, exec_lo, -1
; %bb.5210:                             ;   in Loop: Header=BB4_4846 Depth=3
	s_or_b32 exec_lo, exec_lo, s22
	s_and_b32 s18, s18, exec_lo
	s_or_saveexec_b32 s17, s17
	v_mov_b32_e32 v91, 0x7f800001
	s_xor_b32 exec_lo, exec_lo, s17
	s_cbranch_execnz .LBB4_5506
.LBB4_5211:                             ;   in Loop: Header=BB4_4846 Depth=3
	s_or_b32 exec_lo, exec_lo, s17
	s_and_saveexec_b32 s17, s18
	s_cbranch_execz .LBB4_5213
.LBB4_5212:                             ;   in Loop: Header=BB4_4846 Depth=3
	v_bfe_u32 v91, v14, 16, 3
	v_bfe_u32 v94, v14, 19, 4
	v_lshlrev_b32_sdwa v95, v41, v14 dst_sel:DWORD dst_unused:UNUSED_PAD src0_sel:DWORD src1_sel:WORD_1
	v_ffbh_u32_e32 v92, v91
	v_cmp_eq_u32_e32 vcc_lo, 0, v94
	v_min_u32_e32 v92, 32, v92
	v_subrev_nc_u32_e32 v93, 28, v92
	v_sub_nc_u32_e32 v92, 29, v92
	v_lshlrev_b32_sdwa v93, v93, v14 dst_sel:DWORD dst_unused:UNUSED_PAD src0_sel:DWORD src1_sel:WORD_1
	v_cndmask_b32_e32 v92, v94, v92, vcc_lo
	v_and_b32_e32 v93, 7, v93
	v_lshl_add_u32 v92, v92, 23, 0x3b800000
	v_cndmask_b32_e32 v91, v91, v93, vcc_lo
	v_and_b32_e32 v93, 0x80000000, v95
	v_lshlrev_b32_e32 v91, 20, v91
	v_or3_b32 v91, v93, v92, v91
.LBB4_5213:                             ;   in Loop: Header=BB4_4846 Depth=3
	s_or_b32 exec_lo, exec_lo, s17
	v_and_b32_sdwa v93, v10, v40 dst_sel:DWORD dst_unused:UNUSED_PAD src0_sel:WORD_1 src1_sel:DWORD
	s_mov_b32 s17, 0
	s_mov_b32 s18, exec_lo
	v_cmpx_lt_i16_e32 0x7f, v93
	s_xor_b32 s18, exec_lo, s18
	s_cbranch_execz .LBB4_5507
; %bb.5214:                             ;   in Loop: Header=BB4_4846 Depth=3
	s_mov_b32 s17, -1
	s_mov_b32 s22, exec_lo
	v_cmpx_eq_u16_e32 0x80, v93
; %bb.5215:                             ;   in Loop: Header=BB4_4846 Depth=3
	s_xor_b32 s17, exec_lo, -1
; %bb.5216:                             ;   in Loop: Header=BB4_4846 Depth=3
	s_or_b32 exec_lo, exec_lo, s22
	s_and_b32 s17, s17, exec_lo
                                        ; implicit-def: $vgpr93
	s_or_saveexec_b32 s18, s18
	v_mov_b32_e32 v92, 0x7f800001
	s_xor_b32 exec_lo, exec_lo, s18
	s_cbranch_execnz .LBB4_5508
.LBB4_5217:                             ;   in Loop: Header=BB4_4846 Depth=3
	s_or_b32 exec_lo, exec_lo, s18
	s_and_saveexec_b32 s18, s17
.LBB4_5218:                             ;   in Loop: Header=BB4_4846 Depth=3
	v_mov_b32_e32 v92, v8
.LBB4_5219:                             ;   in Loop: Header=BB4_4846 Depth=3
	s_or_b32 exec_lo, exec_lo, s18
	v_max_f32_e32 v92, v92, v92
	v_max_f32_e32 v91, v91, v91
	s_mov_b32 s18, 0
	v_max_f32_e32 v92, v91, v92
.LBB4_5220:                             ;   in Loop: Header=BB4_4846 Depth=3
	s_and_b32 vcc_lo, exec_lo, s18
	s_cbranch_vccz .LBB4_5234
; %bb.5221:                             ;   in Loop: Header=BB4_4846 Depth=3
	s_mov_b32 s17, 0
	s_mov_b32 s18, exec_lo
	v_cmpx_lt_i16_e32 0x7f, v9
	s_xor_b32 s18, exec_lo, s18
	s_cbranch_execz .LBB4_5509
; %bb.5222:                             ;   in Loop: Header=BB4_4846 Depth=3
	s_mov_b32 s17, -1
	s_mov_b32 s22, exec_lo
	v_cmpx_eq_u16_e32 0x80, v9
; %bb.5223:                             ;   in Loop: Header=BB4_4846 Depth=3
	s_xor_b32 s17, exec_lo, -1
; %bb.5224:                             ;   in Loop: Header=BB4_4846 Depth=3
	s_or_b32 exec_lo, exec_lo, s22
	s_and_b32 s17, s17, exec_lo
                                        ; implicit-def: $vgpr9
	s_or_saveexec_b32 s18, s18
	v_mov_b32_e32 v91, 0x7f800001
	s_xor_b32 exec_lo, exec_lo, s18
	s_cbranch_execnz .LBB4_5510
.LBB4_5225:                             ;   in Loop: Header=BB4_4846 Depth=3
	s_or_b32 exec_lo, exec_lo, s18
	s_and_saveexec_b32 s18, s17
	s_cbranch_execz .LBB4_5227
.LBB4_5226:                             ;   in Loop: Header=BB4_4846 Depth=3
	v_bfe_u32 v9, v14, 16, 3
	v_bfe_u32 v93, v14, 19, 4
	v_lshlrev_b32_sdwa v94, v41, v14 dst_sel:DWORD dst_unused:UNUSED_PAD src0_sel:DWORD src1_sel:WORD_1
	v_ffbh_u32_e32 v91, v9
	v_cmp_eq_u32_e32 vcc_lo, 0, v93
	v_min_u32_e32 v91, 32, v91
	v_subrev_nc_u32_e32 v92, 28, v91
	v_sub_nc_u32_e32 v91, 29, v91
	v_lshlrev_b32_sdwa v92, v92, v14 dst_sel:DWORD dst_unused:UNUSED_PAD src0_sel:DWORD src1_sel:WORD_1
	v_cndmask_b32_e32 v91, v93, v91, vcc_lo
	v_and_b32_e32 v92, 7, v92
	v_lshl_add_u32 v91, v91, 23, 0x3b800000
	v_cndmask_b32_e32 v9, v9, v92, vcc_lo
	v_and_b32_e32 v92, 0x80000000, v94
	v_lshlrev_b32_e32 v9, 20, v9
	v_or3_b32 v91, v92, v91, v9
.LBB4_5227:                             ;   in Loop: Header=BB4_4846 Depth=3
	s_or_b32 exec_lo, exec_lo, s18
	v_and_b32_sdwa v92, v10, v40 dst_sel:DWORD dst_unused:UNUSED_PAD src0_sel:WORD_1 src1_sel:DWORD
	s_mov_b32 s17, 0
	s_mov_b32 s18, exec_lo
	v_cmpx_lt_i16_e32 0x7f, v92
	s_xor_b32 s18, exec_lo, s18
	s_cbranch_execz .LBB4_5511
; %bb.5228:                             ;   in Loop: Header=BB4_4846 Depth=3
	s_mov_b32 s17, -1
	s_mov_b32 s22, exec_lo
	v_cmpx_eq_u16_e32 0x80, v92
; %bb.5229:                             ;   in Loop: Header=BB4_4846 Depth=3
	s_xor_b32 s17, exec_lo, -1
; %bb.5230:                             ;   in Loop: Header=BB4_4846 Depth=3
	s_or_b32 exec_lo, exec_lo, s22
	s_and_b32 s17, s17, exec_lo
                                        ; implicit-def: $vgpr92
	s_or_saveexec_b32 s18, s18
	v_mov_b32_e32 v9, 0x7f800001
	s_xor_b32 exec_lo, exec_lo, s18
	s_cbranch_execnz .LBB4_5512
.LBB4_5231:                             ;   in Loop: Header=BB4_4846 Depth=3
	s_or_b32 exec_lo, exec_lo, s18
	s_and_saveexec_b32 s18, s17
.LBB4_5232:                             ;   in Loop: Header=BB4_4846 Depth=3
	v_mov_b32_e32 v9, v8
.LBB4_5233:                             ;   in Loop: Header=BB4_4846 Depth=3
	s_or_b32 exec_lo, exec_lo, s18
	v_max_f32_e32 v8, v9, v9
	v_max_f32_e32 v9, v91, v91
	v_min_f32_e32 v92, v9, v8
.LBB4_5234:                             ;   in Loop: Header=BB4_4846 Depth=3
	v_and_b32_e32 v8, 0x7f800000, v92
	v_mov_b32_e32 v91, 0x80
	s_mov_b32 s18, exec_lo
	v_cmpx_ne_u32_e32 0x7f800000, v8
	s_cbranch_execz .LBB4_5242
; %bb.5235:                             ;   in Loop: Header=BB4_4846 Depth=3
	v_mov_b32_e32 v91, 0
	s_mov_b32 s22, exec_lo
	v_cmpx_ne_u32_e32 0, v92
	s_cbranch_execz .LBB4_5241
; %bb.5236:                             ;   in Loop: Header=BB4_4846 Depth=3
	v_bfe_u32 v8, v92, 23, 8
	v_and_b32_e32 v9, 0x7fffff, v92
	v_sub_nc_u32_e32 v91, 0x78, v8
	v_cmp_gt_u32_e32 vcc_lo, 0x79, v8
	v_or_b32_e32 v93, 0x800000, v9
	v_cndmask_b32_e32 v91, 0, v91, vcc_lo
	v_cmp_eq_u32_e32 vcc_lo, 0, v8
	v_add_nc_u32_e32 v8, 0xffffff89, v8
	v_cndmask_b32_e64 v91, v91, 0x77, vcc_lo
	v_cndmask_b32_e32 v9, v93, v9, vcc_lo
	v_cndmask_b32_e64 v8, v8, 0xffffff8a, vcc_lo
	v_lshl_add_u32 v93, 0x100000, v91, -1
	v_lshrrev_b32_e32 v94, v91, v9
	v_lshlrev_b32_e64 v104, v91, 0x80000
	v_add_nc_u32_e32 v91, v91, v8
	v_and_b32_e32 v9, v93, v9
	v_bfe_u32 v95, v94, 20, 1
	v_cmp_eq_u32_e64 s17, v9, v104
	v_add_nc_u32_e32 v93, -1, v95
	v_cndmask_b32_e64 v9, 0, v93, s17
	v_lshrrev_b32_e32 v93, 23, v94
	s_mov_b32 s17, exec_lo
	v_add_nc_u32_e32 v9, v9, v94
	v_xor_b32_e32 v93, 1, v93
	v_and_b32_e32 v8, 0xfffff, v9
	v_add_nc_u32_e32 v9, v8, v94
                                        ; implicit-def: $vgpr8
	v_cmpx_ne_u32_e64 v91, v93
	s_xor_b32 s17, exec_lo, s17
; %bb.5237:                             ;   in Loop: Header=BB4_4846 Depth=3
	v_cmp_lt_u32_e32 vcc_lo, 0xffffff, v9
	v_sub_nc_u32_e32 v8, v91, v93
	v_cndmask_b32_e64 v91, 0, 1, vcc_lo
	v_add_co_ci_u32_e64 v8, null, 0, v8, vcc_lo
	v_lshrrev_b32_e32 v9, v91, v9
; %bb.5238:                             ;   in Loop: Header=BB4_4846 Depth=3
	s_andn2_saveexec_b32 s17, s17
; %bb.5239:                             ;   in Loop: Header=BB4_4846 Depth=3
	v_bfe_u32 v8, v9, 23, 1
; %bb.5240:                             ;   in Loop: Header=BB4_4846 Depth=3
	s_or_b32 exec_lo, exec_lo, s17
	v_lshrrev_b32_e32 v9, 20, v9
	v_min_i32_e32 v91, 15, v8
	v_cmp_gt_i32_e32 vcc_lo, 16, v8
	v_and_b32_sdwa v92, v92, v118 dst_sel:DWORD dst_unused:UNUSED_PAD src0_sel:BYTE_3 src1_sel:DWORD
	v_lshlrev_b32_e32 v91, 3, v91
	v_cndmask_b32_e32 v9, 7, v9, vcc_lo
	v_and_b32_e32 v91, 0xf8, v91
	v_and_b32_e32 v93, 7, v9
	v_or_b32_e32 v8, v8, v9
	v_or3_b32 v9, v91, v92, v93
	v_cmp_ne_u32_e32 vcc_lo, 0, v8
	v_cndmask_b32_e32 v91, 0, v9, vcc_lo
.LBB4_5241:                             ;   in Loop: Header=BB4_4846 Depth=3
	s_or_b32 exec_lo, exec_lo, s22
.LBB4_5242:                             ;   in Loop: Header=BB4_4846 Depth=3
	s_or_b32 exec_lo, exec_lo, s18
	v_bfe_u32 v8, v10, 24, 3
	v_bfe_u32 v93, v10, 27, 4
	v_cmp_gt_i16_sdwa s18, v14, v117 src0_sel:BYTE_3 src1_sel:DWORD
	s_mov_b32 s17, -1
	v_ffbh_u32_e32 v9, v8
	v_cmp_eq_u32_e32 vcc_lo, 0, v93
	v_min_u32_e32 v9, 32, v9
	v_subrev_nc_u32_e32 v92, 28, v9
	v_sub_nc_u32_e32 v9, 29, v9
	v_lshlrev_b32_sdwa v92, v92, v10 dst_sel:DWORD dst_unused:UNUSED_PAD src0_sel:DWORD src1_sel:BYTE_3
	v_cndmask_b32_e32 v9, v93, v9, vcc_lo
	v_and_b32_e32 v92, 7, v92
	v_lshl_add_u32 v9, v9, 23, 0x3b800000
	v_cndmask_b32_e32 v8, v8, v92, vcc_lo
	v_and_b32_e32 v92, 0x80000000, v10
	s_and_b32 vcc_lo, exec_lo, s75
	v_lshlrev_b32_e32 v8, 20, v8
	v_or3_b32 v8, v92, v9, v8
                                        ; implicit-def: $vgpr9
	s_cbranch_vccz .LBB4_5256
; %bb.5243:                             ;   in Loop: Header=BB4_4846 Depth=3
	s_mov_b32 s17, 0
	s_and_saveexec_b32 s22, s18
	s_xor_b32 s18, exec_lo, s22
	s_cbranch_execz .LBB4_5513
; %bb.5244:                             ;   in Loop: Header=BB4_4846 Depth=3
	v_cmp_eq_u16_sdwa s23, v14, v118 src0_sel:BYTE_3 src1_sel:DWORD
	s_mov_b32 s17, -1
	s_and_saveexec_b32 s22, s23
; %bb.5245:                             ;   in Loop: Header=BB4_4846 Depth=3
	s_xor_b32 s17, exec_lo, -1
; %bb.5246:                             ;   in Loop: Header=BB4_4846 Depth=3
	s_or_b32 exec_lo, exec_lo, s22
	s_and_b32 s17, s17, exec_lo
	s_or_saveexec_b32 s18, s18
	v_mov_b32_e32 v9, 0x7f800001
	s_xor_b32 exec_lo, exec_lo, s18
	s_cbranch_execnz .LBB4_5514
.LBB4_5247:                             ;   in Loop: Header=BB4_4846 Depth=3
	s_or_b32 exec_lo, exec_lo, s18
	s_and_saveexec_b32 s18, s17
	s_cbranch_execz .LBB4_5249
.LBB4_5248:                             ;   in Loop: Header=BB4_4846 Depth=3
	v_bfe_u32 v9, v14, 24, 3
	v_bfe_u32 v94, v14, 27, 4
	v_ffbh_u32_e32 v92, v9
	v_cmp_eq_u32_e32 vcc_lo, 0, v94
	v_min_u32_e32 v92, 32, v92
	v_subrev_nc_u32_e32 v93, 28, v92
	v_sub_nc_u32_e32 v92, 29, v92
	v_lshlrev_b32_sdwa v93, v93, v14 dst_sel:DWORD dst_unused:UNUSED_PAD src0_sel:DWORD src1_sel:BYTE_3
	v_cndmask_b32_e32 v92, v94, v92, vcc_lo
	v_and_b32_e32 v93, 7, v93
	v_lshl_add_u32 v92, v92, 23, 0x3b800000
	v_cndmask_b32_e32 v9, v9, v93, vcc_lo
	v_and_b32_e32 v93, 0x80000000, v14
	v_lshlrev_b32_e32 v9, 20, v9
	v_or3_b32 v9, v93, v92, v9
.LBB4_5249:                             ;   in Loop: Header=BB4_4846 Depth=3
	s_or_b32 exec_lo, exec_lo, s18
	v_cmp_gt_i16_sdwa s18, v10, v117 src0_sel:BYTE_3 src1_sel:DWORD
	s_mov_b32 s17, 0
	s_and_saveexec_b32 s22, s18
	s_xor_b32 s18, exec_lo, s22
	s_cbranch_execz .LBB4_5515
; %bb.5250:                             ;   in Loop: Header=BB4_4846 Depth=3
	v_cmp_eq_u16_sdwa s23, v10, v118 src0_sel:BYTE_3 src1_sel:DWORD
	s_mov_b32 s17, -1
	s_and_saveexec_b32 s22, s23
; %bb.5251:                             ;   in Loop: Header=BB4_4846 Depth=3
	s_xor_b32 s17, exec_lo, -1
; %bb.5252:                             ;   in Loop: Header=BB4_4846 Depth=3
	s_or_b32 exec_lo, exec_lo, s22
	s_and_b32 s17, s17, exec_lo
	s_or_saveexec_b32 s18, s18
	v_mov_b32_e32 v92, 0x7f800001
	s_xor_b32 exec_lo, exec_lo, s18
	s_cbranch_execnz .LBB4_5516
.LBB4_5253:                             ;   in Loop: Header=BB4_4846 Depth=3
	s_or_b32 exec_lo, exec_lo, s18
	s_and_saveexec_b32 s18, s17
.LBB4_5254:                             ;   in Loop: Header=BB4_4846 Depth=3
	v_mov_b32_e32 v92, v8
.LBB4_5255:                             ;   in Loop: Header=BB4_4846 Depth=3
	s_or_b32 exec_lo, exec_lo, s18
	v_max_f32_e32 v92, v92, v92
	v_max_f32_e32 v9, v9, v9
	s_mov_b32 s17, 0
	v_max_f32_e32 v9, v9, v92
.LBB4_5256:                             ;   in Loop: Header=BB4_4846 Depth=3
	s_and_b32 vcc_lo, exec_lo, s17
	s_cbranch_vccz .LBB4_5270
; %bb.5257:                             ;   in Loop: Header=BB4_4846 Depth=3
	v_cmp_gt_i16_sdwa s18, v14, v117 src0_sel:BYTE_3 src1_sel:DWORD
	s_mov_b32 s17, 0
	s_and_saveexec_b32 s22, s18
	s_xor_b32 s18, exec_lo, s22
	s_cbranch_execz .LBB4_5517
; %bb.5258:                             ;   in Loop: Header=BB4_4846 Depth=3
	v_cmp_eq_u16_sdwa s23, v14, v118 src0_sel:BYTE_3 src1_sel:DWORD
	s_mov_b32 s17, -1
	s_and_saveexec_b32 s22, s23
; %bb.5259:                             ;   in Loop: Header=BB4_4846 Depth=3
	s_xor_b32 s17, exec_lo, -1
; %bb.5260:                             ;   in Loop: Header=BB4_4846 Depth=3
	s_or_b32 exec_lo, exec_lo, s22
	s_and_b32 s17, s17, exec_lo
	s_or_saveexec_b32 s18, s18
	v_mov_b32_e32 v9, 0x7f800001
	s_xor_b32 exec_lo, exec_lo, s18
	s_cbranch_execnz .LBB4_5518
.LBB4_5261:                             ;   in Loop: Header=BB4_4846 Depth=3
	s_or_b32 exec_lo, exec_lo, s18
	s_and_saveexec_b32 s18, s17
	s_cbranch_execz .LBB4_5263
.LBB4_5262:                             ;   in Loop: Header=BB4_4846 Depth=3
	v_bfe_u32 v9, v14, 24, 3
	v_bfe_u32 v94, v14, 27, 4
	v_ffbh_u32_e32 v92, v9
	v_cmp_eq_u32_e32 vcc_lo, 0, v94
	v_min_u32_e32 v92, 32, v92
	v_subrev_nc_u32_e32 v93, 28, v92
	v_sub_nc_u32_e32 v92, 29, v92
	v_lshlrev_b32_sdwa v93, v93, v14 dst_sel:DWORD dst_unused:UNUSED_PAD src0_sel:DWORD src1_sel:BYTE_3
	v_cndmask_b32_e32 v92, v94, v92, vcc_lo
	v_and_b32_e32 v14, 0x80000000, v14
	v_and_b32_e32 v93, 7, v93
	v_lshl_add_u32 v92, v92, 23, 0x3b800000
	v_cndmask_b32_e32 v9, v9, v93, vcc_lo
	v_lshlrev_b32_e32 v9, 20, v9
	v_or3_b32 v9, v14, v92, v9
.LBB4_5263:                             ;   in Loop: Header=BB4_4846 Depth=3
	s_or_b32 exec_lo, exec_lo, s18
	v_cmp_gt_i16_sdwa s18, v10, v117 src0_sel:BYTE_3 src1_sel:DWORD
	s_mov_b32 s17, 0
	s_and_saveexec_b32 s22, s18
	s_xor_b32 s18, exec_lo, s22
	s_cbranch_execz .LBB4_5519
; %bb.5264:                             ;   in Loop: Header=BB4_4846 Depth=3
	v_cmp_eq_u16_sdwa s23, v10, v118 src0_sel:BYTE_3 src1_sel:DWORD
	s_mov_b32 s17, -1
	s_and_saveexec_b32 s22, s23
; %bb.5265:                             ;   in Loop: Header=BB4_4846 Depth=3
	s_xor_b32 s17, exec_lo, -1
; %bb.5266:                             ;   in Loop: Header=BB4_4846 Depth=3
	s_or_b32 exec_lo, exec_lo, s22
	s_and_b32 s17, s17, exec_lo
	s_or_saveexec_b32 s18, s18
	v_mov_b32_e32 v14, 0x7f800001
	s_xor_b32 exec_lo, exec_lo, s18
	s_cbranch_execnz .LBB4_5520
.LBB4_5267:                             ;   in Loop: Header=BB4_4846 Depth=3
	s_or_b32 exec_lo, exec_lo, s18
	s_and_saveexec_b32 s18, s17
.LBB4_5268:                             ;   in Loop: Header=BB4_4846 Depth=3
	v_mov_b32_e32 v14, v8
.LBB4_5269:                             ;   in Loop: Header=BB4_4846 Depth=3
	s_or_b32 exec_lo, exec_lo, s18
	v_max_f32_e32 v8, v14, v14
	v_max_f32_e32 v9, v9, v9
	v_min_f32_e32 v9, v9, v8
.LBB4_5270:                             ;   in Loop: Header=BB4_4846 Depth=3
	v_and_b32_e32 v8, 0x7f800000, v9
	v_mov_b32_e32 v14, 0x8000
	s_mov_b32 s18, exec_lo
	v_cmpx_ne_u32_e32 0x7f800000, v8
	s_cbranch_execz .LBB4_5278
; %bb.5271:                             ;   in Loop: Header=BB4_4846 Depth=3
	v_mov_b32_e32 v14, 0
	s_mov_b32 s22, exec_lo
	v_cmpx_ne_u32_e32 0, v9
	s_cbranch_execz .LBB4_5277
; %bb.5272:                             ;   in Loop: Header=BB4_4846 Depth=3
	v_bfe_u32 v8, v9, 23, 8
	v_and_b32_e32 v10, 0x7fffff, v9
	v_sub_nc_u32_e32 v14, 0x78, v8
	v_cmp_gt_u32_e32 vcc_lo, 0x79, v8
	v_or_b32_e32 v92, 0x800000, v10
	v_cndmask_b32_e32 v14, 0, v14, vcc_lo
	v_cmp_eq_u32_e32 vcc_lo, 0, v8
	v_add_nc_u32_e32 v8, 0xffffff89, v8
	v_cndmask_b32_e64 v14, v14, 0x77, vcc_lo
	v_cndmask_b32_e32 v10, v92, v10, vcc_lo
	v_cndmask_b32_e64 v8, v8, 0xffffff8a, vcc_lo
	v_lshl_add_u32 v92, 0x100000, v14, -1
	v_lshrrev_b32_e32 v93, v14, v10
	v_lshlrev_b32_e64 v95, v14, 0x80000
	v_add_nc_u32_e32 v14, v14, v8
	v_and_b32_e32 v10, v92, v10
	v_bfe_u32 v94, v93, 20, 1
	v_cmp_eq_u32_e64 s17, v10, v95
	v_add_nc_u32_e32 v92, -1, v94
	v_cndmask_b32_e64 v10, 0, v92, s17
	v_lshrrev_b32_e32 v92, 23, v93
	s_mov_b32 s17, exec_lo
	v_add_nc_u32_e32 v10, v10, v93
	v_xor_b32_e32 v92, 1, v92
	v_and_b32_e32 v8, 0xfffff, v10
	v_add_nc_u32_e32 v10, v8, v93
                                        ; implicit-def: $vgpr8
	v_cmpx_ne_u32_e64 v14, v92
	s_xor_b32 s17, exec_lo, s17
; %bb.5273:                             ;   in Loop: Header=BB4_4846 Depth=3
	v_cmp_lt_u32_e32 vcc_lo, 0xffffff, v10
	v_sub_nc_u32_e32 v8, v14, v92
	v_cndmask_b32_e64 v14, 0, 1, vcc_lo
	v_add_co_ci_u32_e64 v8, null, 0, v8, vcc_lo
	v_lshrrev_b32_e32 v10, v14, v10
; %bb.5274:                             ;   in Loop: Header=BB4_4846 Depth=3
	s_andn2_saveexec_b32 s17, s17
; %bb.5275:                             ;   in Loop: Header=BB4_4846 Depth=3
	v_bfe_u32 v8, v10, 23, 1
; %bb.5276:                             ;   in Loop: Header=BB4_4846 Depth=3
	s_or_b32 exec_lo, exec_lo, s17
	v_lshrrev_b32_e32 v10, 20, v10
	v_min_i32_e32 v14, 15, v8
	v_cmp_gt_i32_e32 vcc_lo, 16, v8
	v_and_b32_sdwa v9, v9, v118 dst_sel:DWORD dst_unused:UNUSED_PAD src0_sel:BYTE_3 src1_sel:DWORD
	v_lshlrev_b32_e32 v14, 3, v14
	v_cndmask_b32_e32 v10, 7, v10, vcc_lo
	v_and_b32_e32 v14, 0xf8, v14
	v_and_b32_e32 v92, 7, v10
	v_or_b32_e32 v8, v8, v10
	v_or3_b32 v9, v9, v14, v92
	v_cmp_ne_u32_e32 vcc_lo, 0, v8
	v_lshlrev_b32_e32 v9, 8, v9
	v_cndmask_b32_e32 v14, 0, v9, vcc_lo
.LBB4_5277:                             ;   in Loop: Header=BB4_4846 Depth=3
	s_or_b32 exec_lo, exec_lo, s22
.LBB4_5278:                             ;   in Loop: Header=BB4_4846 Depth=3
	s_or_b32 exec_lo, exec_lo, s18
	v_and_b32_e32 v8, 7, v11
	v_bfe_u32 v92, v11, 3, 4
	v_lshlrev_b32_e32 v93, 24, v11
	v_cmp_gt_i16_sdwa s18, v15, v117 src0_sel:BYTE_0 src1_sel:DWORD
	s_mov_b32 s17, -1
	v_ffbh_u32_e32 v9, v8
	v_cmp_eq_u32_e32 vcc_lo, 0, v92
	v_min_u32_e32 v9, 32, v9
	v_subrev_nc_u32_e32 v10, 28, v9
	v_sub_nc_u32_e32 v9, 29, v9
	v_lshlrev_b32_e32 v10, v10, v11
	v_cndmask_b32_e32 v9, v92, v9, vcc_lo
	v_and_b32_e32 v10, 7, v10
	v_lshl_add_u32 v9, v9, 23, 0x3b800000
	v_cndmask_b32_e32 v8, v8, v10, vcc_lo
	v_and_b32_e32 v10, 0x80000000, v93
	s_and_b32 vcc_lo, exec_lo, s75
	v_lshlrev_b32_e32 v8, 20, v8
	v_or3_b32 v8, v10, v9, v8
                                        ; implicit-def: $vgpr9
	s_cbranch_vccz .LBB4_5292
; %bb.5279:                             ;   in Loop: Header=BB4_4846 Depth=3
	s_mov_b32 s17, 0
	s_and_saveexec_b32 s22, s18
	s_xor_b32 s18, exec_lo, s22
	s_cbranch_execz .LBB4_5521
; %bb.5280:                             ;   in Loop: Header=BB4_4846 Depth=3
	v_cmp_eq_u16_sdwa s23, v15, v118 src0_sel:BYTE_0 src1_sel:DWORD
	s_mov_b32 s17, -1
	s_and_saveexec_b32 s22, s23
; %bb.5281:                             ;   in Loop: Header=BB4_4846 Depth=3
	s_xor_b32 s17, exec_lo, -1
; %bb.5282:                             ;   in Loop: Header=BB4_4846 Depth=3
	s_or_b32 exec_lo, exec_lo, s22
	s_and_b32 s17, s17, exec_lo
	s_or_saveexec_b32 s18, s18
	v_mov_b32_e32 v9, 0x7f800001
	s_xor_b32 exec_lo, exec_lo, s18
	s_cbranch_execnz .LBB4_5522
.LBB4_5283:                             ;   in Loop: Header=BB4_4846 Depth=3
	s_or_b32 exec_lo, exec_lo, s18
	s_and_saveexec_b32 s18, s17
	s_cbranch_execz .LBB4_5285
.LBB4_5284:                             ;   in Loop: Header=BB4_4846 Depth=3
	v_and_b32_e32 v9, 7, v15
	v_bfe_u32 v93, v15, 3, 4
	v_lshlrev_b32_e32 v94, 24, v15
	v_ffbh_u32_e32 v10, v9
	v_cmp_eq_u32_e32 vcc_lo, 0, v93
	v_min_u32_e32 v10, 32, v10
	v_subrev_nc_u32_e32 v92, 28, v10
	v_sub_nc_u32_e32 v10, 29, v10
	v_lshlrev_b32_e32 v92, v92, v15
	v_cndmask_b32_e32 v10, v93, v10, vcc_lo
	v_and_b32_e32 v92, 7, v92
	v_lshl_add_u32 v10, v10, 23, 0x3b800000
	v_cndmask_b32_e32 v9, v9, v92, vcc_lo
	v_and_b32_e32 v92, 0x80000000, v94
	v_lshlrev_b32_e32 v9, 20, v9
	v_or3_b32 v9, v92, v10, v9
.LBB4_5285:                             ;   in Loop: Header=BB4_4846 Depth=3
	s_or_b32 exec_lo, exec_lo, s18
	v_cmp_gt_i16_sdwa s18, v11, v117 src0_sel:BYTE_0 src1_sel:DWORD
	s_mov_b32 s17, 0
	s_and_saveexec_b32 s22, s18
	s_xor_b32 s18, exec_lo, s22
	s_cbranch_execz .LBB4_5523
; %bb.5286:                             ;   in Loop: Header=BB4_4846 Depth=3
	v_cmp_eq_u16_sdwa s23, v11, v118 src0_sel:BYTE_0 src1_sel:DWORD
	s_mov_b32 s17, -1
	s_and_saveexec_b32 s22, s23
; %bb.5287:                             ;   in Loop: Header=BB4_4846 Depth=3
	s_xor_b32 s17, exec_lo, -1
; %bb.5288:                             ;   in Loop: Header=BB4_4846 Depth=3
	s_or_b32 exec_lo, exec_lo, s22
	s_and_b32 s17, s17, exec_lo
	s_or_saveexec_b32 s18, s18
	v_mov_b32_e32 v10, 0x7f800001
	s_xor_b32 exec_lo, exec_lo, s18
	s_cbranch_execnz .LBB4_5524
.LBB4_5289:                             ;   in Loop: Header=BB4_4846 Depth=3
	s_or_b32 exec_lo, exec_lo, s18
	s_and_saveexec_b32 s18, s17
.LBB4_5290:                             ;   in Loop: Header=BB4_4846 Depth=3
	v_mov_b32_e32 v10, v8
.LBB4_5291:                             ;   in Loop: Header=BB4_4846 Depth=3
	s_or_b32 exec_lo, exec_lo, s18
	v_max_f32_e32 v10, v10, v10
	v_max_f32_e32 v9, v9, v9
	s_mov_b32 s17, 0
	v_max_f32_e32 v9, v9, v10
.LBB4_5292:                             ;   in Loop: Header=BB4_4846 Depth=3
	s_and_b32 vcc_lo, exec_lo, s17
	s_cbranch_vccz .LBB4_5306
; %bb.5293:                             ;   in Loop: Header=BB4_4846 Depth=3
	v_cmp_gt_i16_sdwa s18, v15, v117 src0_sel:BYTE_0 src1_sel:DWORD
	s_mov_b32 s17, 0
	s_and_saveexec_b32 s22, s18
	s_xor_b32 s18, exec_lo, s22
	s_cbranch_execz .LBB4_5525
; %bb.5294:                             ;   in Loop: Header=BB4_4846 Depth=3
	v_cmp_eq_u16_sdwa s23, v15, v118 src0_sel:BYTE_0 src1_sel:DWORD
	s_mov_b32 s17, -1
	s_and_saveexec_b32 s22, s23
; %bb.5295:                             ;   in Loop: Header=BB4_4846 Depth=3
	s_xor_b32 s17, exec_lo, -1
; %bb.5296:                             ;   in Loop: Header=BB4_4846 Depth=3
	s_or_b32 exec_lo, exec_lo, s22
	s_and_b32 s17, s17, exec_lo
	s_or_saveexec_b32 s18, s18
	v_mov_b32_e32 v9, 0x7f800001
	s_xor_b32 exec_lo, exec_lo, s18
	s_cbranch_execnz .LBB4_5526
.LBB4_5297:                             ;   in Loop: Header=BB4_4846 Depth=3
	s_or_b32 exec_lo, exec_lo, s18
	s_and_saveexec_b32 s18, s17
	s_cbranch_execz .LBB4_5299
.LBB4_5298:                             ;   in Loop: Header=BB4_4846 Depth=3
	v_and_b32_e32 v9, 7, v15
	v_bfe_u32 v93, v15, 3, 4
	v_lshlrev_b32_e32 v94, 24, v15
	v_ffbh_u32_e32 v10, v9
	v_cmp_eq_u32_e32 vcc_lo, 0, v93
	v_min_u32_e32 v10, 32, v10
	v_subrev_nc_u32_e32 v92, 28, v10
	v_sub_nc_u32_e32 v10, 29, v10
	v_lshlrev_b32_e32 v92, v92, v15
	v_cndmask_b32_e32 v10, v93, v10, vcc_lo
	v_and_b32_e32 v92, 7, v92
	v_lshl_add_u32 v10, v10, 23, 0x3b800000
	v_cndmask_b32_e32 v9, v9, v92, vcc_lo
	v_and_b32_e32 v92, 0x80000000, v94
	v_lshlrev_b32_e32 v9, 20, v9
	v_or3_b32 v9, v92, v10, v9
.LBB4_5299:                             ;   in Loop: Header=BB4_4846 Depth=3
	s_or_b32 exec_lo, exec_lo, s18
	v_cmp_gt_i16_sdwa s18, v11, v117 src0_sel:BYTE_0 src1_sel:DWORD
	s_mov_b32 s17, 0
	s_and_saveexec_b32 s22, s18
	s_xor_b32 s18, exec_lo, s22
	s_cbranch_execz .LBB4_5527
; %bb.5300:                             ;   in Loop: Header=BB4_4846 Depth=3
	v_cmp_eq_u16_sdwa s23, v11, v118 src0_sel:BYTE_0 src1_sel:DWORD
	s_mov_b32 s17, -1
	s_and_saveexec_b32 s22, s23
; %bb.5301:                             ;   in Loop: Header=BB4_4846 Depth=3
	s_xor_b32 s17, exec_lo, -1
; %bb.5302:                             ;   in Loop: Header=BB4_4846 Depth=3
	s_or_b32 exec_lo, exec_lo, s22
	s_and_b32 s17, s17, exec_lo
	s_or_saveexec_b32 s18, s18
	v_mov_b32_e32 v10, 0x7f800001
	s_xor_b32 exec_lo, exec_lo, s18
	s_cbranch_execnz .LBB4_5528
.LBB4_5303:                             ;   in Loop: Header=BB4_4846 Depth=3
	s_or_b32 exec_lo, exec_lo, s18
	s_and_saveexec_b32 s18, s17
.LBB4_5304:                             ;   in Loop: Header=BB4_4846 Depth=3
	v_mov_b32_e32 v10, v8
.LBB4_5305:                             ;   in Loop: Header=BB4_4846 Depth=3
	s_or_b32 exec_lo, exec_lo, s18
	v_max_f32_e32 v8, v10, v10
	v_max_f32_e32 v9, v9, v9
	v_min_f32_e32 v9, v9, v8
.LBB4_5306:                             ;   in Loop: Header=BB4_4846 Depth=3
	v_and_b32_e32 v8, 0x7f800000, v9
	v_mov_b32_e32 v92, 0x80
	s_mov_b32 s18, exec_lo
	v_cmpx_ne_u32_e32 0x7f800000, v8
	s_cbranch_execz .LBB4_5314
; %bb.5307:                             ;   in Loop: Header=BB4_4846 Depth=3
	v_mov_b32_e32 v92, 0
	s_mov_b32 s22, exec_lo
	v_cmpx_ne_u32_e32 0, v9
	s_cbranch_execz .LBB4_5313
; %bb.5308:                             ;   in Loop: Header=BB4_4846 Depth=3
	v_bfe_u32 v8, v9, 23, 8
	v_and_b32_e32 v10, 0x7fffff, v9
	v_sub_nc_u32_e32 v92, 0x78, v8
	v_cmp_gt_u32_e32 vcc_lo, 0x79, v8
	v_or_b32_e32 v93, 0x800000, v10
	v_cndmask_b32_e32 v92, 0, v92, vcc_lo
	v_cmp_eq_u32_e32 vcc_lo, 0, v8
	v_add_nc_u32_e32 v8, 0xffffff89, v8
	v_cndmask_b32_e64 v92, v92, 0x77, vcc_lo
	v_cndmask_b32_e32 v10, v93, v10, vcc_lo
	v_cndmask_b32_e64 v8, v8, 0xffffff8a, vcc_lo
	v_lshl_add_u32 v93, 0x100000, v92, -1
	v_lshrrev_b32_e32 v94, v92, v10
	v_lshlrev_b32_e64 v104, v92, 0x80000
	v_add_nc_u32_e32 v92, v92, v8
	v_and_b32_e32 v10, v93, v10
	v_bfe_u32 v95, v94, 20, 1
	v_cmp_eq_u32_e64 s17, v10, v104
	v_add_nc_u32_e32 v93, -1, v95
	v_cndmask_b32_e64 v10, 0, v93, s17
	v_lshrrev_b32_e32 v93, 23, v94
	s_mov_b32 s17, exec_lo
	v_add_nc_u32_e32 v10, v10, v94
	v_xor_b32_e32 v93, 1, v93
	v_and_b32_e32 v8, 0xfffff, v10
	v_add_nc_u32_e32 v10, v8, v94
                                        ; implicit-def: $vgpr8
	v_cmpx_ne_u32_e64 v92, v93
	s_xor_b32 s17, exec_lo, s17
; %bb.5309:                             ;   in Loop: Header=BB4_4846 Depth=3
	v_cmp_lt_u32_e32 vcc_lo, 0xffffff, v10
	v_sub_nc_u32_e32 v8, v92, v93
	v_cndmask_b32_e64 v92, 0, 1, vcc_lo
	v_add_co_ci_u32_e64 v8, null, 0, v8, vcc_lo
	v_lshrrev_b32_e32 v10, v92, v10
; %bb.5310:                             ;   in Loop: Header=BB4_4846 Depth=3
	s_andn2_saveexec_b32 s17, s17
; %bb.5311:                             ;   in Loop: Header=BB4_4846 Depth=3
	v_bfe_u32 v8, v10, 23, 1
; %bb.5312:                             ;   in Loop: Header=BB4_4846 Depth=3
	s_or_b32 exec_lo, exec_lo, s17
	v_lshrrev_b32_e32 v10, 20, v10
	v_min_i32_e32 v92, 15, v8
	v_cmp_gt_i32_e32 vcc_lo, 16, v8
	v_and_b32_sdwa v9, v9, v118 dst_sel:DWORD dst_unused:UNUSED_PAD src0_sel:BYTE_3 src1_sel:DWORD
	v_lshlrev_b32_e32 v92, 3, v92
	v_cndmask_b32_e32 v10, 7, v10, vcc_lo
	v_and_b32_e32 v92, 0xf8, v92
	v_and_b32_e32 v93, 7, v10
	v_or_b32_e32 v8, v8, v10
	v_or3_b32 v9, v92, v9, v93
	v_cmp_ne_u32_e32 vcc_lo, 0, v8
	v_cndmask_b32_e32 v92, 0, v9, vcc_lo
.LBB4_5313:                             ;   in Loop: Header=BB4_4846 Depth=3
	s_or_b32 exec_lo, exec_lo, s22
.LBB4_5314:                             ;   in Loop: Header=BB4_4846 Depth=3
	s_or_b32 exec_lo, exec_lo, s18
	v_and_b32_sdwa v8, v119, v11 dst_sel:DWORD dst_unused:UNUSED_PAD src0_sel:DWORD src1_sel:BYTE_1
	v_cmp_gt_i16_sdwa s18, v15, v117 src0_sel:BYTE_1 src1_sel:DWORD
	s_mov_b32 s17, -1
	v_and_b32_e32 v9, 7, v8
	v_bfe_u32 v94, v8, 3, 4
	v_ffbh_u32_e32 v10, v9
	v_cmp_eq_u32_e32 vcc_lo, 0, v94
	v_min_u32_e32 v10, 32, v10
	v_subrev_nc_u32_e32 v93, 28, v10
	v_sub_nc_u32_e32 v10, 29, v10
	v_lshlrev_b32_e32 v8, v93, v8
	v_lshlrev_b32_sdwa v93, v41, v11 dst_sel:DWORD dst_unused:UNUSED_PAD src0_sel:DWORD src1_sel:BYTE_1
	v_cndmask_b32_e32 v10, v94, v10, vcc_lo
	v_and_b32_e32 v8, 7, v8
	v_lshl_add_u32 v10, v10, 23, 0x3b800000
	v_cndmask_b32_e32 v8, v9, v8, vcc_lo
	v_and_b32_e32 v9, 0x80000000, v93
	s_and_b32 vcc_lo, exec_lo, s75
	v_lshlrev_b32_e32 v8, 20, v8
	v_or3_b32 v8, v9, v10, v8
                                        ; implicit-def: $vgpr9
	s_cbranch_vccz .LBB4_5328
; %bb.5315:                             ;   in Loop: Header=BB4_4846 Depth=3
	s_mov_b32 s17, 0
	s_and_saveexec_b32 s22, s18
	s_xor_b32 s18, exec_lo, s22
	s_cbranch_execz .LBB4_5529
; %bb.5316:                             ;   in Loop: Header=BB4_4846 Depth=3
	v_cmp_eq_u16_sdwa s23, v15, v118 src0_sel:BYTE_1 src1_sel:DWORD
	s_mov_b32 s17, -1
	s_and_saveexec_b32 s22, s23
; %bb.5317:                             ;   in Loop: Header=BB4_4846 Depth=3
	s_xor_b32 s17, exec_lo, -1
; %bb.5318:                             ;   in Loop: Header=BB4_4846 Depth=3
	s_or_b32 exec_lo, exec_lo, s22
	s_and_b32 s17, s17, exec_lo
	s_or_saveexec_b32 s18, s18
	v_mov_b32_e32 v9, 0x7f800001
	s_xor_b32 exec_lo, exec_lo, s18
	s_cbranch_execnz .LBB4_5530
.LBB4_5319:                             ;   in Loop: Header=BB4_4846 Depth=3
	s_or_b32 exec_lo, exec_lo, s18
	s_and_saveexec_b32 s18, s17
	s_cbranch_execz .LBB4_5321
.LBB4_5320:                             ;   in Loop: Header=BB4_4846 Depth=3
	v_and_b32_sdwa v9, v119, v15 dst_sel:DWORD dst_unused:UNUSED_PAD src0_sel:DWORD src1_sel:BYTE_1
	v_and_b32_e32 v10, 7, v9
	v_bfe_u32 v95, v9, 3, 4
	v_ffbh_u32_e32 v93, v10
	v_cmp_eq_u32_e32 vcc_lo, 0, v95
	v_min_u32_e32 v93, 32, v93
	v_subrev_nc_u32_e32 v94, 28, v93
	v_sub_nc_u32_e32 v93, 29, v93
	v_lshlrev_b32_e32 v9, v94, v9
	v_lshlrev_b32_e32 v94, 16, v15
	v_cndmask_b32_e32 v93, v95, v93, vcc_lo
	v_and_b32_e32 v9, 7, v9
	v_lshl_add_u32 v93, v93, 23, 0x3b800000
	v_cndmask_b32_e32 v9, v10, v9, vcc_lo
	v_and_b32_e32 v10, 0x80000000, v94
	v_lshlrev_b32_e32 v9, 20, v9
	v_or3_b32 v9, v10, v93, v9
.LBB4_5321:                             ;   in Loop: Header=BB4_4846 Depth=3
	s_or_b32 exec_lo, exec_lo, s18
	v_cmp_gt_i16_sdwa s18, v11, v117 src0_sel:BYTE_1 src1_sel:DWORD
	s_mov_b32 s17, 0
	s_and_saveexec_b32 s22, s18
	s_xor_b32 s18, exec_lo, s22
	s_cbranch_execz .LBB4_5531
; %bb.5322:                             ;   in Loop: Header=BB4_4846 Depth=3
	v_cmp_eq_u16_sdwa s23, v11, v118 src0_sel:BYTE_1 src1_sel:DWORD
	s_mov_b32 s17, -1
	s_and_saveexec_b32 s22, s23
; %bb.5323:                             ;   in Loop: Header=BB4_4846 Depth=3
	s_xor_b32 s17, exec_lo, -1
; %bb.5324:                             ;   in Loop: Header=BB4_4846 Depth=3
	s_or_b32 exec_lo, exec_lo, s22
	s_and_b32 s17, s17, exec_lo
	s_or_saveexec_b32 s18, s18
	v_mov_b32_e32 v10, 0x7f800001
	s_xor_b32 exec_lo, exec_lo, s18
	s_cbranch_execnz .LBB4_5532
.LBB4_5325:                             ;   in Loop: Header=BB4_4846 Depth=3
	s_or_b32 exec_lo, exec_lo, s18
	s_and_saveexec_b32 s18, s17
.LBB4_5326:                             ;   in Loop: Header=BB4_4846 Depth=3
	v_mov_b32_e32 v10, v8
.LBB4_5327:                             ;   in Loop: Header=BB4_4846 Depth=3
	s_or_b32 exec_lo, exec_lo, s18
	v_max_f32_e32 v10, v10, v10
	v_max_f32_e32 v9, v9, v9
	s_mov_b32 s17, 0
	v_max_f32_e32 v9, v9, v10
.LBB4_5328:                             ;   in Loop: Header=BB4_4846 Depth=3
	s_and_b32 vcc_lo, exec_lo, s17
	s_cbranch_vccz .LBB4_5342
; %bb.5329:                             ;   in Loop: Header=BB4_4846 Depth=3
	v_cmp_gt_i16_sdwa s18, v15, v117 src0_sel:BYTE_1 src1_sel:DWORD
	s_mov_b32 s17, 0
	s_and_saveexec_b32 s22, s18
	s_xor_b32 s18, exec_lo, s22
	s_cbranch_execz .LBB4_5533
; %bb.5330:                             ;   in Loop: Header=BB4_4846 Depth=3
	v_cmp_eq_u16_sdwa s23, v15, v118 src0_sel:BYTE_1 src1_sel:DWORD
	s_mov_b32 s17, -1
	s_and_saveexec_b32 s22, s23
; %bb.5331:                             ;   in Loop: Header=BB4_4846 Depth=3
	s_xor_b32 s17, exec_lo, -1
; %bb.5332:                             ;   in Loop: Header=BB4_4846 Depth=3
	s_or_b32 exec_lo, exec_lo, s22
	s_and_b32 s17, s17, exec_lo
	s_or_saveexec_b32 s18, s18
	v_mov_b32_e32 v9, 0x7f800001
	s_xor_b32 exec_lo, exec_lo, s18
	s_cbranch_execnz .LBB4_5534
.LBB4_5333:                             ;   in Loop: Header=BB4_4846 Depth=3
	s_or_b32 exec_lo, exec_lo, s18
	s_and_saveexec_b32 s18, s17
	s_cbranch_execz .LBB4_5335
.LBB4_5334:                             ;   in Loop: Header=BB4_4846 Depth=3
	v_and_b32_sdwa v9, v119, v15 dst_sel:DWORD dst_unused:UNUSED_PAD src0_sel:DWORD src1_sel:BYTE_1
	v_and_b32_e32 v10, 7, v9
	v_bfe_u32 v95, v9, 3, 4
	v_ffbh_u32_e32 v93, v10
	v_cmp_eq_u32_e32 vcc_lo, 0, v95
	v_min_u32_e32 v93, 32, v93
	v_subrev_nc_u32_e32 v94, 28, v93
	v_sub_nc_u32_e32 v93, 29, v93
	v_lshlrev_b32_e32 v9, v94, v9
	v_lshlrev_b32_e32 v94, 16, v15
	v_cndmask_b32_e32 v93, v95, v93, vcc_lo
	v_and_b32_e32 v9, 7, v9
	v_lshl_add_u32 v93, v93, 23, 0x3b800000
	v_cndmask_b32_e32 v9, v10, v9, vcc_lo
	v_and_b32_e32 v10, 0x80000000, v94
	v_lshlrev_b32_e32 v9, 20, v9
	v_or3_b32 v9, v10, v93, v9
.LBB4_5335:                             ;   in Loop: Header=BB4_4846 Depth=3
	s_or_b32 exec_lo, exec_lo, s18
	v_cmp_gt_i16_sdwa s18, v11, v117 src0_sel:BYTE_1 src1_sel:DWORD
	s_mov_b32 s17, 0
	s_and_saveexec_b32 s22, s18
	s_xor_b32 s18, exec_lo, s22
	s_cbranch_execz .LBB4_5535
; %bb.5336:                             ;   in Loop: Header=BB4_4846 Depth=3
	v_cmp_eq_u16_sdwa s23, v11, v118 src0_sel:BYTE_1 src1_sel:DWORD
	s_mov_b32 s17, -1
	s_and_saveexec_b32 s22, s23
; %bb.5337:                             ;   in Loop: Header=BB4_4846 Depth=3
	s_xor_b32 s17, exec_lo, -1
; %bb.5338:                             ;   in Loop: Header=BB4_4846 Depth=3
	s_or_b32 exec_lo, exec_lo, s22
	s_and_b32 s17, s17, exec_lo
	s_or_saveexec_b32 s18, s18
	v_mov_b32_e32 v10, 0x7f800001
	s_xor_b32 exec_lo, exec_lo, s18
	s_cbranch_execnz .LBB4_5536
.LBB4_5339:                             ;   in Loop: Header=BB4_4846 Depth=3
	s_or_b32 exec_lo, exec_lo, s18
	s_and_saveexec_b32 s18, s17
.LBB4_5340:                             ;   in Loop: Header=BB4_4846 Depth=3
	v_mov_b32_e32 v10, v8
.LBB4_5341:                             ;   in Loop: Header=BB4_4846 Depth=3
	s_or_b32 exec_lo, exec_lo, s18
	v_max_f32_e32 v8, v10, v10
	v_max_f32_e32 v9, v9, v9
	v_min_f32_e32 v9, v9, v8
.LBB4_5342:                             ;   in Loop: Header=BB4_4846 Depth=3
	v_and_b32_e32 v8, 0x7f800000, v9
	v_mov_b32_e32 v93, 0x8000
	s_mov_b32 s18, exec_lo
	v_cmpx_ne_u32_e32 0x7f800000, v8
	s_cbranch_execz .LBB4_5350
; %bb.5343:                             ;   in Loop: Header=BB4_4846 Depth=3
	v_mov_b32_e32 v93, 0
	s_mov_b32 s22, exec_lo
	v_cmpx_ne_u32_e32 0, v9
	s_cbranch_execz .LBB4_5349
; %bb.5344:                             ;   in Loop: Header=BB4_4846 Depth=3
	v_bfe_u32 v8, v9, 23, 8
	v_and_b32_e32 v10, 0x7fffff, v9
	v_sub_nc_u32_e32 v93, 0x78, v8
	v_cmp_gt_u32_e32 vcc_lo, 0x79, v8
	v_or_b32_e32 v94, 0x800000, v10
	v_cndmask_b32_e32 v93, 0, v93, vcc_lo
	v_cmp_eq_u32_e32 vcc_lo, 0, v8
	v_add_nc_u32_e32 v8, 0xffffff89, v8
	v_cndmask_b32_e64 v93, v93, 0x77, vcc_lo
	v_cndmask_b32_e32 v10, v94, v10, vcc_lo
	v_cndmask_b32_e64 v8, v8, 0xffffff8a, vcc_lo
	v_lshl_add_u32 v94, 0x100000, v93, -1
	v_lshrrev_b32_e32 v95, v93, v10
	v_lshlrev_b32_e64 v105, v93, 0x80000
	v_add_nc_u32_e32 v93, v93, v8
	v_and_b32_e32 v10, v94, v10
	v_bfe_u32 v104, v95, 20, 1
	v_cmp_eq_u32_e64 s17, v10, v105
	v_add_nc_u32_e32 v94, -1, v104
	v_cndmask_b32_e64 v10, 0, v94, s17
	v_lshrrev_b32_e32 v94, 23, v95
	s_mov_b32 s17, exec_lo
	v_add_nc_u32_e32 v10, v10, v95
	v_xor_b32_e32 v94, 1, v94
	v_and_b32_e32 v8, 0xfffff, v10
	v_add_nc_u32_e32 v10, v8, v95
                                        ; implicit-def: $vgpr8
	v_cmpx_ne_u32_e64 v93, v94
	s_xor_b32 s17, exec_lo, s17
; %bb.5345:                             ;   in Loop: Header=BB4_4846 Depth=3
	v_cmp_lt_u32_e32 vcc_lo, 0xffffff, v10
	v_sub_nc_u32_e32 v8, v93, v94
	v_cndmask_b32_e64 v93, 0, 1, vcc_lo
	v_add_co_ci_u32_e64 v8, null, 0, v8, vcc_lo
	v_lshrrev_b32_e32 v10, v93, v10
; %bb.5346:                             ;   in Loop: Header=BB4_4846 Depth=3
	s_andn2_saveexec_b32 s17, s17
; %bb.5347:                             ;   in Loop: Header=BB4_4846 Depth=3
	v_bfe_u32 v8, v10, 23, 1
; %bb.5348:                             ;   in Loop: Header=BB4_4846 Depth=3
	s_or_b32 exec_lo, exec_lo, s17
	v_lshrrev_b32_e32 v10, 20, v10
	v_min_i32_e32 v93, 15, v8
	v_cmp_gt_i32_e32 vcc_lo, 16, v8
	v_and_b32_sdwa v9, v9, v118 dst_sel:DWORD dst_unused:UNUSED_PAD src0_sel:BYTE_3 src1_sel:DWORD
	v_lshlrev_b32_e32 v93, 3, v93
	v_cndmask_b32_e32 v10, 7, v10, vcc_lo
	v_and_b32_e32 v93, 0xf8, v93
	v_and_b32_e32 v94, 7, v10
	v_or_b32_e32 v8, v8, v10
	v_or3_b32 v9, v9, v93, v94
	v_cmp_ne_u32_e32 vcc_lo, 0, v8
	v_lshlrev_b32_e32 v9, 8, v9
	v_cndmask_b32_e32 v93, 0, v9, vcc_lo
.LBB4_5349:                             ;   in Loop: Header=BB4_4846 Depth=3
	s_or_b32 exec_lo, exec_lo, s22
.LBB4_5350:                             ;   in Loop: Header=BB4_4846 Depth=3
	s_or_b32 exec_lo, exec_lo, s18
	v_bfe_u32 v8, v11, 16, 3
	v_bfe_u32 v94, v11, 19, 4
	v_lshlrev_b32_e32 v95, 8, v11
	s_mov_b32 s18, -1
	v_ffbh_u32_e32 v9, v8
	v_cmp_eq_u32_e32 vcc_lo, 0, v94
	v_min_u32_e32 v9, 32, v9
	v_subrev_nc_u32_e32 v10, 28, v9
	v_sub_nc_u32_e32 v9, 29, v9
	v_lshlrev_b32_sdwa v10, v10, v11 dst_sel:DWORD dst_unused:UNUSED_PAD src0_sel:DWORD src1_sel:WORD_1
	v_cndmask_b32_e32 v9, v94, v9, vcc_lo
	v_and_b32_e32 v10, 7, v10
	v_lshl_add_u32 v94, v9, 23, 0x3b800000
	v_and_b32_sdwa v9, v15, v40 dst_sel:DWORD dst_unused:UNUSED_PAD src0_sel:WORD_1 src1_sel:DWORD
	v_cndmask_b32_e32 v8, v8, v10, vcc_lo
	v_and_b32_e32 v10, 0x80000000, v95
	v_cmp_lt_i16_e64 s17, 0x7f, v9
	s_and_b32 vcc_lo, exec_lo, s75
	v_lshlrev_b32_e32 v8, 20, v8
	v_or3_b32 v8, v10, v94, v8
                                        ; implicit-def: $vgpr10
	s_cbranch_vccz .LBB4_5364
; %bb.5351:                             ;   in Loop: Header=BB4_4846 Depth=3
	s_mov_b32 s18, 0
	s_and_saveexec_b32 s22, s17
	s_xor_b32 s17, exec_lo, s22
	s_cbranch_execz .LBB4_5537
; %bb.5352:                             ;   in Loop: Header=BB4_4846 Depth=3
	s_mov_b32 s18, -1
	s_mov_b32 s22, exec_lo
	v_cmpx_eq_u16_e32 0x80, v9
; %bb.5353:                             ;   in Loop: Header=BB4_4846 Depth=3
	s_xor_b32 s18, exec_lo, -1
; %bb.5354:                             ;   in Loop: Header=BB4_4846 Depth=3
	s_or_b32 exec_lo, exec_lo, s22
	s_and_b32 s18, s18, exec_lo
	s_or_saveexec_b32 s17, s17
	v_mov_b32_e32 v10, 0x7f800001
	s_xor_b32 exec_lo, exec_lo, s17
	s_cbranch_execnz .LBB4_5538
.LBB4_5355:                             ;   in Loop: Header=BB4_4846 Depth=3
	s_or_b32 exec_lo, exec_lo, s17
	s_and_saveexec_b32 s17, s18
	s_cbranch_execz .LBB4_5357
.LBB4_5356:                             ;   in Loop: Header=BB4_4846 Depth=3
	v_bfe_u32 v10, v15, 16, 3
	v_bfe_u32 v104, v15, 19, 4
	v_lshlrev_b32_sdwa v105, v41, v15 dst_sel:DWORD dst_unused:UNUSED_PAD src0_sel:DWORD src1_sel:WORD_1
	v_ffbh_u32_e32 v94, v10
	v_cmp_eq_u32_e32 vcc_lo, 0, v104
	v_min_u32_e32 v94, 32, v94
	v_subrev_nc_u32_e32 v95, 28, v94
	v_sub_nc_u32_e32 v94, 29, v94
	v_lshlrev_b32_sdwa v95, v95, v15 dst_sel:DWORD dst_unused:UNUSED_PAD src0_sel:DWORD src1_sel:WORD_1
	v_cndmask_b32_e32 v94, v104, v94, vcc_lo
	v_and_b32_e32 v95, 7, v95
	v_lshl_add_u32 v94, v94, 23, 0x3b800000
	v_cndmask_b32_e32 v10, v10, v95, vcc_lo
	v_and_b32_e32 v95, 0x80000000, v105
	v_lshlrev_b32_e32 v10, 20, v10
	v_or3_b32 v10, v95, v94, v10
.LBB4_5357:                             ;   in Loop: Header=BB4_4846 Depth=3
	s_or_b32 exec_lo, exec_lo, s17
	v_and_b32_sdwa v95, v11, v40 dst_sel:DWORD dst_unused:UNUSED_PAD src0_sel:WORD_1 src1_sel:DWORD
	s_mov_b32 s17, 0
	s_mov_b32 s18, exec_lo
	v_cmpx_lt_i16_e32 0x7f, v95
	s_xor_b32 s18, exec_lo, s18
	s_cbranch_execz .LBB4_5539
; %bb.5358:                             ;   in Loop: Header=BB4_4846 Depth=3
	s_mov_b32 s17, -1
	s_mov_b32 s22, exec_lo
	v_cmpx_eq_u16_e32 0x80, v95
; %bb.5359:                             ;   in Loop: Header=BB4_4846 Depth=3
	s_xor_b32 s17, exec_lo, -1
; %bb.5360:                             ;   in Loop: Header=BB4_4846 Depth=3
	s_or_b32 exec_lo, exec_lo, s22
	s_and_b32 s17, s17, exec_lo
                                        ; implicit-def: $vgpr95
	s_or_saveexec_b32 s18, s18
	v_mov_b32_e32 v94, 0x7f800001
	s_xor_b32 exec_lo, exec_lo, s18
	s_cbranch_execnz .LBB4_5540
.LBB4_5361:                             ;   in Loop: Header=BB4_4846 Depth=3
	s_or_b32 exec_lo, exec_lo, s18
	s_and_saveexec_b32 s18, s17
.LBB4_5362:                             ;   in Loop: Header=BB4_4846 Depth=3
	v_mov_b32_e32 v94, v8
.LBB4_5363:                             ;   in Loop: Header=BB4_4846 Depth=3
	s_or_b32 exec_lo, exec_lo, s18
	v_max_f32_e32 v94, v94, v94
	v_max_f32_e32 v10, v10, v10
	s_mov_b32 s18, 0
	v_max_f32_e32 v10, v10, v94
.LBB4_5364:                             ;   in Loop: Header=BB4_4846 Depth=3
	s_and_b32 vcc_lo, exec_lo, s18
	s_cbranch_vccz .LBB4_5378
; %bb.5365:                             ;   in Loop: Header=BB4_4846 Depth=3
	s_mov_b32 s17, 0
	s_mov_b32 s18, exec_lo
	v_cmpx_lt_i16_e32 0x7f, v9
	s_xor_b32 s18, exec_lo, s18
	s_cbranch_execz .LBB4_5541
; %bb.5366:                             ;   in Loop: Header=BB4_4846 Depth=3
	s_mov_b32 s17, -1
	s_mov_b32 s22, exec_lo
	v_cmpx_eq_u16_e32 0x80, v9
; %bb.5367:                             ;   in Loop: Header=BB4_4846 Depth=3
	s_xor_b32 s17, exec_lo, -1
; %bb.5368:                             ;   in Loop: Header=BB4_4846 Depth=3
	s_or_b32 exec_lo, exec_lo, s22
	s_and_b32 s17, s17, exec_lo
                                        ; implicit-def: $vgpr9
	s_or_saveexec_b32 s18, s18
	v_mov_b32_e32 v10, 0x7f800001
	s_xor_b32 exec_lo, exec_lo, s18
	s_cbranch_execnz .LBB4_5542
.LBB4_5369:                             ;   in Loop: Header=BB4_4846 Depth=3
	s_or_b32 exec_lo, exec_lo, s18
	s_and_saveexec_b32 s18, s17
	s_cbranch_execz .LBB4_5371
.LBB4_5370:                             ;   in Loop: Header=BB4_4846 Depth=3
	v_bfe_u32 v9, v15, 16, 3
	v_bfe_u32 v95, v15, 19, 4
	v_lshlrev_b32_sdwa v104, v41, v15 dst_sel:DWORD dst_unused:UNUSED_PAD src0_sel:DWORD src1_sel:WORD_1
	v_ffbh_u32_e32 v10, v9
	v_cmp_eq_u32_e32 vcc_lo, 0, v95
	v_min_u32_e32 v10, 32, v10
	v_subrev_nc_u32_e32 v94, 28, v10
	v_sub_nc_u32_e32 v10, 29, v10
	v_lshlrev_b32_sdwa v94, v94, v15 dst_sel:DWORD dst_unused:UNUSED_PAD src0_sel:DWORD src1_sel:WORD_1
	v_cndmask_b32_e32 v10, v95, v10, vcc_lo
	v_and_b32_e32 v94, 7, v94
	v_lshl_add_u32 v10, v10, 23, 0x3b800000
	v_cndmask_b32_e32 v9, v9, v94, vcc_lo
	v_and_b32_e32 v94, 0x80000000, v104
	v_lshlrev_b32_e32 v9, 20, v9
	v_or3_b32 v10, v94, v10, v9
.LBB4_5371:                             ;   in Loop: Header=BB4_4846 Depth=3
	s_or_b32 exec_lo, exec_lo, s18
	v_and_b32_sdwa v94, v11, v40 dst_sel:DWORD dst_unused:UNUSED_PAD src0_sel:WORD_1 src1_sel:DWORD
	s_mov_b32 s17, 0
	s_mov_b32 s18, exec_lo
	v_cmpx_lt_i16_e32 0x7f, v94
	s_xor_b32 s18, exec_lo, s18
	s_cbranch_execz .LBB4_5543
; %bb.5372:                             ;   in Loop: Header=BB4_4846 Depth=3
	s_mov_b32 s17, -1
	s_mov_b32 s22, exec_lo
	v_cmpx_eq_u16_e32 0x80, v94
; %bb.5373:                             ;   in Loop: Header=BB4_4846 Depth=3
	s_xor_b32 s17, exec_lo, -1
; %bb.5374:                             ;   in Loop: Header=BB4_4846 Depth=3
	s_or_b32 exec_lo, exec_lo, s22
	s_and_b32 s17, s17, exec_lo
                                        ; implicit-def: $vgpr94
	s_or_saveexec_b32 s18, s18
	v_mov_b32_e32 v9, 0x7f800001
	s_xor_b32 exec_lo, exec_lo, s18
	s_cbranch_execnz .LBB4_5544
.LBB4_5375:                             ;   in Loop: Header=BB4_4846 Depth=3
	s_or_b32 exec_lo, exec_lo, s18
	s_and_saveexec_b32 s18, s17
.LBB4_5376:                             ;   in Loop: Header=BB4_4846 Depth=3
	v_mov_b32_e32 v9, v8
.LBB4_5377:                             ;   in Loop: Header=BB4_4846 Depth=3
	s_or_b32 exec_lo, exec_lo, s18
	v_max_f32_e32 v8, v9, v9
	v_max_f32_e32 v9, v10, v10
	v_min_f32_e32 v10, v9, v8
.LBB4_5378:                             ;   in Loop: Header=BB4_4846 Depth=3
	v_and_b32_e32 v8, 0x7f800000, v10
	v_mov_b32_e32 v94, 0x80
	s_mov_b32 s18, exec_lo
	v_cmpx_ne_u32_e32 0x7f800000, v8
	s_cbranch_execz .LBB4_5386
; %bb.5379:                             ;   in Loop: Header=BB4_4846 Depth=3
	v_mov_b32_e32 v94, 0
	s_mov_b32 s22, exec_lo
	v_cmpx_ne_u32_e32 0, v10
	s_cbranch_execz .LBB4_5385
; %bb.5380:                             ;   in Loop: Header=BB4_4846 Depth=3
	v_bfe_u32 v8, v10, 23, 8
	v_and_b32_e32 v9, 0x7fffff, v10
	v_sub_nc_u32_e32 v94, 0x78, v8
	v_cmp_gt_u32_e32 vcc_lo, 0x79, v8
	v_or_b32_e32 v95, 0x800000, v9
	v_cndmask_b32_e32 v94, 0, v94, vcc_lo
	v_cmp_eq_u32_e32 vcc_lo, 0, v8
	v_add_nc_u32_e32 v8, 0xffffff89, v8
	v_cndmask_b32_e64 v94, v94, 0x77, vcc_lo
	v_cndmask_b32_e32 v9, v95, v9, vcc_lo
	v_cndmask_b32_e64 v8, v8, 0xffffff8a, vcc_lo
	v_lshl_add_u32 v95, 0x100000, v94, -1
	v_lshrrev_b32_e32 v104, v94, v9
	v_lshlrev_b32_e64 v106, v94, 0x80000
	v_add_nc_u32_e32 v94, v94, v8
	v_and_b32_e32 v9, v95, v9
	v_bfe_u32 v105, v104, 20, 1
	v_cmp_eq_u32_e64 s17, v9, v106
	v_add_nc_u32_e32 v95, -1, v105
	v_cndmask_b32_e64 v9, 0, v95, s17
	v_lshrrev_b32_e32 v95, 23, v104
	s_mov_b32 s17, exec_lo
	v_add_nc_u32_e32 v9, v9, v104
	v_xor_b32_e32 v95, 1, v95
	v_and_b32_e32 v8, 0xfffff, v9
	v_add_nc_u32_e32 v9, v8, v104
                                        ; implicit-def: $vgpr8
	v_cmpx_ne_u32_e64 v94, v95
	s_xor_b32 s17, exec_lo, s17
; %bb.5381:                             ;   in Loop: Header=BB4_4846 Depth=3
	v_cmp_lt_u32_e32 vcc_lo, 0xffffff, v9
	v_sub_nc_u32_e32 v8, v94, v95
	v_cndmask_b32_e64 v94, 0, 1, vcc_lo
	v_add_co_ci_u32_e64 v8, null, 0, v8, vcc_lo
	v_lshrrev_b32_e32 v9, v94, v9
; %bb.5382:                             ;   in Loop: Header=BB4_4846 Depth=3
	s_andn2_saveexec_b32 s17, s17
; %bb.5383:                             ;   in Loop: Header=BB4_4846 Depth=3
	v_bfe_u32 v8, v9, 23, 1
; %bb.5384:                             ;   in Loop: Header=BB4_4846 Depth=3
	s_or_b32 exec_lo, exec_lo, s17
	v_lshrrev_b32_e32 v9, 20, v9
	v_min_i32_e32 v94, 15, v8
	v_cmp_gt_i32_e32 vcc_lo, 16, v8
	v_and_b32_sdwa v10, v10, v118 dst_sel:DWORD dst_unused:UNUSED_PAD src0_sel:BYTE_3 src1_sel:DWORD
	v_lshlrev_b32_e32 v94, 3, v94
	v_cndmask_b32_e32 v9, 7, v9, vcc_lo
	v_and_b32_e32 v94, 0xf8, v94
	v_and_b32_e32 v95, 7, v9
	v_or_b32_e32 v8, v8, v9
	v_or3_b32 v9, v94, v10, v95
	v_cmp_ne_u32_e32 vcc_lo, 0, v8
	v_cndmask_b32_e32 v94, 0, v9, vcc_lo
.LBB4_5385:                             ;   in Loop: Header=BB4_4846 Depth=3
	s_or_b32 exec_lo, exec_lo, s22
.LBB4_5386:                             ;   in Loop: Header=BB4_4846 Depth=3
	s_or_b32 exec_lo, exec_lo, s18
	v_bfe_u32 v8, v11, 24, 3
	v_bfe_u32 v95, v11, 27, 4
	v_cmp_gt_i16_sdwa s18, v15, v117 src0_sel:BYTE_3 src1_sel:DWORD
	s_mov_b32 s17, -1
	v_ffbh_u32_e32 v9, v8
	v_cmp_eq_u32_e32 vcc_lo, 0, v95
	v_min_u32_e32 v9, 32, v9
	v_subrev_nc_u32_e32 v10, 28, v9
	v_sub_nc_u32_e32 v9, 29, v9
	v_lshlrev_b32_sdwa v10, v10, v11 dst_sel:DWORD dst_unused:UNUSED_PAD src0_sel:DWORD src1_sel:BYTE_3
	v_cndmask_b32_e32 v9, v95, v9, vcc_lo
	v_and_b32_e32 v10, 7, v10
	v_lshl_add_u32 v9, v9, 23, 0x3b800000
	v_cndmask_b32_e32 v8, v8, v10, vcc_lo
	v_and_b32_e32 v10, 0x80000000, v11
	s_and_b32 vcc_lo, exec_lo, s75
	v_lshlrev_b32_e32 v8, 20, v8
	v_or3_b32 v95, v10, v9, v8
                                        ; implicit-def: $vgpr8
	s_cbranch_vccz .LBB4_5400
; %bb.5387:                             ;   in Loop: Header=BB4_4846 Depth=3
	s_mov_b32 s17, 0
	s_and_saveexec_b32 s22, s18
	s_xor_b32 s18, exec_lo, s22
	s_cbranch_execz .LBB4_5545
; %bb.5388:                             ;   in Loop: Header=BB4_4846 Depth=3
	v_cmp_eq_u16_sdwa s23, v15, v118 src0_sel:BYTE_3 src1_sel:DWORD
	s_mov_b32 s17, -1
	s_and_saveexec_b32 s22, s23
; %bb.5389:                             ;   in Loop: Header=BB4_4846 Depth=3
	s_xor_b32 s17, exec_lo, -1
; %bb.5390:                             ;   in Loop: Header=BB4_4846 Depth=3
	s_or_b32 exec_lo, exec_lo, s22
	s_and_b32 s17, s17, exec_lo
	s_or_saveexec_b32 s18, s18
	v_mov_b32_e32 v8, 0x7f800001
	s_xor_b32 exec_lo, exec_lo, s18
	s_cbranch_execnz .LBB4_5546
.LBB4_5391:                             ;   in Loop: Header=BB4_4846 Depth=3
	s_or_b32 exec_lo, exec_lo, s18
	s_and_saveexec_b32 s18, s17
	s_cbranch_execz .LBB4_5393
.LBB4_5392:                             ;   in Loop: Header=BB4_4846 Depth=3
	v_bfe_u32 v8, v15, 24, 3
	v_bfe_u32 v104, v15, 27, 4
	v_ffbh_u32_e32 v9, v8
	v_cmp_eq_u32_e32 vcc_lo, 0, v104
	v_min_u32_e32 v9, 32, v9
	v_subrev_nc_u32_e32 v10, 28, v9
	v_sub_nc_u32_e32 v9, 29, v9
	v_lshlrev_b32_sdwa v10, v10, v15 dst_sel:DWORD dst_unused:UNUSED_PAD src0_sel:DWORD src1_sel:BYTE_3
	v_cndmask_b32_e32 v9, v104, v9, vcc_lo
	v_and_b32_e32 v10, 7, v10
	v_lshl_add_u32 v9, v9, 23, 0x3b800000
	v_cndmask_b32_e32 v8, v8, v10, vcc_lo
	v_and_b32_e32 v10, 0x80000000, v15
	v_lshlrev_b32_e32 v8, 20, v8
	v_or3_b32 v8, v10, v9, v8
.LBB4_5393:                             ;   in Loop: Header=BB4_4846 Depth=3
	s_or_b32 exec_lo, exec_lo, s18
	v_cmp_gt_i16_sdwa s18, v11, v117 src0_sel:BYTE_3 src1_sel:DWORD
	s_mov_b32 s17, 0
	s_and_saveexec_b32 s22, s18
	s_xor_b32 s18, exec_lo, s22
	s_cbranch_execz .LBB4_5547
; %bb.5394:                             ;   in Loop: Header=BB4_4846 Depth=3
	v_cmp_eq_u16_sdwa s23, v11, v118 src0_sel:BYTE_3 src1_sel:DWORD
	s_mov_b32 s17, -1
	s_and_saveexec_b32 s22, s23
; %bb.5395:                             ;   in Loop: Header=BB4_4846 Depth=3
	s_xor_b32 s17, exec_lo, -1
; %bb.5396:                             ;   in Loop: Header=BB4_4846 Depth=3
	s_or_b32 exec_lo, exec_lo, s22
	s_and_b32 s17, s17, exec_lo
	s_or_saveexec_b32 s18, s18
	v_mov_b32_e32 v9, 0x7f800001
	s_xor_b32 exec_lo, exec_lo, s18
	s_cbranch_execnz .LBB4_5548
.LBB4_5397:                             ;   in Loop: Header=BB4_4846 Depth=3
	s_or_b32 exec_lo, exec_lo, s18
	s_and_saveexec_b32 s18, s17
.LBB4_5398:                             ;   in Loop: Header=BB4_4846 Depth=3
	v_mov_b32_e32 v9, v95
.LBB4_5399:                             ;   in Loop: Header=BB4_4846 Depth=3
	s_or_b32 exec_lo, exec_lo, s18
	v_max_f32_e32 v9, v9, v9
	v_max_f32_e32 v8, v8, v8
	s_mov_b32 s17, 0
	v_max_f32_e32 v8, v8, v9
.LBB4_5400:                             ;   in Loop: Header=BB4_4846 Depth=3
	s_and_b32 vcc_lo, exec_lo, s17
	s_cbranch_vccz .LBB4_5414
; %bb.5401:                             ;   in Loop: Header=BB4_4846 Depth=3
	v_cmp_gt_i16_sdwa s18, v15, v117 src0_sel:BYTE_3 src1_sel:DWORD
	s_mov_b32 s17, 0
	s_and_saveexec_b32 s22, s18
	s_xor_b32 s18, exec_lo, s22
	s_cbranch_execz .LBB4_5549
; %bb.5402:                             ;   in Loop: Header=BB4_4846 Depth=3
	v_cmp_eq_u16_sdwa s23, v15, v118 src0_sel:BYTE_3 src1_sel:DWORD
	s_mov_b32 s17, -1
	s_and_saveexec_b32 s22, s23
; %bb.5403:                             ;   in Loop: Header=BB4_4846 Depth=3
	s_xor_b32 s17, exec_lo, -1
; %bb.5404:                             ;   in Loop: Header=BB4_4846 Depth=3
	s_or_b32 exec_lo, exec_lo, s22
	s_and_b32 s17, s17, exec_lo
	s_or_saveexec_b32 s18, s18
	v_mov_b32_e32 v104, 0x7f800001
	s_xor_b32 exec_lo, exec_lo, s18
	s_cbranch_execnz .LBB4_5550
.LBB4_5405:                             ;   in Loop: Header=BB4_4846 Depth=3
	s_or_b32 exec_lo, exec_lo, s18
	s_and_saveexec_b32 s18, s17
	s_cbranch_execz .LBB4_5407
.LBB4_5406:                             ;   in Loop: Header=BB4_4846 Depth=3
	v_bfe_u32 v8, v15, 24, 3
	v_bfe_u32 v104, v15, 27, 4
	v_ffbh_u32_e32 v9, v8
	v_cmp_eq_u32_e32 vcc_lo, 0, v104
	v_min_u32_e32 v9, 32, v9
	v_subrev_nc_u32_e32 v10, 28, v9
	v_sub_nc_u32_e32 v9, 29, v9
	v_lshlrev_b32_sdwa v10, v10, v15 dst_sel:DWORD dst_unused:UNUSED_PAD src0_sel:DWORD src1_sel:BYTE_3
	v_cndmask_b32_e32 v9, v104, v9, vcc_lo
	v_and_b32_e32 v10, 7, v10
	v_lshl_add_u32 v9, v9, 23, 0x3b800000
	v_cndmask_b32_e32 v8, v8, v10, vcc_lo
	v_and_b32_e32 v10, 0x80000000, v15
	v_lshlrev_b32_e32 v8, 20, v8
	v_or3_b32 v104, v10, v9, v8
.LBB4_5407:                             ;   in Loop: Header=BB4_4846 Depth=3
	s_or_b32 exec_lo, exec_lo, s18
	v_cmp_gt_i16_sdwa s18, v11, v117 src0_sel:BYTE_3 src1_sel:DWORD
	s_mov_b32 s17, 0
	s_and_saveexec_b32 s22, s18
	s_xor_b32 s18, exec_lo, s22
	s_cbranch_execz .LBB4_5551
; %bb.5408:                             ;   in Loop: Header=BB4_4846 Depth=3
	v_cmp_eq_u16_sdwa s23, v11, v118 src0_sel:BYTE_3 src1_sel:DWORD
	s_mov_b32 s17, -1
	s_and_saveexec_b32 s22, s23
; %bb.5409:                             ;   in Loop: Header=BB4_4846 Depth=3
	s_xor_b32 s17, exec_lo, -1
; %bb.5410:                             ;   in Loop: Header=BB4_4846 Depth=3
	s_or_b32 exec_lo, exec_lo, s22
	s_and_b32 s17, s17, exec_lo
                                        ; implicit-def: $vgpr8_vgpr9_vgpr10_vgpr11
	s_or_saveexec_b32 s18, s18
	v_mov_b32_e32 v8, 0x7f800001
	s_xor_b32 exec_lo, exec_lo, s18
	s_cbranch_execnz .LBB4_5552
.LBB4_5411:                             ;   in Loop: Header=BB4_4846 Depth=3
	s_or_b32 exec_lo, exec_lo, s18
	s_and_saveexec_b32 s18, s17
.LBB4_5412:                             ;   in Loop: Header=BB4_4846 Depth=3
	v_mov_b32_e32 v8, v95
.LBB4_5413:                             ;   in Loop: Header=BB4_4846 Depth=3
	s_or_b32 exec_lo, exec_lo, s18
	v_max_f32_e32 v8, v8, v8
	v_max_f32_e32 v9, v104, v104
	v_min_f32_e32 v8, v9, v8
.LBB4_5414:                             ;   in Loop: Header=BB4_4846 Depth=3
	v_and_b32_e32 v9, 0x7f800000, v8
	v_cmp_ne_u32_e32 vcc_lo, 0x7f800000, v9
	v_mov_b32_e32 v9, 0x8000
	s_and_saveexec_b32 s18, vcc_lo
	s_cbranch_execz .LBB4_5422
; %bb.5415:                             ;   in Loop: Header=BB4_4846 Depth=3
	v_mov_b32_e32 v9, 0
	s_mov_b32 s22, exec_lo
	v_cmpx_ne_u32_e32 0, v8
	s_cbranch_execz .LBB4_5421
; %bb.5416:                             ;   in Loop: Header=BB4_4846 Depth=3
	v_bfe_u32 v9, v8, 23, 8
	v_and_b32_e32 v10, 0x7fffff, v8
	v_sub_nc_u32_e32 v11, 0x78, v9
	v_cmp_gt_u32_e32 vcc_lo, 0x79, v9
	v_or_b32_e32 v15, 0x800000, v10
	v_cndmask_b32_e32 v11, 0, v11, vcc_lo
	v_cmp_eq_u32_e32 vcc_lo, 0, v9
	v_add_nc_u32_e32 v9, 0xffffff89, v9
	v_cndmask_b32_e64 v11, v11, 0x77, vcc_lo
	v_cndmask_b32_e32 v10, v15, v10, vcc_lo
	v_cndmask_b32_e64 v9, v9, 0xffffff8a, vcc_lo
	v_lshl_add_u32 v15, 0x100000, v11, -1
	v_lshrrev_b32_e32 v95, v11, v10
	v_lshlrev_b32_e64 v105, v11, 0x80000
	v_add_nc_u32_e32 v11, v11, v9
	v_and_b32_e32 v10, v15, v10
	v_bfe_u32 v104, v95, 20, 1
	v_cmp_eq_u32_e64 s17, v10, v105
	v_add_nc_u32_e32 v15, -1, v104
	v_cndmask_b32_e64 v10, 0, v15, s17
	v_lshrrev_b32_e32 v15, 23, v95
	s_mov_b32 s17, exec_lo
	v_add_nc_u32_e32 v10, v10, v95
	v_xor_b32_e32 v15, 1, v15
	v_and_b32_e32 v9, 0xfffff, v10
	v_add_nc_u32_e32 v10, v9, v95
                                        ; implicit-def: $vgpr9
	v_cmpx_ne_u32_e64 v11, v15
	s_xor_b32 s17, exec_lo, s17
; %bb.5417:                             ;   in Loop: Header=BB4_4846 Depth=3
	v_cmp_lt_u32_e32 vcc_lo, 0xffffff, v10
	v_sub_nc_u32_e32 v9, v11, v15
	v_cndmask_b32_e64 v11, 0, 1, vcc_lo
	v_add_co_ci_u32_e64 v9, null, 0, v9, vcc_lo
	v_lshrrev_b32_e32 v10, v11, v10
; %bb.5418:                             ;   in Loop: Header=BB4_4846 Depth=3
	s_andn2_saveexec_b32 s17, s17
; %bb.5419:                             ;   in Loop: Header=BB4_4846 Depth=3
	v_bfe_u32 v9, v10, 23, 1
; %bb.5420:                             ;   in Loop: Header=BB4_4846 Depth=3
	s_or_b32 exec_lo, exec_lo, s17
	v_lshrrev_b32_e32 v10, 20, v10
	v_min_i32_e32 v11, 15, v9
	v_cmp_gt_i32_e32 vcc_lo, 16, v9
	v_and_b32_sdwa v8, v8, v118 dst_sel:DWORD dst_unused:UNUSED_PAD src0_sel:BYTE_3 src1_sel:DWORD
	v_lshlrev_b32_e32 v11, 3, v11
	v_cndmask_b32_e32 v10, 7, v10, vcc_lo
	v_and_b32_e32 v11, 0xf8, v11
	v_and_b32_e32 v15, 7, v10
	v_or_b32_e32 v9, v9, v10
	v_or3_b32 v8, v8, v11, v15
	v_cmp_ne_u32_e32 vcc_lo, 0, v9
	v_lshlrev_b32_e32 v8, 8, v8
	v_cndmask_b32_e32 v9, 0, v8, vcc_lo
.LBB4_5421:                             ;   in Loop: Header=BB4_4846 Depth=3
	s_or_b32 exec_lo, exec_lo, s22
.LBB4_5422:                             ;   in Loop: Header=BB4_4846 Depth=3
	s_or_b32 exec_lo, exec_lo, s18
	v_or_b32_sdwa v8, v13, v88 dst_sel:WORD_1 dst_unused:UNUSED_PAD src0_sel:DWORD src1_sel:DWORD
	v_or_b32_sdwa v10, v12, v77 dst_sel:WORD_1 dst_unused:UNUSED_PAD src0_sel:DWORD src1_sel:DWORD
	;; [unrolled: 1-line block ×4, first 2 shown]
	s_mov_b64 s[22:23], 0
	v_or3_b32 v9, v79, v78, v8
	v_or3_b32 v8, v99, v98, v10
	v_or3_b32 v10, v90, v89, v11
	v_or3_b32 v11, v93, v92, v12
	s_mov_b32 s76, -1
	.p2align	6
.LBB4_5423:                             ;   Parent Loop BB4_47 Depth=1
                                        ;     Parent Loop BB4_3351 Depth=2
                                        ;       Parent Loop BB4_4846 Depth=3
                                        ; =>      This Inner Loop Header: Depth=4
	s_cmp_eq_u32 s22, 1
	s_cselect_b32 vcc_lo, -1, 0
	s_cmp_eq_u32 s22, 0
	v_cndmask_b32_e32 v12, v86, v96, vcc_lo
	v_cndmask_b32_e32 v13, v87, v97, vcc_lo
	s_mov_b64 s[22:23], 1
	v_add_co_u32 v14, s17, 0x200, v12
	v_add_co_ci_u32_e64 v15, null, 0, v13, s17
	s_cselect_b32 s17, -1, 0
	v_cndmask_b32_e32 v96, v96, v14, vcc_lo
	v_cndmask_b32_e64 v86, v86, v14, s17
	v_cndmask_b32_e32 v97, v97, v15, vcc_lo
	v_cndmask_b32_e64 v87, v87, v15, s17
	s_and_b32 s18, exec_lo, s76
	s_mov_b32 s76, 0
	s_mov_b32 vcc_lo, s18
	global_store_dwordx4 v[12:13], v[8:11], off glc slc
	s_cbranch_vccnz .LBB4_5423
; %bb.5424:                             ;   in Loop: Header=BB4_4846 Depth=3
	v_add_co_u32 v16, vcc_lo, v16, v62
	v_sub_nc_u32_e32 v85, v85, v44
	v_add_co_ci_u32_e64 v17, null, v17, v63, vcc_lo
	v_add_co_u32 v18, vcc_lo, v18, v62
	v_add_co_ci_u32_e64 v19, null, v19, v63, vcc_lo
	v_add_co_u32 v86, vcc_lo, v86, v56
	v_add_co_ci_u32_e64 v87, null, v87, v59, vcc_lo
	v_cmp_gt_i32_e32 vcc_lo, 16, v85
	v_add_co_u32 v96, s17, v96, v56
	v_add_co_ci_u32_e64 v97, null, v97, v59, s17
	v_sub_nc_u32_e32 v84, v84, v103
	s_or_b32 s74, vcc_lo, s74
	s_andn2_b32 exec_lo, exec_lo, s74
	s_cbranch_execnz .LBB4_4846
	s_branch .LBB4_5553
.LBB4_5425:                             ;   in Loop: Header=BB4_4846 Depth=3
	s_or_saveexec_b32 s18, s18
	v_mov_b32_e32 v99, 0x7f800001
	s_xor_b32 exec_lo, exec_lo, s18
	s_cbranch_execz .LBB4_4851
.LBB4_5426:                             ;   in Loop: Header=BB4_4846 Depth=3
	v_cmp_ne_u16_sdwa s22, v12, v2 src0_sel:BYTE_0 src1_sel:DWORD
	v_mov_b32_e32 v99, 0
	s_andn2_b32 s17, s17, exec_lo
	s_and_b32 s22, s22, exec_lo
	s_or_b32 s17, s17, s22
	s_or_b32 exec_lo, exec_lo, s18
	s_and_saveexec_b32 s18, s17
	s_cbranch_execnz .LBB4_4852
	s_branch .LBB4_4853
.LBB4_5427:                             ;   in Loop: Header=BB4_4846 Depth=3
	s_or_saveexec_b32 s18, s18
	v_mov_b32_e32 v77, 0x7f800001
	s_xor_b32 exec_lo, exec_lo, s18
	s_cbranch_execz .LBB4_4857
.LBB4_5428:                             ;   in Loop: Header=BB4_4846 Depth=3
	v_cmp_ne_u16_sdwa s22, v8, v2 src0_sel:BYTE_0 src1_sel:DWORD
	v_mov_b32_e32 v77, 0
	s_andn2_b32 s17, s17, exec_lo
	s_and_b32 s22, s22, exec_lo
	s_or_b32 s17, s17, s22
	s_or_b32 exec_lo, exec_lo, s18
	s_and_saveexec_b32 s18, s17
	s_cbranch_execnz .LBB4_4858
	s_branch .LBB4_4859
.LBB4_5429:                             ;   in Loop: Header=BB4_4846 Depth=3
	s_or_saveexec_b32 s18, s18
	v_mov_b32_e32 v99, 0x7f800001
	s_xor_b32 exec_lo, exec_lo, s18
	s_cbranch_execz .LBB4_4865
.LBB4_5430:                             ;   in Loop: Header=BB4_4846 Depth=3
	v_cmp_ne_u16_sdwa s22, v12, v2 src0_sel:BYTE_0 src1_sel:DWORD
	v_mov_b32_e32 v99, 0
	s_andn2_b32 s17, s17, exec_lo
	s_and_b32 s22, s22, exec_lo
	s_or_b32 s17, s17, s22
	s_or_b32 exec_lo, exec_lo, s18
	s_and_saveexec_b32 s18, s17
	s_cbranch_execnz .LBB4_4866
	s_branch .LBB4_4867
.LBB4_5431:                             ;   in Loop: Header=BB4_4846 Depth=3
	s_or_saveexec_b32 s18, s18
	v_mov_b32_e32 v77, 0x7f800001
	s_xor_b32 exec_lo, exec_lo, s18
	s_cbranch_execz .LBB4_4871
.LBB4_5432:                             ;   in Loop: Header=BB4_4846 Depth=3
	v_cmp_ne_u16_sdwa s22, v8, v2 src0_sel:BYTE_0 src1_sel:DWORD
	v_mov_b32_e32 v77, 0
	s_andn2_b32 s17, s17, exec_lo
	s_and_b32 s22, s22, exec_lo
	s_or_b32 s17, s17, s22
	s_or_b32 exec_lo, exec_lo, s18
	s_and_saveexec_b32 s18, s17
	s_cbranch_execnz .LBB4_4872
	s_branch .LBB4_4873
.LBB4_5433:                             ;   in Loop: Header=BB4_4846 Depth=3
	s_or_saveexec_b32 s18, s18
	v_mov_b32_e32 v77, 0x7f800001
	s_xor_b32 exec_lo, exec_lo, s18
	s_cbranch_execz .LBB4_4887
.LBB4_5434:                             ;   in Loop: Header=BB4_4846 Depth=3
	v_cmp_ne_u16_sdwa s22, v12, v2 src0_sel:BYTE_1 src1_sel:DWORD
	v_mov_b32_e32 v77, 0
	s_andn2_b32 s17, s17, exec_lo
	s_and_b32 s22, s22, exec_lo
	s_or_b32 s17, s17, s22
	s_or_b32 exec_lo, exec_lo, s18
	s_and_saveexec_b32 s18, s17
	s_cbranch_execnz .LBB4_4888
	s_branch .LBB4_4889
.LBB4_5435:                             ;   in Loop: Header=BB4_4846 Depth=3
	s_or_saveexec_b32 s18, s18
	v_mov_b32_e32 v78, 0x7f800001
	s_xor_b32 exec_lo, exec_lo, s18
	s_cbranch_execz .LBB4_4893
.LBB4_5436:                             ;   in Loop: Header=BB4_4846 Depth=3
	v_cmp_ne_u16_sdwa s22, v8, v2 src0_sel:BYTE_1 src1_sel:DWORD
	v_mov_b32_e32 v78, 0
	s_andn2_b32 s17, s17, exec_lo
	s_and_b32 s22, s22, exec_lo
	s_or_b32 s17, s17, s22
	s_or_b32 exec_lo, exec_lo, s18
	s_and_saveexec_b32 s18, s17
	s_cbranch_execnz .LBB4_4894
	s_branch .LBB4_4895
.LBB4_5437:                             ;   in Loop: Header=BB4_4846 Depth=3
	s_or_saveexec_b32 s18, s18
	v_mov_b32_e32 v77, 0x7f800001
	s_xor_b32 exec_lo, exec_lo, s18
	s_cbranch_execz .LBB4_4901
.LBB4_5438:                             ;   in Loop: Header=BB4_4846 Depth=3
	v_cmp_ne_u16_sdwa s22, v12, v2 src0_sel:BYTE_1 src1_sel:DWORD
	v_mov_b32_e32 v77, 0
	s_andn2_b32 s17, s17, exec_lo
	s_and_b32 s22, s22, exec_lo
	s_or_b32 s17, s17, s22
	s_or_b32 exec_lo, exec_lo, s18
	s_and_saveexec_b32 s18, s17
	s_cbranch_execnz .LBB4_4902
	s_branch .LBB4_4903
.LBB4_5439:                             ;   in Loop: Header=BB4_4846 Depth=3
	s_or_saveexec_b32 s18, s18
	v_mov_b32_e32 v78, 0x7f800001
	s_xor_b32 exec_lo, exec_lo, s18
	s_cbranch_execz .LBB4_4907
.LBB4_5440:                             ;   in Loop: Header=BB4_4846 Depth=3
	v_cmp_ne_u16_sdwa s22, v8, v2 src0_sel:BYTE_1 src1_sel:DWORD
	v_mov_b32_e32 v78, 0
	s_andn2_b32 s17, s17, exec_lo
	s_and_b32 s22, s22, exec_lo
	s_or_b32 s17, s17, s22
	s_or_b32 exec_lo, exec_lo, s18
	s_and_saveexec_b32 s18, s17
	s_cbranch_execnz .LBB4_4908
	s_branch .LBB4_4909
.LBB4_5441:                             ;   in Loop: Header=BB4_4846 Depth=3
	s_or_saveexec_b32 s17, s17
	v_mov_b32_e32 v79, 0x7f800001
	s_xor_b32 exec_lo, exec_lo, s17
	s_cbranch_execz .LBB4_4923
.LBB4_5442:                             ;   in Loop: Header=BB4_4846 Depth=3
	v_cmp_ne_u16_e32 vcc_lo, 0, v78
	v_mov_b32_e32 v79, 0
	s_andn2_b32 s18, s18, exec_lo
	s_and_b32 s22, vcc_lo, exec_lo
	s_or_b32 s18, s18, s22
	s_or_b32 exec_lo, exec_lo, s17
	s_and_saveexec_b32 s17, s18
	s_cbranch_execnz .LBB4_4924
	s_branch .LBB4_4925
.LBB4_5443:                             ;   in Loop: Header=BB4_4846 Depth=3
	s_or_saveexec_b32 s18, s18
	v_mov_b32_e32 v88, 0x7f800001
	s_xor_b32 exec_lo, exec_lo, s18
	s_cbranch_execz .LBB4_4929
.LBB4_5444:                             ;   in Loop: Header=BB4_4846 Depth=3
	v_cmp_ne_u16_e32 vcc_lo, 0, v89
	v_mov_b32_e32 v88, 0
	s_andn2_b32 s17, s17, exec_lo
	s_and_b32 s22, vcc_lo, exec_lo
	s_or_b32 s17, s17, s22
	s_or_b32 exec_lo, exec_lo, s18
	s_and_saveexec_b32 s18, s17
	s_cbranch_execnz .LBB4_4930
	s_branch .LBB4_4931
.LBB4_5445:                             ;   in Loop: Header=BB4_4846 Depth=3
	s_or_saveexec_b32 s18, s18
	v_mov_b32_e32 v79, 0x7f800001
	s_xor_b32 exec_lo, exec_lo, s18
	s_cbranch_execz .LBB4_4937
.LBB4_5446:                             ;   in Loop: Header=BB4_4846 Depth=3
	v_cmp_ne_u16_e32 vcc_lo, 0, v78
	v_mov_b32_e32 v79, 0
	s_andn2_b32 s17, s17, exec_lo
	s_and_b32 s22, vcc_lo, exec_lo
	s_or_b32 s17, s17, s22
	s_or_b32 exec_lo, exec_lo, s18
	s_and_saveexec_b32 s18, s17
	s_cbranch_execnz .LBB4_4938
	s_branch .LBB4_4939
.LBB4_5447:                             ;   in Loop: Header=BB4_4846 Depth=3
	s_or_saveexec_b32 s18, s18
	v_mov_b32_e32 v78, 0x7f800001
	s_xor_b32 exec_lo, exec_lo, s18
	s_cbranch_execz .LBB4_4943
.LBB4_5448:                             ;   in Loop: Header=BB4_4846 Depth=3
	v_cmp_ne_u16_e32 vcc_lo, 0, v88
	v_mov_b32_e32 v78, 0
	s_andn2_b32 s17, s17, exec_lo
	s_and_b32 s22, vcc_lo, exec_lo
	s_or_b32 s17, s17, s22
	s_or_b32 exec_lo, exec_lo, s18
	s_and_saveexec_b32 s18, s17
	s_cbranch_execnz .LBB4_4944
	s_branch .LBB4_4945
.LBB4_5449:                             ;   in Loop: Header=BB4_4846 Depth=3
	s_or_saveexec_b32 s18, s18
	v_mov_b32_e32 v79, 0x7f800001
	s_xor_b32 exec_lo, exec_lo, s18
	s_cbranch_execz .LBB4_4959
.LBB4_5450:                             ;   in Loop: Header=BB4_4846 Depth=3
	v_cmp_ne_u16_sdwa s22, v12, v2 src0_sel:BYTE_3 src1_sel:DWORD
	v_mov_b32_e32 v79, 0
	s_andn2_b32 s17, s17, exec_lo
	s_and_b32 s22, s22, exec_lo
	s_or_b32 s17, s17, s22
	s_or_b32 exec_lo, exec_lo, s18
	s_and_saveexec_b32 s18, s17
	s_cbranch_execnz .LBB4_4960
	s_branch .LBB4_4961
.LBB4_5451:                             ;   in Loop: Header=BB4_4846 Depth=3
	s_or_saveexec_b32 s18, s18
	v_mov_b32_e32 v88, 0x7f800001
	s_xor_b32 exec_lo, exec_lo, s18
	s_cbranch_execz .LBB4_4965
.LBB4_5452:                             ;   in Loop: Header=BB4_4846 Depth=3
	v_cmp_ne_u16_sdwa s22, v8, v2 src0_sel:BYTE_3 src1_sel:DWORD
	v_mov_b32_e32 v88, 0
	s_andn2_b32 s17, s17, exec_lo
	s_and_b32 s22, s22, exec_lo
	s_or_b32 s17, s17, s22
	s_or_b32 exec_lo, exec_lo, s18
	s_and_saveexec_b32 s18, s17
	s_cbranch_execnz .LBB4_4966
	s_branch .LBB4_4967
.LBB4_5453:                             ;   in Loop: Header=BB4_4846 Depth=3
	s_or_saveexec_b32 s18, s18
	v_mov_b32_e32 v79, 0x7f800001
	s_xor_b32 exec_lo, exec_lo, s18
	s_cbranch_execz .LBB4_4973
.LBB4_5454:                             ;   in Loop: Header=BB4_4846 Depth=3
	v_cmp_ne_u16_sdwa s22, v12, v2 src0_sel:BYTE_3 src1_sel:DWORD
	v_mov_b32_e32 v79, 0
	s_andn2_b32 s17, s17, exec_lo
	s_and_b32 s22, s22, exec_lo
	s_or_b32 s17, s17, s22
	s_or_b32 exec_lo, exec_lo, s18
	s_and_saveexec_b32 s18, s17
	s_cbranch_execnz .LBB4_4974
	s_branch .LBB4_4975
.LBB4_5455:                             ;   in Loop: Header=BB4_4846 Depth=3
	s_or_saveexec_b32 s18, s18
	v_mov_b32_e32 v12, 0x7f800001
	s_xor_b32 exec_lo, exec_lo, s18
	s_cbranch_execz .LBB4_4979
.LBB4_5456:                             ;   in Loop: Header=BB4_4846 Depth=3
	v_cmp_ne_u16_sdwa s22, v8, v2 src0_sel:BYTE_3 src1_sel:DWORD
	v_mov_b32_e32 v12, 0
	s_andn2_b32 s17, s17, exec_lo
	s_and_b32 s22, s22, exec_lo
	s_or_b32 s17, s17, s22
	s_or_b32 exec_lo, exec_lo, s18
	s_and_saveexec_b32 s18, s17
	s_cbranch_execnz .LBB4_4980
	s_branch .LBB4_4981
.LBB4_5457:                             ;   in Loop: Header=BB4_4846 Depth=3
	s_or_saveexec_b32 s18, s18
	v_mov_b32_e32 v78, 0x7f800001
	s_xor_b32 exec_lo, exec_lo, s18
	s_cbranch_execz .LBB4_4995
.LBB4_5458:                             ;   in Loop: Header=BB4_4846 Depth=3
	v_cmp_ne_u16_sdwa s22, v13, v2 src0_sel:BYTE_0 src1_sel:DWORD
	v_mov_b32_e32 v78, 0
	s_andn2_b32 s17, s17, exec_lo
	s_and_b32 s22, s22, exec_lo
	s_or_b32 s17, s17, s22
	s_or_b32 exec_lo, exec_lo, s18
	s_and_saveexec_b32 s18, s17
	s_cbranch_execnz .LBB4_4996
	s_branch .LBB4_4997
.LBB4_5459:                             ;   in Loop: Header=BB4_4846 Depth=3
	s_or_saveexec_b32 s18, s18
	v_mov_b32_e32 v79, 0x7f800001
	s_xor_b32 exec_lo, exec_lo, s18
	s_cbranch_execz .LBB4_5001
.LBB4_5460:                             ;   in Loop: Header=BB4_4846 Depth=3
	v_cmp_ne_u16_sdwa s22, v9, v2 src0_sel:BYTE_0 src1_sel:DWORD
	v_mov_b32_e32 v79, 0
	s_andn2_b32 s17, s17, exec_lo
	s_and_b32 s22, s22, exec_lo
	s_or_b32 s17, s17, s22
	s_or_b32 exec_lo, exec_lo, s18
	s_and_saveexec_b32 s18, s17
	s_cbranch_execnz .LBB4_5002
	s_branch .LBB4_5003
.LBB4_5461:                             ;   in Loop: Header=BB4_4846 Depth=3
	s_or_saveexec_b32 s18, s18
	v_mov_b32_e32 v78, 0x7f800001
	s_xor_b32 exec_lo, exec_lo, s18
	s_cbranch_execz .LBB4_5009
.LBB4_5462:                             ;   in Loop: Header=BB4_4846 Depth=3
	v_cmp_ne_u16_sdwa s22, v13, v2 src0_sel:BYTE_0 src1_sel:DWORD
	v_mov_b32_e32 v78, 0
	s_andn2_b32 s17, s17, exec_lo
	s_and_b32 s22, s22, exec_lo
	s_or_b32 s17, s17, s22
	s_or_b32 exec_lo, exec_lo, s18
	s_and_saveexec_b32 s18, s17
	s_cbranch_execnz .LBB4_5010
	s_branch .LBB4_5011
.LBB4_5463:                             ;   in Loop: Header=BB4_4846 Depth=3
	s_or_saveexec_b32 s18, s18
	v_mov_b32_e32 v79, 0x7f800001
	s_xor_b32 exec_lo, exec_lo, s18
	s_cbranch_execz .LBB4_5015
.LBB4_5464:                             ;   in Loop: Header=BB4_4846 Depth=3
	v_cmp_ne_u16_sdwa s22, v9, v2 src0_sel:BYTE_0 src1_sel:DWORD
	v_mov_b32_e32 v79, 0
	s_andn2_b32 s17, s17, exec_lo
	s_and_b32 s22, s22, exec_lo
	s_or_b32 s17, s17, s22
	s_or_b32 exec_lo, exec_lo, s18
	s_and_saveexec_b32 s18, s17
	s_cbranch_execnz .LBB4_5016
	s_branch .LBB4_5017
.LBB4_5465:                             ;   in Loop: Header=BB4_4846 Depth=3
	s_or_saveexec_b32 s18, s18
	v_mov_b32_e32 v79, 0x7f800001
	s_xor_b32 exec_lo, exec_lo, s18
	s_cbranch_execz .LBB4_5031
.LBB4_5466:                             ;   in Loop: Header=BB4_4846 Depth=3
	v_cmp_ne_u16_sdwa s22, v13, v2 src0_sel:BYTE_1 src1_sel:DWORD
	v_mov_b32_e32 v79, 0
	s_andn2_b32 s17, s17, exec_lo
	s_and_b32 s22, s22, exec_lo
	s_or_b32 s17, s17, s22
	s_or_b32 exec_lo, exec_lo, s18
	s_and_saveexec_b32 s18, s17
	s_cbranch_execnz .LBB4_5032
	s_branch .LBB4_5033
.LBB4_5467:                             ;   in Loop: Header=BB4_4846 Depth=3
	s_or_saveexec_b32 s18, s18
	v_mov_b32_e32 v88, 0x7f800001
	s_xor_b32 exec_lo, exec_lo, s18
	s_cbranch_execz .LBB4_5037
.LBB4_5468:                             ;   in Loop: Header=BB4_4846 Depth=3
	v_cmp_ne_u16_sdwa s22, v9, v2 src0_sel:BYTE_1 src1_sel:DWORD
	v_mov_b32_e32 v88, 0
	s_andn2_b32 s17, s17, exec_lo
	s_and_b32 s22, s22, exec_lo
	s_or_b32 s17, s17, s22
	s_or_b32 exec_lo, exec_lo, s18
	s_and_saveexec_b32 s18, s17
	s_cbranch_execnz .LBB4_5038
	s_branch .LBB4_5039
.LBB4_5469:                             ;   in Loop: Header=BB4_4846 Depth=3
	s_or_saveexec_b32 s18, s18
	v_mov_b32_e32 v79, 0x7f800001
	s_xor_b32 exec_lo, exec_lo, s18
	s_cbranch_execz .LBB4_5045
.LBB4_5470:                             ;   in Loop: Header=BB4_4846 Depth=3
	v_cmp_ne_u16_sdwa s22, v13, v2 src0_sel:BYTE_1 src1_sel:DWORD
	v_mov_b32_e32 v79, 0
	s_andn2_b32 s17, s17, exec_lo
	s_and_b32 s22, s22, exec_lo
	s_or_b32 s17, s17, s22
	s_or_b32 exec_lo, exec_lo, s18
	s_and_saveexec_b32 s18, s17
	s_cbranch_execnz .LBB4_5046
	s_branch .LBB4_5047
.LBB4_5471:                             ;   in Loop: Header=BB4_4846 Depth=3
	s_or_saveexec_b32 s18, s18
	v_mov_b32_e32 v88, 0x7f800001
	s_xor_b32 exec_lo, exec_lo, s18
	s_cbranch_execz .LBB4_5051
.LBB4_5472:                             ;   in Loop: Header=BB4_4846 Depth=3
	v_cmp_ne_u16_sdwa s22, v9, v2 src0_sel:BYTE_1 src1_sel:DWORD
	v_mov_b32_e32 v88, 0
	s_andn2_b32 s17, s17, exec_lo
	s_and_b32 s22, s22, exec_lo
	s_or_b32 s17, s17, s22
	s_or_b32 exec_lo, exec_lo, s18
	s_and_saveexec_b32 s18, s17
	s_cbranch_execnz .LBB4_5052
	s_branch .LBB4_5053
.LBB4_5473:                             ;   in Loop: Header=BB4_4846 Depth=3
	s_or_saveexec_b32 s17, s17
	v_mov_b32_e32 v89, 0x7f800001
	s_xor_b32 exec_lo, exec_lo, s17
	s_cbranch_execz .LBB4_5067
.LBB4_5474:                             ;   in Loop: Header=BB4_4846 Depth=3
	v_cmp_ne_u16_e32 vcc_lo, 0, v88
	v_mov_b32_e32 v89, 0
	s_andn2_b32 s18, s18, exec_lo
	s_and_b32 s22, vcc_lo, exec_lo
	s_or_b32 s18, s18, s22
	s_or_b32 exec_lo, exec_lo, s17
	s_and_saveexec_b32 s17, s18
	s_cbranch_execnz .LBB4_5068
	s_branch .LBB4_5069
.LBB4_5475:                             ;   in Loop: Header=BB4_4846 Depth=3
	s_or_saveexec_b32 s18, s18
	v_mov_b32_e32 v90, 0x7f800001
	s_xor_b32 exec_lo, exec_lo, s18
	s_cbranch_execz .LBB4_5073
.LBB4_5476:                             ;   in Loop: Header=BB4_4846 Depth=3
	v_cmp_ne_u16_e32 vcc_lo, 0, v91
	v_mov_b32_e32 v90, 0
	s_andn2_b32 s17, s17, exec_lo
	s_and_b32 s22, vcc_lo, exec_lo
	s_or_b32 s17, s17, s22
	s_or_b32 exec_lo, exec_lo, s18
	s_and_saveexec_b32 s18, s17
	s_cbranch_execnz .LBB4_5074
	s_branch .LBB4_5075
.LBB4_5477:                             ;   in Loop: Header=BB4_4846 Depth=3
	s_or_saveexec_b32 s18, s18
	v_mov_b32_e32 v89, 0x7f800001
	s_xor_b32 exec_lo, exec_lo, s18
	s_cbranch_execz .LBB4_5081
.LBB4_5478:                             ;   in Loop: Header=BB4_4846 Depth=3
	v_cmp_ne_u16_e32 vcc_lo, 0, v88
	v_mov_b32_e32 v89, 0
	s_andn2_b32 s17, s17, exec_lo
	s_and_b32 s22, vcc_lo, exec_lo
	s_or_b32 s17, s17, s22
	s_or_b32 exec_lo, exec_lo, s18
	s_and_saveexec_b32 s18, s17
	s_cbranch_execnz .LBB4_5082
	s_branch .LBB4_5083
.LBB4_5479:                             ;   in Loop: Header=BB4_4846 Depth=3
	s_or_saveexec_b32 s18, s18
	v_mov_b32_e32 v88, 0x7f800001
	s_xor_b32 exec_lo, exec_lo, s18
	s_cbranch_execz .LBB4_5087
.LBB4_5480:                             ;   in Loop: Header=BB4_4846 Depth=3
	v_cmp_ne_u16_e32 vcc_lo, 0, v90
	v_mov_b32_e32 v88, 0
	s_andn2_b32 s17, s17, exec_lo
	s_and_b32 s22, vcc_lo, exec_lo
	s_or_b32 s17, s17, s22
	s_or_b32 exec_lo, exec_lo, s18
	s_and_saveexec_b32 s18, s17
	s_cbranch_execnz .LBB4_5088
	s_branch .LBB4_5089
.LBB4_5481:                             ;   in Loop: Header=BB4_4846 Depth=3
	s_or_saveexec_b32 s18, s18
	v_mov_b32_e32 v89, 0x7f800001
	s_xor_b32 exec_lo, exec_lo, s18
	s_cbranch_execz .LBB4_5103
.LBB4_5482:                             ;   in Loop: Header=BB4_4846 Depth=3
	v_cmp_ne_u16_sdwa s22, v13, v2 src0_sel:BYTE_3 src1_sel:DWORD
	v_mov_b32_e32 v89, 0
	s_andn2_b32 s17, s17, exec_lo
	s_and_b32 s22, s22, exec_lo
	s_or_b32 s17, s17, s22
	s_or_b32 exec_lo, exec_lo, s18
	s_and_saveexec_b32 s18, s17
	s_cbranch_execnz .LBB4_5104
	s_branch .LBB4_5105
.LBB4_5483:                             ;   in Loop: Header=BB4_4846 Depth=3
	s_or_saveexec_b32 s18, s18
	v_mov_b32_e32 v90, 0x7f800001
	s_xor_b32 exec_lo, exec_lo, s18
	s_cbranch_execz .LBB4_5109
.LBB4_5484:                             ;   in Loop: Header=BB4_4846 Depth=3
	v_cmp_ne_u16_sdwa s22, v9, v2 src0_sel:BYTE_3 src1_sel:DWORD
	v_mov_b32_e32 v90, 0
	s_andn2_b32 s17, s17, exec_lo
	s_and_b32 s22, s22, exec_lo
	s_or_b32 s17, s17, s22
	s_or_b32 exec_lo, exec_lo, s18
	s_and_saveexec_b32 s18, s17
	s_cbranch_execnz .LBB4_5110
	s_branch .LBB4_5111
.LBB4_5485:                             ;   in Loop: Header=BB4_4846 Depth=3
	s_or_saveexec_b32 s18, s18
	v_mov_b32_e32 v89, 0x7f800001
	s_xor_b32 exec_lo, exec_lo, s18
	s_cbranch_execz .LBB4_5117
.LBB4_5486:                             ;   in Loop: Header=BB4_4846 Depth=3
	v_cmp_ne_u16_sdwa s22, v13, v2 src0_sel:BYTE_3 src1_sel:DWORD
	v_mov_b32_e32 v89, 0
	s_andn2_b32 s17, s17, exec_lo
	s_and_b32 s22, s22, exec_lo
	s_or_b32 s17, s17, s22
	s_or_b32 exec_lo, exec_lo, s18
	s_and_saveexec_b32 s18, s17
	s_cbranch_execnz .LBB4_5118
	s_branch .LBB4_5119
.LBB4_5487:                             ;   in Loop: Header=BB4_4846 Depth=3
	s_or_saveexec_b32 s18, s18
	v_mov_b32_e32 v13, 0x7f800001
	s_xor_b32 exec_lo, exec_lo, s18
	s_cbranch_execz .LBB4_5123
.LBB4_5488:                             ;   in Loop: Header=BB4_4846 Depth=3
	v_cmp_ne_u16_sdwa s22, v9, v2 src0_sel:BYTE_3 src1_sel:DWORD
	v_mov_b32_e32 v13, 0
	s_andn2_b32 s17, s17, exec_lo
	s_and_b32 s22, s22, exec_lo
	s_or_b32 s17, s17, s22
	s_or_b32 exec_lo, exec_lo, s18
	s_and_saveexec_b32 s18, s17
	s_cbranch_execnz .LBB4_5124
	s_branch .LBB4_5125
.LBB4_5489:                             ;   in Loop: Header=BB4_4846 Depth=3
	s_or_saveexec_b32 s18, s18
	v_mov_b32_e32 v9, 0x7f800001
	s_xor_b32 exec_lo, exec_lo, s18
	s_cbranch_execz .LBB4_5139
.LBB4_5490:                             ;   in Loop: Header=BB4_4846 Depth=3
	v_cmp_ne_u16_sdwa s22, v14, v2 src0_sel:BYTE_0 src1_sel:DWORD
	v_mov_b32_e32 v9, 0
	s_andn2_b32 s17, s17, exec_lo
	s_and_b32 s22, s22, exec_lo
	s_or_b32 s17, s17, s22
	s_or_b32 exec_lo, exec_lo, s18
	s_and_saveexec_b32 s18, s17
	s_cbranch_execnz .LBB4_5140
	s_branch .LBB4_5141
.LBB4_5491:                             ;   in Loop: Header=BB4_4846 Depth=3
	s_or_saveexec_b32 s18, s18
	v_mov_b32_e32 v89, 0x7f800001
	s_xor_b32 exec_lo, exec_lo, s18
	s_cbranch_execz .LBB4_5145
.LBB4_5492:                             ;   in Loop: Header=BB4_4846 Depth=3
	v_cmp_ne_u16_sdwa s22, v10, v2 src0_sel:BYTE_0 src1_sel:DWORD
	v_mov_b32_e32 v89, 0
	s_andn2_b32 s17, s17, exec_lo
	s_and_b32 s22, s22, exec_lo
	s_or_b32 s17, s17, s22
	s_or_b32 exec_lo, exec_lo, s18
	s_and_saveexec_b32 s18, s17
	s_cbranch_execnz .LBB4_5146
	s_branch .LBB4_5147
.LBB4_5493:                             ;   in Loop: Header=BB4_4846 Depth=3
	s_or_saveexec_b32 s18, s18
	v_mov_b32_e32 v9, 0x7f800001
	s_xor_b32 exec_lo, exec_lo, s18
	s_cbranch_execz .LBB4_5153
.LBB4_5494:                             ;   in Loop: Header=BB4_4846 Depth=3
	v_cmp_ne_u16_sdwa s22, v14, v2 src0_sel:BYTE_0 src1_sel:DWORD
	v_mov_b32_e32 v9, 0
	s_andn2_b32 s17, s17, exec_lo
	s_and_b32 s22, s22, exec_lo
	s_or_b32 s17, s17, s22
	s_or_b32 exec_lo, exec_lo, s18
	s_and_saveexec_b32 s18, s17
	s_cbranch_execnz .LBB4_5154
	s_branch .LBB4_5155
.LBB4_5495:                             ;   in Loop: Header=BB4_4846 Depth=3
	s_or_saveexec_b32 s18, s18
	v_mov_b32_e32 v89, 0x7f800001
	s_xor_b32 exec_lo, exec_lo, s18
	s_cbranch_execz .LBB4_5159
.LBB4_5496:                             ;   in Loop: Header=BB4_4846 Depth=3
	v_cmp_ne_u16_sdwa s22, v10, v2 src0_sel:BYTE_0 src1_sel:DWORD
	v_mov_b32_e32 v89, 0
	s_andn2_b32 s17, s17, exec_lo
	s_and_b32 s22, s22, exec_lo
	s_or_b32 s17, s17, s22
	s_or_b32 exec_lo, exec_lo, s18
	s_and_saveexec_b32 s18, s17
	s_cbranch_execnz .LBB4_5160
	s_branch .LBB4_5161
.LBB4_5497:                             ;   in Loop: Header=BB4_4846 Depth=3
	s_or_saveexec_b32 s18, s18
	v_mov_b32_e32 v9, 0x7f800001
	s_xor_b32 exec_lo, exec_lo, s18
	s_cbranch_execz .LBB4_5175
.LBB4_5498:                             ;   in Loop: Header=BB4_4846 Depth=3
	v_cmp_ne_u16_sdwa s22, v14, v2 src0_sel:BYTE_1 src1_sel:DWORD
	v_mov_b32_e32 v9, 0
	s_andn2_b32 s17, s17, exec_lo
	s_and_b32 s22, s22, exec_lo
	s_or_b32 s17, s17, s22
	s_or_b32 exec_lo, exec_lo, s18
	s_and_saveexec_b32 s18, s17
	s_cbranch_execnz .LBB4_5176
	s_branch .LBB4_5177
.LBB4_5499:                             ;   in Loop: Header=BB4_4846 Depth=3
	s_or_saveexec_b32 s18, s18
	v_mov_b32_e32 v90, 0x7f800001
	s_xor_b32 exec_lo, exec_lo, s18
	s_cbranch_execz .LBB4_5181
.LBB4_5500:                             ;   in Loop: Header=BB4_4846 Depth=3
	v_cmp_ne_u16_sdwa s22, v10, v2 src0_sel:BYTE_1 src1_sel:DWORD
	v_mov_b32_e32 v90, 0
	s_andn2_b32 s17, s17, exec_lo
	s_and_b32 s22, s22, exec_lo
	s_or_b32 s17, s17, s22
	s_or_b32 exec_lo, exec_lo, s18
	s_and_saveexec_b32 s18, s17
	s_cbranch_execnz .LBB4_5182
	s_branch .LBB4_5183
.LBB4_5501:                             ;   in Loop: Header=BB4_4846 Depth=3
	s_or_saveexec_b32 s18, s18
	v_mov_b32_e32 v9, 0x7f800001
	s_xor_b32 exec_lo, exec_lo, s18
	s_cbranch_execz .LBB4_5189
.LBB4_5502:                             ;   in Loop: Header=BB4_4846 Depth=3
	v_cmp_ne_u16_sdwa s22, v14, v2 src0_sel:BYTE_1 src1_sel:DWORD
	v_mov_b32_e32 v9, 0
	s_andn2_b32 s17, s17, exec_lo
	s_and_b32 s22, s22, exec_lo
	s_or_b32 s17, s17, s22
	s_or_b32 exec_lo, exec_lo, s18
	s_and_saveexec_b32 s18, s17
	s_cbranch_execnz .LBB4_5190
	s_branch .LBB4_5191
.LBB4_5503:                             ;   in Loop: Header=BB4_4846 Depth=3
	s_or_saveexec_b32 s18, s18
	v_mov_b32_e32 v90, 0x7f800001
	s_xor_b32 exec_lo, exec_lo, s18
	s_cbranch_execz .LBB4_5195
.LBB4_5504:                             ;   in Loop: Header=BB4_4846 Depth=3
	v_cmp_ne_u16_sdwa s22, v10, v2 src0_sel:BYTE_1 src1_sel:DWORD
	v_mov_b32_e32 v90, 0
	s_andn2_b32 s17, s17, exec_lo
	s_and_b32 s22, s22, exec_lo
	s_or_b32 s17, s17, s22
	s_or_b32 exec_lo, exec_lo, s18
	s_and_saveexec_b32 s18, s17
	s_cbranch_execnz .LBB4_5196
	s_branch .LBB4_5197
.LBB4_5505:                             ;   in Loop: Header=BB4_4846 Depth=3
	s_or_saveexec_b32 s17, s17
	v_mov_b32_e32 v91, 0x7f800001
	s_xor_b32 exec_lo, exec_lo, s17
	s_cbranch_execz .LBB4_5211
.LBB4_5506:                             ;   in Loop: Header=BB4_4846 Depth=3
	v_cmp_ne_u16_e32 vcc_lo, 0, v9
	v_mov_b32_e32 v91, 0
	s_andn2_b32 s18, s18, exec_lo
	s_and_b32 s22, vcc_lo, exec_lo
	s_or_b32 s18, s18, s22
	s_or_b32 exec_lo, exec_lo, s17
	s_and_saveexec_b32 s17, s18
	s_cbranch_execnz .LBB4_5212
	s_branch .LBB4_5213
.LBB4_5507:                             ;   in Loop: Header=BB4_4846 Depth=3
	s_or_saveexec_b32 s18, s18
	v_mov_b32_e32 v92, 0x7f800001
	s_xor_b32 exec_lo, exec_lo, s18
	s_cbranch_execz .LBB4_5217
.LBB4_5508:                             ;   in Loop: Header=BB4_4846 Depth=3
	v_cmp_ne_u16_e32 vcc_lo, 0, v93
	v_mov_b32_e32 v92, 0
	s_andn2_b32 s17, s17, exec_lo
	s_and_b32 s22, vcc_lo, exec_lo
	s_or_b32 s17, s17, s22
	s_or_b32 exec_lo, exec_lo, s18
	s_and_saveexec_b32 s18, s17
	s_cbranch_execnz .LBB4_5218
	s_branch .LBB4_5219
.LBB4_5509:                             ;   in Loop: Header=BB4_4846 Depth=3
	s_or_saveexec_b32 s18, s18
	v_mov_b32_e32 v91, 0x7f800001
	s_xor_b32 exec_lo, exec_lo, s18
	s_cbranch_execz .LBB4_5225
.LBB4_5510:                             ;   in Loop: Header=BB4_4846 Depth=3
	v_cmp_ne_u16_e32 vcc_lo, 0, v9
	v_mov_b32_e32 v91, 0
	s_andn2_b32 s17, s17, exec_lo
	s_and_b32 s22, vcc_lo, exec_lo
	s_or_b32 s17, s17, s22
	s_or_b32 exec_lo, exec_lo, s18
	s_and_saveexec_b32 s18, s17
	s_cbranch_execnz .LBB4_5226
	s_branch .LBB4_5227
.LBB4_5511:                             ;   in Loop: Header=BB4_4846 Depth=3
	s_or_saveexec_b32 s18, s18
	v_mov_b32_e32 v9, 0x7f800001
	s_xor_b32 exec_lo, exec_lo, s18
	s_cbranch_execz .LBB4_5231
.LBB4_5512:                             ;   in Loop: Header=BB4_4846 Depth=3
	v_cmp_ne_u16_e32 vcc_lo, 0, v92
	v_mov_b32_e32 v9, 0
	s_andn2_b32 s17, s17, exec_lo
	s_and_b32 s22, vcc_lo, exec_lo
	s_or_b32 s17, s17, s22
	s_or_b32 exec_lo, exec_lo, s18
	s_and_saveexec_b32 s18, s17
	s_cbranch_execnz .LBB4_5232
	s_branch .LBB4_5233
.LBB4_5513:                             ;   in Loop: Header=BB4_4846 Depth=3
	s_or_saveexec_b32 s18, s18
	v_mov_b32_e32 v9, 0x7f800001
	s_xor_b32 exec_lo, exec_lo, s18
	s_cbranch_execz .LBB4_5247
.LBB4_5514:                             ;   in Loop: Header=BB4_4846 Depth=3
	v_cmp_ne_u16_sdwa s22, v14, v2 src0_sel:BYTE_3 src1_sel:DWORD
	v_mov_b32_e32 v9, 0
	s_andn2_b32 s17, s17, exec_lo
	s_and_b32 s22, s22, exec_lo
	s_or_b32 s17, s17, s22
	s_or_b32 exec_lo, exec_lo, s18
	s_and_saveexec_b32 s18, s17
	s_cbranch_execnz .LBB4_5248
	s_branch .LBB4_5249
.LBB4_5515:                             ;   in Loop: Header=BB4_4846 Depth=3
	s_or_saveexec_b32 s18, s18
	v_mov_b32_e32 v92, 0x7f800001
	s_xor_b32 exec_lo, exec_lo, s18
	s_cbranch_execz .LBB4_5253
.LBB4_5516:                             ;   in Loop: Header=BB4_4846 Depth=3
	v_cmp_ne_u16_sdwa s22, v10, v2 src0_sel:BYTE_3 src1_sel:DWORD
	v_mov_b32_e32 v92, 0
	s_andn2_b32 s17, s17, exec_lo
	s_and_b32 s22, s22, exec_lo
	s_or_b32 s17, s17, s22
	s_or_b32 exec_lo, exec_lo, s18
	s_and_saveexec_b32 s18, s17
	s_cbranch_execnz .LBB4_5254
	s_branch .LBB4_5255
.LBB4_5517:                             ;   in Loop: Header=BB4_4846 Depth=3
	s_or_saveexec_b32 s18, s18
	v_mov_b32_e32 v9, 0x7f800001
	s_xor_b32 exec_lo, exec_lo, s18
	s_cbranch_execz .LBB4_5261
.LBB4_5518:                             ;   in Loop: Header=BB4_4846 Depth=3
	v_cmp_ne_u16_sdwa s22, v14, v2 src0_sel:BYTE_3 src1_sel:DWORD
	v_mov_b32_e32 v9, 0
	s_andn2_b32 s17, s17, exec_lo
	s_and_b32 s22, s22, exec_lo
	s_or_b32 s17, s17, s22
	s_or_b32 exec_lo, exec_lo, s18
	s_and_saveexec_b32 s18, s17
	s_cbranch_execnz .LBB4_5262
	s_branch .LBB4_5263
.LBB4_5519:                             ;   in Loop: Header=BB4_4846 Depth=3
	s_or_saveexec_b32 s18, s18
	v_mov_b32_e32 v14, 0x7f800001
	s_xor_b32 exec_lo, exec_lo, s18
	s_cbranch_execz .LBB4_5267
.LBB4_5520:                             ;   in Loop: Header=BB4_4846 Depth=3
	v_cmp_ne_u16_sdwa s22, v10, v2 src0_sel:BYTE_3 src1_sel:DWORD
	v_mov_b32_e32 v14, 0
	s_andn2_b32 s17, s17, exec_lo
	s_and_b32 s22, s22, exec_lo
	s_or_b32 s17, s17, s22
	s_or_b32 exec_lo, exec_lo, s18
	s_and_saveexec_b32 s18, s17
	s_cbranch_execnz .LBB4_5268
	s_branch .LBB4_5269
.LBB4_5521:                             ;   in Loop: Header=BB4_4846 Depth=3
	s_or_saveexec_b32 s18, s18
	v_mov_b32_e32 v9, 0x7f800001
	s_xor_b32 exec_lo, exec_lo, s18
	s_cbranch_execz .LBB4_5283
.LBB4_5522:                             ;   in Loop: Header=BB4_4846 Depth=3
	v_cmp_ne_u16_sdwa s22, v15, v2 src0_sel:BYTE_0 src1_sel:DWORD
	v_mov_b32_e32 v9, 0
	s_andn2_b32 s17, s17, exec_lo
	s_and_b32 s22, s22, exec_lo
	s_or_b32 s17, s17, s22
	s_or_b32 exec_lo, exec_lo, s18
	s_and_saveexec_b32 s18, s17
	s_cbranch_execnz .LBB4_5284
	s_branch .LBB4_5285
.LBB4_5523:                             ;   in Loop: Header=BB4_4846 Depth=3
	s_or_saveexec_b32 s18, s18
	v_mov_b32_e32 v10, 0x7f800001
	s_xor_b32 exec_lo, exec_lo, s18
	s_cbranch_execz .LBB4_5289
.LBB4_5524:                             ;   in Loop: Header=BB4_4846 Depth=3
	v_cmp_ne_u16_sdwa s22, v11, v2 src0_sel:BYTE_0 src1_sel:DWORD
	v_mov_b32_e32 v10, 0
	s_andn2_b32 s17, s17, exec_lo
	s_and_b32 s22, s22, exec_lo
	s_or_b32 s17, s17, s22
	s_or_b32 exec_lo, exec_lo, s18
	s_and_saveexec_b32 s18, s17
	s_cbranch_execnz .LBB4_5290
	s_branch .LBB4_5291
.LBB4_5525:                             ;   in Loop: Header=BB4_4846 Depth=3
	s_or_saveexec_b32 s18, s18
	v_mov_b32_e32 v9, 0x7f800001
	s_xor_b32 exec_lo, exec_lo, s18
	s_cbranch_execz .LBB4_5297
.LBB4_5526:                             ;   in Loop: Header=BB4_4846 Depth=3
	v_cmp_ne_u16_sdwa s22, v15, v2 src0_sel:BYTE_0 src1_sel:DWORD
	v_mov_b32_e32 v9, 0
	s_andn2_b32 s17, s17, exec_lo
	s_and_b32 s22, s22, exec_lo
	s_or_b32 s17, s17, s22
	s_or_b32 exec_lo, exec_lo, s18
	s_and_saveexec_b32 s18, s17
	s_cbranch_execnz .LBB4_5298
	s_branch .LBB4_5299
.LBB4_5527:                             ;   in Loop: Header=BB4_4846 Depth=3
	s_or_saveexec_b32 s18, s18
	v_mov_b32_e32 v10, 0x7f800001
	s_xor_b32 exec_lo, exec_lo, s18
	s_cbranch_execz .LBB4_5303
.LBB4_5528:                             ;   in Loop: Header=BB4_4846 Depth=3
	v_cmp_ne_u16_sdwa s22, v11, v2 src0_sel:BYTE_0 src1_sel:DWORD
	v_mov_b32_e32 v10, 0
	s_andn2_b32 s17, s17, exec_lo
	s_and_b32 s22, s22, exec_lo
	s_or_b32 s17, s17, s22
	s_or_b32 exec_lo, exec_lo, s18
	s_and_saveexec_b32 s18, s17
	s_cbranch_execnz .LBB4_5304
	s_branch .LBB4_5305
.LBB4_5529:                             ;   in Loop: Header=BB4_4846 Depth=3
	s_or_saveexec_b32 s18, s18
	v_mov_b32_e32 v9, 0x7f800001
	s_xor_b32 exec_lo, exec_lo, s18
	s_cbranch_execz .LBB4_5319
.LBB4_5530:                             ;   in Loop: Header=BB4_4846 Depth=3
	v_cmp_ne_u16_sdwa s22, v15, v2 src0_sel:BYTE_1 src1_sel:DWORD
	v_mov_b32_e32 v9, 0
	s_andn2_b32 s17, s17, exec_lo
	s_and_b32 s22, s22, exec_lo
	s_or_b32 s17, s17, s22
	s_or_b32 exec_lo, exec_lo, s18
	s_and_saveexec_b32 s18, s17
	s_cbranch_execnz .LBB4_5320
	s_branch .LBB4_5321
.LBB4_5531:                             ;   in Loop: Header=BB4_4846 Depth=3
	s_or_saveexec_b32 s18, s18
	v_mov_b32_e32 v10, 0x7f800001
	s_xor_b32 exec_lo, exec_lo, s18
	s_cbranch_execz .LBB4_5325
.LBB4_5532:                             ;   in Loop: Header=BB4_4846 Depth=3
	v_cmp_ne_u16_sdwa s22, v11, v2 src0_sel:BYTE_1 src1_sel:DWORD
	v_mov_b32_e32 v10, 0
	s_andn2_b32 s17, s17, exec_lo
	s_and_b32 s22, s22, exec_lo
	s_or_b32 s17, s17, s22
	s_or_b32 exec_lo, exec_lo, s18
	s_and_saveexec_b32 s18, s17
	s_cbranch_execnz .LBB4_5326
	s_branch .LBB4_5327
.LBB4_5533:                             ;   in Loop: Header=BB4_4846 Depth=3
	s_or_saveexec_b32 s18, s18
	v_mov_b32_e32 v9, 0x7f800001
	s_xor_b32 exec_lo, exec_lo, s18
	s_cbranch_execz .LBB4_5333
.LBB4_5534:                             ;   in Loop: Header=BB4_4846 Depth=3
	v_cmp_ne_u16_sdwa s22, v15, v2 src0_sel:BYTE_1 src1_sel:DWORD
	v_mov_b32_e32 v9, 0
	s_andn2_b32 s17, s17, exec_lo
	s_and_b32 s22, s22, exec_lo
	s_or_b32 s17, s17, s22
	s_or_b32 exec_lo, exec_lo, s18
	s_and_saveexec_b32 s18, s17
	s_cbranch_execnz .LBB4_5334
	s_branch .LBB4_5335
.LBB4_5535:                             ;   in Loop: Header=BB4_4846 Depth=3
	s_or_saveexec_b32 s18, s18
	v_mov_b32_e32 v10, 0x7f800001
	s_xor_b32 exec_lo, exec_lo, s18
	s_cbranch_execz .LBB4_5339
.LBB4_5536:                             ;   in Loop: Header=BB4_4846 Depth=3
	v_cmp_ne_u16_sdwa s22, v11, v2 src0_sel:BYTE_1 src1_sel:DWORD
	v_mov_b32_e32 v10, 0
	s_andn2_b32 s17, s17, exec_lo
	s_and_b32 s22, s22, exec_lo
	s_or_b32 s17, s17, s22
	s_or_b32 exec_lo, exec_lo, s18
	s_and_saveexec_b32 s18, s17
	s_cbranch_execnz .LBB4_5340
	s_branch .LBB4_5341
.LBB4_5537:                             ;   in Loop: Header=BB4_4846 Depth=3
	s_or_saveexec_b32 s17, s17
	v_mov_b32_e32 v10, 0x7f800001
	s_xor_b32 exec_lo, exec_lo, s17
	s_cbranch_execz .LBB4_5355
.LBB4_5538:                             ;   in Loop: Header=BB4_4846 Depth=3
	v_cmp_ne_u16_e32 vcc_lo, 0, v9
	v_mov_b32_e32 v10, 0
	s_andn2_b32 s18, s18, exec_lo
	s_and_b32 s22, vcc_lo, exec_lo
	s_or_b32 s18, s18, s22
	s_or_b32 exec_lo, exec_lo, s17
	s_and_saveexec_b32 s17, s18
	s_cbranch_execnz .LBB4_5356
	s_branch .LBB4_5357
.LBB4_5539:                             ;   in Loop: Header=BB4_4846 Depth=3
	s_or_saveexec_b32 s18, s18
	v_mov_b32_e32 v94, 0x7f800001
	s_xor_b32 exec_lo, exec_lo, s18
	s_cbranch_execz .LBB4_5361
.LBB4_5540:                             ;   in Loop: Header=BB4_4846 Depth=3
	v_cmp_ne_u16_e32 vcc_lo, 0, v95
	v_mov_b32_e32 v94, 0
	s_andn2_b32 s17, s17, exec_lo
	s_and_b32 s22, vcc_lo, exec_lo
	s_or_b32 s17, s17, s22
	s_or_b32 exec_lo, exec_lo, s18
	s_and_saveexec_b32 s18, s17
	s_cbranch_execnz .LBB4_5362
	s_branch .LBB4_5363
.LBB4_5541:                             ;   in Loop: Header=BB4_4846 Depth=3
	s_or_saveexec_b32 s18, s18
	v_mov_b32_e32 v10, 0x7f800001
	s_xor_b32 exec_lo, exec_lo, s18
	s_cbranch_execz .LBB4_5369
.LBB4_5542:                             ;   in Loop: Header=BB4_4846 Depth=3
	v_cmp_ne_u16_e32 vcc_lo, 0, v9
	v_mov_b32_e32 v10, 0
	s_andn2_b32 s17, s17, exec_lo
	s_and_b32 s22, vcc_lo, exec_lo
	s_or_b32 s17, s17, s22
	s_or_b32 exec_lo, exec_lo, s18
	s_and_saveexec_b32 s18, s17
	s_cbranch_execnz .LBB4_5370
	s_branch .LBB4_5371
.LBB4_5543:                             ;   in Loop: Header=BB4_4846 Depth=3
	s_or_saveexec_b32 s18, s18
	v_mov_b32_e32 v9, 0x7f800001
	s_xor_b32 exec_lo, exec_lo, s18
	s_cbranch_execz .LBB4_5375
.LBB4_5544:                             ;   in Loop: Header=BB4_4846 Depth=3
	v_cmp_ne_u16_e32 vcc_lo, 0, v94
	v_mov_b32_e32 v9, 0
	s_andn2_b32 s17, s17, exec_lo
	s_and_b32 s22, vcc_lo, exec_lo
	s_or_b32 s17, s17, s22
	s_or_b32 exec_lo, exec_lo, s18
	s_and_saveexec_b32 s18, s17
	s_cbranch_execnz .LBB4_5376
	s_branch .LBB4_5377
.LBB4_5545:                             ;   in Loop: Header=BB4_4846 Depth=3
	s_or_saveexec_b32 s18, s18
	v_mov_b32_e32 v8, 0x7f800001
	s_xor_b32 exec_lo, exec_lo, s18
	s_cbranch_execz .LBB4_5391
.LBB4_5546:                             ;   in Loop: Header=BB4_4846 Depth=3
	v_cmp_ne_u16_sdwa s22, v15, v2 src0_sel:BYTE_3 src1_sel:DWORD
	v_mov_b32_e32 v8, 0
	s_andn2_b32 s17, s17, exec_lo
	s_and_b32 s22, s22, exec_lo
	s_or_b32 s17, s17, s22
	s_or_b32 exec_lo, exec_lo, s18
	s_and_saveexec_b32 s18, s17
	s_cbranch_execnz .LBB4_5392
	s_branch .LBB4_5393
.LBB4_5547:                             ;   in Loop: Header=BB4_4846 Depth=3
	s_or_saveexec_b32 s18, s18
	v_mov_b32_e32 v9, 0x7f800001
	s_xor_b32 exec_lo, exec_lo, s18
	s_cbranch_execz .LBB4_5397
.LBB4_5548:                             ;   in Loop: Header=BB4_4846 Depth=3
	v_cmp_ne_u16_sdwa s22, v11, v2 src0_sel:BYTE_3 src1_sel:DWORD
	v_mov_b32_e32 v9, 0
	s_andn2_b32 s17, s17, exec_lo
	s_and_b32 s22, s22, exec_lo
	s_or_b32 s17, s17, s22
	s_or_b32 exec_lo, exec_lo, s18
	s_and_saveexec_b32 s18, s17
	s_cbranch_execnz .LBB4_5398
	s_branch .LBB4_5399
.LBB4_5549:                             ;   in Loop: Header=BB4_4846 Depth=3
	s_or_saveexec_b32 s18, s18
	v_mov_b32_e32 v104, 0x7f800001
	s_xor_b32 exec_lo, exec_lo, s18
	s_cbranch_execz .LBB4_5405
.LBB4_5550:                             ;   in Loop: Header=BB4_4846 Depth=3
	v_cmp_ne_u16_sdwa s22, v15, v2 src0_sel:BYTE_3 src1_sel:DWORD
	v_mov_b32_e32 v104, 0
	s_andn2_b32 s17, s17, exec_lo
	s_and_b32 s22, s22, exec_lo
	s_or_b32 s17, s17, s22
	s_or_b32 exec_lo, exec_lo, s18
	s_and_saveexec_b32 s18, s17
	s_cbranch_execnz .LBB4_5406
	s_branch .LBB4_5407
.LBB4_5551:                             ;   in Loop: Header=BB4_4846 Depth=3
	s_or_saveexec_b32 s18, s18
	v_mov_b32_e32 v8, 0x7f800001
	s_xor_b32 exec_lo, exec_lo, s18
	s_cbranch_execz .LBB4_5411
.LBB4_5552:                             ;   in Loop: Header=BB4_4846 Depth=3
	v_cmp_ne_u16_sdwa s22, v11, v2 src0_sel:BYTE_3 src1_sel:DWORD
	v_mov_b32_e32 v8, 0
	s_andn2_b32 s17, s17, exec_lo
	s_and_b32 s22, s22, exec_lo
	s_or_b32 s17, s17, s22
	s_or_b32 exec_lo, exec_lo, s18
	s_and_saveexec_b32 s18, s17
	s_cbranch_execnz .LBB4_5412
	s_branch .LBB4_5413
.LBB4_5553:                             ;   in Loop: Header=BB4_3351 Depth=2
	s_or_b32 exec_lo, exec_lo, s74
.LBB4_5554:                             ;   in Loop: Header=BB4_3351 Depth=2
	s_or_b32 exec_lo, exec_lo, s73
	v_and_b32_e32 v8, 15, v76
	v_cmp_lt_i32_e32 vcc_lo, 0, v84
	v_sub_nc_u32_e32 v9, v23, v8
	v_cndmask_b32_e32 v10, 0, v103, vcc_lo
	v_cndmask_b32_e64 v17, v23, v8, s16
	v_cndmask_b32_e64 v8, 0, v9, s16
	v_sub_nc_u32_e32 v9, v10, v84
	v_cmp_ne_u32_e32 vcc_lo, 0, v17
	v_add3_u32 v16, v22, v20, v8
	v_lshl_add_u32 v18, v9, 5, v21
	s_and_b32 s16, vcc_lo, exec_lo
.LBB4_5555:                             ;   in Loop: Header=BB4_3351 Depth=2
	s_or_b32 exec_lo, exec_lo, s19
	s_and_saveexec_b32 s22, s16
	s_cbranch_execz .LBB4_6314
.LBB4_5556:                             ;   in Loop: Header=BB4_3351 Depth=2
	v_ashrrev_i32_e32 v8, 31, v18
	v_ashrrev_i32_e32 v9, 31, v17
	s_mov_b32 s17, exec_lo
	v_lshrrev_b32_e32 v8, 27, v8
	v_lshrrev_b32_e32 v9, 23, v9
	v_add_nc_u32_e32 v8, v18, v8
	v_add_nc_u32_e32 v9, v17, v9
	v_ashrrev_i32_e32 v19, 5, v8
	v_ashrrev_i32_e32 v21, 9, v9
	v_sub_nc_u32_e32 v20, v21, v19
	v_cmpx_lt_i32_e32 0, v20
	s_cbranch_execz .LBB4_6264
; %bb.5557:                             ;   in Loop: Header=BB4_3351 Depth=2
	v_and_b32_e32 v8, 0xffffffe0, v8
	s_trap 2
	ds_read_b64 v[14:15], v0
	v_lshlrev_b32_e32 v9, 9, v19
	s_bitcmp1_b32 s72, 0
	v_sub_nc_u32_e32 v8, v18, v8
	s_mov_b32 s18, 0
	s_cselect_b32 s19, -1, 0
	v_add3_u32 v22, v16, v8, v9
	v_ashrrev_i32_e32 v23, 31, v22
	v_add_co_u32 v8, vcc_lo, v22, v80
	v_add_co_ci_u32_e64 v9, null, v23, v81, vcc_lo
	v_add_co_u32 v10, vcc_lo, v22, v82
	v_add_co_ci_u32_e64 v11, null, v23, v83, vcc_lo
	;; [unrolled: 2-line block ×3, first 2 shown]
	s_waitcnt lgkmcnt(0)
	v_add_co_u32 v14, vcc_lo, v14, v22
	v_add_co_ci_u32_e64 v15, null, v15, v23, vcc_lo
	s_branch .LBB4_5561
.LBB4_5558:                             ;   in Loop: Header=BB4_5561 Depth=3
	s_or_b32 exec_lo, exec_lo, s16
	v_lshrrev_b32_e32 v23, 20, v23
	v_cmp_gt_i32_e32 vcc_lo, 16, v22
	v_min_i32_e32 v87, 15, v22
	v_and_b32_sdwa v84, v84, v118 dst_sel:DWORD dst_unused:UNUSED_PAD src0_sel:BYTE_3 src1_sel:DWORD
	v_cndmask_b32_e32 v23, 7, v23, vcc_lo
	v_lshlrev_b32_e32 v87, 3, v87
	v_and_b32_e32 v98, 7, v23
	v_or_b32_e32 v22, v22, v23
	v_or3_b32 v23, v87, v84, v98
	v_cmp_ne_u32_e32 vcc_lo, 0, v22
	v_cndmask_b32_e32 v22, 0, v23, vcc_lo
.LBB4_5559:                             ;   in Loop: Header=BB4_5561 Depth=3
	s_or_b32 exec_lo, exec_lo, s73
.LBB4_5560:                             ;   in Loop: Header=BB4_5561 Depth=3
	s_or_b32 exec_lo, exec_lo, s23
	v_add_co_u32 v12, vcc_lo, v12, v44
	v_sub_nc_u32_e32 v20, v20, v103
	v_add_co_ci_u32_e64 v13, null, 0, v13, vcc_lo
	v_add_co_u32 v14, vcc_lo, v14, v44
	flat_store_byte v[8:9], v82 glc slc
	flat_store_byte v[8:9], v85 offset:32 glc slc
	flat_store_byte v[8:9], v96 offset:64 glc slc
	;; [unrolled: 1-line block ×15, first 2 shown]
	flat_store_byte v[10:11], v82 glc slc
	flat_store_byte v[10:11], v85 offset:32 glc slc
	flat_store_byte v[10:11], v96 offset:64 glc slc
	;; [unrolled: 1-line block ×15, first 2 shown]
	v_add_co_ci_u32_e64 v15, null, 0, v15, vcc_lo
	v_add_co_u32 v8, vcc_lo, v8, v44
	v_add_co_ci_u32_e64 v9, null, 0, v9, vcc_lo
	v_cmp_gt_i32_e32 vcc_lo, 1, v20
	v_add_co_u32 v10, s16, v10, v44
	v_add_co_ci_u32_e64 v11, null, 0, v11, s16
	s_or_b32 s18, vcc_lo, s18
	s_andn2_b32 exec_lo, exec_lo, s18
	s_cbranch_execz .LBB4_6263
.LBB4_5561:                             ;   Parent Loop BB4_47 Depth=1
                                        ;     Parent Loop BB4_3351 Depth=2
                                        ; =>    This Inner Loop Header: Depth=3
	s_clause 0xf
	flat_load_ubyte v120, v[12:13] slc
	flat_load_ubyte v111, v[12:13] offset:32 slc
	flat_load_ubyte v110, v[12:13] offset:64 slc
	;; [unrolled: 1-line block ×15, first 2 shown]
	s_clause 0xf
	flat_load_ubyte v82, v[14:15] slc
	flat_load_ubyte v85, v[14:15] offset:32 slc
	flat_load_ubyte v96, v[14:15] offset:64 slc
	;; [unrolled: 1-line block ×15, first 2 shown]
	s_and_b32 vcc_lo, exec_lo, s19
	s_mov_b32 s16, -1
                                        ; implicit-def: $vgpr121
	s_waitcnt vmcnt(31) lgkmcnt(31)
	v_cmp_gt_i16_sdwa s23, v120, v117 src0_sel:BYTE_0 src1_sel:DWORD
	s_cbranch_vccz .LBB4_5575
; %bb.5562:                             ;   in Loop: Header=BB4_5561 Depth=3
	s_mov_b32 s16, 0
	s_and_saveexec_b32 s73, s23
	s_xor_b32 s23, exec_lo, s73
	s_cbranch_execz .LBB4_6135
; %bb.5563:                             ;   in Loop: Header=BB4_5561 Depth=3
	v_cmp_eq_u16_sdwa s74, v120, v118 src0_sel:BYTE_0 src1_sel:DWORD
	s_mov_b32 s16, -1
	s_and_saveexec_b32 s73, s74
; %bb.5564:                             ;   in Loop: Header=BB4_5561 Depth=3
	s_xor_b32 s16, exec_lo, -1
; %bb.5565:                             ;   in Loop: Header=BB4_5561 Depth=3
	s_or_b32 exec_lo, exec_lo, s73
	s_and_b32 s16, s16, exec_lo
	s_or_saveexec_b32 s23, s23
	v_mov_b32_e32 v121, 0x7f800001
	s_xor_b32 exec_lo, exec_lo, s23
	s_cbranch_execnz .LBB4_6136
.LBB4_5566:                             ;   in Loop: Header=BB4_5561 Depth=3
	s_or_b32 exec_lo, exec_lo, s23
	s_and_saveexec_b32 s23, s16
	s_cbranch_execz .LBB4_5568
.LBB4_5567:                             ;   in Loop: Header=BB4_5561 Depth=3
	v_and_b32_e32 v121, 7, v120
	v_lshrrev_b16 v123, 3, v120
	v_lshlrev_b32_e32 v125, 24, v120
	v_ffbh_u32_e32 v122, v121
	v_and_b32_e32 v123, 15, v123
	v_min_u32_e32 v122, 32, v122
	v_cmp_eq_u32_e32 vcc_lo, 0, v123
	v_subrev_nc_u32_e32 v124, 28, v122
	v_sub_nc_u32_e32 v122, 29, v122
	v_lshlrev_b32_e32 v124, v124, v120
	v_cndmask_b32_e32 v122, v123, v122, vcc_lo
	v_and_b32_e32 v123, 0x80000000, v125
	v_and_b32_e32 v124, 7, v124
	v_lshl_add_u32 v122, v122, 23, 0x3b800000
	v_cndmask_b32_e32 v121, v121, v124, vcc_lo
	v_lshlrev_b32_e32 v121, 20, v121
	v_or3_b32 v121, v123, v122, v121
.LBB4_5568:                             ;   in Loop: Header=BB4_5561 Depth=3
	s_or_b32 exec_lo, exec_lo, s23
	s_waitcnt vmcnt(15) lgkmcnt(15)
	v_cmp_gt_i16_sdwa s16, v82, v117 src0_sel:BYTE_0 src1_sel:DWORD
	s_mov_b32 s23, 0
	s_and_saveexec_b32 s73, s16
	s_xor_b32 s16, exec_lo, s73
	s_cbranch_execz .LBB4_6137
; %bb.5569:                             ;   in Loop: Header=BB4_5561 Depth=3
	v_cmp_eq_u16_sdwa s74, v82, v118 src0_sel:BYTE_0 src1_sel:DWORD
	s_mov_b32 s23, -1
	s_and_saveexec_b32 s73, s74
; %bb.5570:                             ;   in Loop: Header=BB4_5561 Depth=3
	s_xor_b32 s23, exec_lo, -1
; %bb.5571:                             ;   in Loop: Header=BB4_5561 Depth=3
	s_or_b32 exec_lo, exec_lo, s73
	s_and_b32 s23, s23, exec_lo
	s_or_saveexec_b32 s16, s16
	v_mov_b32_e32 v122, 0x7f800001
	s_xor_b32 exec_lo, exec_lo, s16
	s_cbranch_execnz .LBB4_6138
.LBB4_5572:                             ;   in Loop: Header=BB4_5561 Depth=3
	s_or_b32 exec_lo, exec_lo, s16
	s_and_saveexec_b32 s16, s23
	s_cbranch_execz .LBB4_5574
.LBB4_5573:                             ;   in Loop: Header=BB4_5561 Depth=3
	v_and_b32_e32 v122, 7, v82
	v_lshrrev_b16 v124, 3, v82
	v_lshlrev_b32_e32 v126, 24, v82
	v_ffbh_u32_e32 v123, v122
	v_and_b32_e32 v124, 15, v124
	v_min_u32_e32 v123, 32, v123
	v_cmp_eq_u32_e32 vcc_lo, 0, v124
	v_subrev_nc_u32_e32 v125, 28, v123
	v_sub_nc_u32_e32 v123, 29, v123
	v_lshlrev_b32_e32 v125, v125, v82
	v_cndmask_b32_e32 v123, v124, v123, vcc_lo
	v_and_b32_e32 v124, 0x80000000, v126
	v_and_b32_e32 v125, 7, v125
	v_lshl_add_u32 v123, v123, 23, 0x3b800000
	v_cndmask_b32_e32 v122, v122, v125, vcc_lo
	v_lshlrev_b32_e32 v122, 20, v122
	v_or3_b32 v122, v124, v123, v122
.LBB4_5574:                             ;   in Loop: Header=BB4_5561 Depth=3
	s_or_b32 exec_lo, exec_lo, s16
	v_max_f32_e32 v122, v122, v122
	v_max_f32_e32 v121, v121, v121
	s_mov_b32 s16, 0
	v_max_f32_e32 v121, v121, v122
.LBB4_5575:                             ;   in Loop: Header=BB4_5561 Depth=3
	s_and_b32 vcc_lo, exec_lo, s16
	s_cbranch_vccz .LBB4_5589
; %bb.5576:                             ;   in Loop: Header=BB4_5561 Depth=3
	v_cmp_gt_i16_sdwa s23, v120, v117 src0_sel:BYTE_0 src1_sel:DWORD
	s_mov_b32 s16, 0
	s_and_saveexec_b32 s73, s23
	s_xor_b32 s23, exec_lo, s73
	s_cbranch_execz .LBB4_6139
; %bb.5577:                             ;   in Loop: Header=BB4_5561 Depth=3
	v_cmp_eq_u16_sdwa s74, v120, v118 src0_sel:BYTE_0 src1_sel:DWORD
	s_mov_b32 s16, -1
	s_and_saveexec_b32 s73, s74
; %bb.5578:                             ;   in Loop: Header=BB4_5561 Depth=3
	s_xor_b32 s16, exec_lo, -1
; %bb.5579:                             ;   in Loop: Header=BB4_5561 Depth=3
	s_or_b32 exec_lo, exec_lo, s73
	s_and_b32 s16, s16, exec_lo
	s_or_saveexec_b32 s23, s23
	v_mov_b32_e32 v121, 0x7f800001
	s_xor_b32 exec_lo, exec_lo, s23
	s_cbranch_execnz .LBB4_6140
.LBB4_5580:                             ;   in Loop: Header=BB4_5561 Depth=3
	s_or_b32 exec_lo, exec_lo, s23
	s_and_saveexec_b32 s23, s16
	s_cbranch_execz .LBB4_5582
.LBB4_5581:                             ;   in Loop: Header=BB4_5561 Depth=3
	v_and_b32_e32 v121, 7, v120
	v_lshrrev_b16 v123, 3, v120
	v_ffbh_u32_e32 v122, v121
	v_and_b32_e32 v123, 15, v123
	v_min_u32_e32 v122, 32, v122
	v_cmp_eq_u32_e32 vcc_lo, 0, v123
	v_subrev_nc_u32_e32 v124, 28, v122
	v_sub_nc_u32_e32 v122, 29, v122
	v_lshlrev_b32_e32 v124, v124, v120
	v_lshlrev_b32_e32 v120, 24, v120
	v_cndmask_b32_e32 v122, v123, v122, vcc_lo
	v_and_b32_e32 v124, 7, v124
	v_and_b32_e32 v120, 0x80000000, v120
	v_lshl_add_u32 v122, v122, 23, 0x3b800000
	v_cndmask_b32_e32 v121, v121, v124, vcc_lo
	v_lshlrev_b32_e32 v121, 20, v121
	v_or3_b32 v121, v120, v122, v121
.LBB4_5582:                             ;   in Loop: Header=BB4_5561 Depth=3
	s_or_b32 exec_lo, exec_lo, s23
	s_waitcnt vmcnt(15) lgkmcnt(15)
	v_cmp_gt_i16_sdwa s23, v82, v117 src0_sel:BYTE_0 src1_sel:DWORD
	s_mov_b32 s16, 0
	s_and_saveexec_b32 s73, s23
	s_xor_b32 s23, exec_lo, s73
	s_cbranch_execz .LBB4_6141
; %bb.5583:                             ;   in Loop: Header=BB4_5561 Depth=3
	v_cmp_eq_u16_sdwa s74, v82, v118 src0_sel:BYTE_0 src1_sel:DWORD
	s_mov_b32 s16, -1
	s_and_saveexec_b32 s73, s74
; %bb.5584:                             ;   in Loop: Header=BB4_5561 Depth=3
	s_xor_b32 s16, exec_lo, -1
; %bb.5585:                             ;   in Loop: Header=BB4_5561 Depth=3
	s_or_b32 exec_lo, exec_lo, s73
	s_and_b32 s16, s16, exec_lo
	s_or_saveexec_b32 s23, s23
	v_mov_b32_e32 v120, 0x7f800001
	s_xor_b32 exec_lo, exec_lo, s23
	s_cbranch_execnz .LBB4_6142
.LBB4_5586:                             ;   in Loop: Header=BB4_5561 Depth=3
	s_or_b32 exec_lo, exec_lo, s23
	s_and_saveexec_b32 s23, s16
	s_cbranch_execz .LBB4_5588
.LBB4_5587:                             ;   in Loop: Header=BB4_5561 Depth=3
	v_and_b32_e32 v120, 7, v82
	v_lshrrev_b16 v123, 3, v82
	v_ffbh_u32_e32 v122, v120
	v_and_b32_e32 v123, 15, v123
	v_min_u32_e32 v122, 32, v122
	v_cmp_eq_u32_e32 vcc_lo, 0, v123
	v_subrev_nc_u32_e32 v124, 28, v122
	v_sub_nc_u32_e32 v122, 29, v122
	v_lshlrev_b32_e32 v124, v124, v82
	v_lshlrev_b32_e32 v82, 24, v82
	v_cndmask_b32_e32 v122, v123, v122, vcc_lo
	v_and_b32_e32 v124, 7, v124
	v_and_b32_e32 v82, 0x80000000, v82
	v_lshl_add_u32 v122, v122, 23, 0x3b800000
	v_cndmask_b32_e32 v120, v120, v124, vcc_lo
	v_lshlrev_b32_e32 v120, 20, v120
	v_or3_b32 v120, v82, v122, v120
.LBB4_5588:                             ;   in Loop: Header=BB4_5561 Depth=3
	s_or_b32 exec_lo, exec_lo, s23
	v_max_f32_e32 v82, v120, v120
	v_max_f32_e32 v120, v121, v121
	v_min_f32_e32 v121, v120, v82
.LBB4_5589:                             ;   in Loop: Header=BB4_5561 Depth=3
	s_waitcnt vmcnt(15) lgkmcnt(15)
	v_and_b32_e32 v82, 0x7f800000, v121
	v_cmp_ne_u32_e32 vcc_lo, 0x7f800000, v82
	v_mov_b32_e32 v82, 0x80
	s_and_saveexec_b32 s23, vcc_lo
	s_cbranch_execz .LBB4_5597
; %bb.5590:                             ;   in Loop: Header=BB4_5561 Depth=3
	v_mov_b32_e32 v82, 0
	s_mov_b32 s73, exec_lo
	v_cmpx_ne_u32_e32 0, v121
	s_cbranch_execz .LBB4_5596
; %bb.5591:                             ;   in Loop: Header=BB4_5561 Depth=3
	v_bfe_u32 v120, v121, 23, 8
	v_and_b32_e32 v82, 0x7fffff, v121
	v_cmp_gt_u32_e64 s16, 0x79, v120
	v_sub_nc_u32_e32 v122, 0x78, v120
	v_cmp_eq_u32_e32 vcc_lo, 0, v120
	v_or_b32_e32 v123, 0x800000, v82
	v_cndmask_b32_e64 v122, 0, v122, s16
	v_cndmask_b32_e32 v82, v123, v82, vcc_lo
	v_cndmask_b32_e64 v122, v122, 0x77, vcc_lo
	v_lshl_add_u32 v123, 0x100000, v122, -1
	v_lshlrev_b32_e64 v124, v122, 0x80000
	v_and_b32_e32 v123, v123, v82
	v_cmp_eq_u32_e64 s16, v123, v124
	v_lshrrev_b32_e32 v123, v122, v82
	v_add_nc_u32_e32 v82, 0xffffff89, v120
	v_lshrrev_b32_e32 v120, 23, v123
	v_cndmask_b32_e64 v82, v82, 0xffffff8a, vcc_lo
	v_xor_b32_e32 v120, 1, v120
	v_add_nc_u32_e32 v82, v122, v82
	v_bfe_u32 v122, v123, 20, 1
	v_add_nc_u32_e32 v122, -1, v122
	v_cndmask_b32_e64 v122, 0, v122, s16
	s_mov_b32 s16, exec_lo
	v_add_nc_u32_e32 v122, v122, v123
	v_and_b32_e32 v122, 0xfffff, v122
	v_add_nc_u32_e32 v123, v122, v123
                                        ; implicit-def: $vgpr122
	v_cmpx_ne_u32_e64 v82, v120
	s_xor_b32 s16, exec_lo, s16
; %bb.5592:                             ;   in Loop: Header=BB4_5561 Depth=3
	v_cmp_lt_u32_e32 vcc_lo, 0xffffff, v123
	v_sub_nc_u32_e32 v82, v82, v120
	v_cndmask_b32_e64 v120, 0, 1, vcc_lo
	v_add_co_ci_u32_e64 v122, null, 0, v82, vcc_lo
	v_lshrrev_b32_e32 v123, v120, v123
; %bb.5593:                             ;   in Loop: Header=BB4_5561 Depth=3
	s_andn2_saveexec_b32 s16, s16
; %bb.5594:                             ;   in Loop: Header=BB4_5561 Depth=3
	v_bfe_u32 v122, v123, 23, 1
; %bb.5595:                             ;   in Loop: Header=BB4_5561 Depth=3
	s_or_b32 exec_lo, exec_lo, s16
	v_lshrrev_b32_e32 v82, 20, v123
	v_cmp_gt_i32_e32 vcc_lo, 16, v122
	v_min_i32_e32 v120, 15, v122
	v_and_b32_sdwa v121, v121, v118 dst_sel:DWORD dst_unused:UNUSED_PAD src0_sel:BYTE_3 src1_sel:DWORD
	v_cndmask_b32_e32 v82, 7, v82, vcc_lo
	v_lshlrev_b32_e32 v120, 3, v120
	v_and_b32_e32 v123, 7, v82
	v_or_b32_e32 v82, v122, v82
	v_or3_b32 v120, v120, v121, v123
	v_cmp_ne_u32_e32 vcc_lo, 0, v82
	v_cndmask_b32_e32 v82, 0, v120, vcc_lo
.LBB4_5596:                             ;   in Loop: Header=BB4_5561 Depth=3
	s_or_b32 exec_lo, exec_lo, s73
.LBB4_5597:                             ;   in Loop: Header=BB4_5561 Depth=3
	s_or_b32 exec_lo, exec_lo, s23
	v_cmp_gt_i16_sdwa s23, v111, v117 src0_sel:BYTE_0 src1_sel:DWORD
	s_andn2_b32 vcc_lo, exec_lo, s19
	s_mov_b32 s16, -1
                                        ; implicit-def: $vgpr120
	s_cbranch_vccnz .LBB4_5611
; %bb.5598:                             ;   in Loop: Header=BB4_5561 Depth=3
	s_mov_b32 s16, 0
	s_and_saveexec_b32 s73, s23
	s_xor_b32 s23, exec_lo, s73
	s_cbranch_execz .LBB4_6143
; %bb.5599:                             ;   in Loop: Header=BB4_5561 Depth=3
	v_cmp_eq_u16_sdwa s74, v111, v118 src0_sel:BYTE_0 src1_sel:DWORD
	s_mov_b32 s16, -1
	s_and_saveexec_b32 s73, s74
; %bb.5600:                             ;   in Loop: Header=BB4_5561 Depth=3
	s_xor_b32 s16, exec_lo, -1
; %bb.5601:                             ;   in Loop: Header=BB4_5561 Depth=3
	s_or_b32 exec_lo, exec_lo, s73
	s_and_b32 s16, s16, exec_lo
	s_or_saveexec_b32 s23, s23
	v_mov_b32_e32 v120, 0x7f800001
	s_xor_b32 exec_lo, exec_lo, s23
	s_cbranch_execnz .LBB4_6144
.LBB4_5602:                             ;   in Loop: Header=BB4_5561 Depth=3
	s_or_b32 exec_lo, exec_lo, s23
	s_and_saveexec_b32 s23, s16
	s_cbranch_execz .LBB4_5604
.LBB4_5603:                             ;   in Loop: Header=BB4_5561 Depth=3
	v_and_b32_e32 v120, 7, v111
	v_lshrrev_b16 v122, 3, v111
	v_lshlrev_b32_e32 v124, 24, v111
	v_ffbh_u32_e32 v121, v120
	v_and_b32_e32 v122, 15, v122
	v_min_u32_e32 v121, 32, v121
	v_cmp_eq_u32_e32 vcc_lo, 0, v122
	v_subrev_nc_u32_e32 v123, 28, v121
	v_sub_nc_u32_e32 v121, 29, v121
	v_lshlrev_b32_e32 v123, v123, v111
	v_cndmask_b32_e32 v121, v122, v121, vcc_lo
	v_and_b32_e32 v122, 0x80000000, v124
	v_and_b32_e32 v123, 7, v123
	v_lshl_add_u32 v121, v121, 23, 0x3b800000
	v_cndmask_b32_e32 v120, v120, v123, vcc_lo
	v_lshlrev_b32_e32 v120, 20, v120
	v_or3_b32 v120, v122, v121, v120
.LBB4_5604:                             ;   in Loop: Header=BB4_5561 Depth=3
	s_or_b32 exec_lo, exec_lo, s23
	s_waitcnt vmcnt(14) lgkmcnt(14)
	v_cmp_gt_i16_sdwa s23, v85, v117 src0_sel:BYTE_0 src1_sel:DWORD
	s_mov_b32 s16, 0
	s_and_saveexec_b32 s73, s23
	s_xor_b32 s23, exec_lo, s73
	s_cbranch_execz .LBB4_6145
; %bb.5605:                             ;   in Loop: Header=BB4_5561 Depth=3
	v_cmp_eq_u16_sdwa s74, v85, v118 src0_sel:BYTE_0 src1_sel:DWORD
	s_mov_b32 s16, -1
	s_and_saveexec_b32 s73, s74
; %bb.5606:                             ;   in Loop: Header=BB4_5561 Depth=3
	s_xor_b32 s16, exec_lo, -1
; %bb.5607:                             ;   in Loop: Header=BB4_5561 Depth=3
	s_or_b32 exec_lo, exec_lo, s73
	s_and_b32 s16, s16, exec_lo
	s_or_saveexec_b32 s23, s23
	v_mov_b32_e32 v121, 0x7f800001
	s_xor_b32 exec_lo, exec_lo, s23
	s_cbranch_execnz .LBB4_6146
.LBB4_5608:                             ;   in Loop: Header=BB4_5561 Depth=3
	s_or_b32 exec_lo, exec_lo, s23
	s_and_saveexec_b32 s23, s16
	s_cbranch_execz .LBB4_5610
.LBB4_5609:                             ;   in Loop: Header=BB4_5561 Depth=3
	v_and_b32_e32 v121, 7, v85
	v_lshrrev_b16 v123, 3, v85
	v_lshlrev_b32_e32 v125, 24, v85
	v_ffbh_u32_e32 v122, v121
	v_and_b32_e32 v123, 15, v123
	v_min_u32_e32 v122, 32, v122
	v_cmp_eq_u32_e32 vcc_lo, 0, v123
	v_subrev_nc_u32_e32 v124, 28, v122
	v_sub_nc_u32_e32 v122, 29, v122
	v_lshlrev_b32_e32 v124, v124, v85
	v_cndmask_b32_e32 v122, v123, v122, vcc_lo
	v_and_b32_e32 v123, 0x80000000, v125
	v_and_b32_e32 v124, 7, v124
	v_lshl_add_u32 v122, v122, 23, 0x3b800000
	v_cndmask_b32_e32 v121, v121, v124, vcc_lo
	v_lshlrev_b32_e32 v121, 20, v121
	v_or3_b32 v121, v123, v122, v121
.LBB4_5610:                             ;   in Loop: Header=BB4_5561 Depth=3
	s_or_b32 exec_lo, exec_lo, s23
	v_max_f32_e32 v121, v121, v121
	v_max_f32_e32 v120, v120, v120
	s_mov_b32 s16, 0
	v_max_f32_e32 v120, v120, v121
.LBB4_5611:                             ;   in Loop: Header=BB4_5561 Depth=3
	s_and_b32 vcc_lo, exec_lo, s16
	s_cbranch_vccz .LBB4_5625
; %bb.5612:                             ;   in Loop: Header=BB4_5561 Depth=3
	v_cmp_gt_i16_sdwa s23, v111, v117 src0_sel:BYTE_0 src1_sel:DWORD
	s_mov_b32 s16, 0
	s_and_saveexec_b32 s73, s23
	s_xor_b32 s23, exec_lo, s73
	s_cbranch_execz .LBB4_6147
; %bb.5613:                             ;   in Loop: Header=BB4_5561 Depth=3
	v_cmp_eq_u16_sdwa s74, v111, v118 src0_sel:BYTE_0 src1_sel:DWORD
	s_mov_b32 s16, -1
	s_and_saveexec_b32 s73, s74
; %bb.5614:                             ;   in Loop: Header=BB4_5561 Depth=3
	s_xor_b32 s16, exec_lo, -1
; %bb.5615:                             ;   in Loop: Header=BB4_5561 Depth=3
	s_or_b32 exec_lo, exec_lo, s73
	s_and_b32 s16, s16, exec_lo
	s_or_saveexec_b32 s23, s23
	v_mov_b32_e32 v120, 0x7f800001
	s_xor_b32 exec_lo, exec_lo, s23
	s_cbranch_execnz .LBB4_6148
.LBB4_5616:                             ;   in Loop: Header=BB4_5561 Depth=3
	s_or_b32 exec_lo, exec_lo, s23
	s_and_saveexec_b32 s23, s16
	s_cbranch_execz .LBB4_5618
.LBB4_5617:                             ;   in Loop: Header=BB4_5561 Depth=3
	v_and_b32_e32 v120, 7, v111
	v_lshrrev_b16 v122, 3, v111
	v_ffbh_u32_e32 v121, v120
	v_and_b32_e32 v122, 15, v122
	v_min_u32_e32 v121, 32, v121
	v_cmp_eq_u32_e32 vcc_lo, 0, v122
	v_subrev_nc_u32_e32 v123, 28, v121
	v_sub_nc_u32_e32 v121, 29, v121
	v_lshlrev_b32_e32 v123, v123, v111
	v_lshlrev_b32_e32 v111, 24, v111
	v_cndmask_b32_e32 v121, v122, v121, vcc_lo
	v_and_b32_e32 v123, 7, v123
	v_and_b32_e32 v111, 0x80000000, v111
	v_lshl_add_u32 v121, v121, 23, 0x3b800000
	v_cndmask_b32_e32 v120, v120, v123, vcc_lo
	v_lshlrev_b32_e32 v120, 20, v120
	v_or3_b32 v120, v111, v121, v120
.LBB4_5618:                             ;   in Loop: Header=BB4_5561 Depth=3
	s_or_b32 exec_lo, exec_lo, s23
	s_waitcnt vmcnt(14) lgkmcnt(14)
	v_cmp_gt_i16_sdwa s23, v85, v117 src0_sel:BYTE_0 src1_sel:DWORD
	s_mov_b32 s16, 0
	s_and_saveexec_b32 s73, s23
	s_xor_b32 s23, exec_lo, s73
	s_cbranch_execz .LBB4_6149
; %bb.5619:                             ;   in Loop: Header=BB4_5561 Depth=3
	v_cmp_eq_u16_sdwa s74, v85, v118 src0_sel:BYTE_0 src1_sel:DWORD
	s_mov_b32 s16, -1
	s_and_saveexec_b32 s73, s74
; %bb.5620:                             ;   in Loop: Header=BB4_5561 Depth=3
	s_xor_b32 s16, exec_lo, -1
; %bb.5621:                             ;   in Loop: Header=BB4_5561 Depth=3
	s_or_b32 exec_lo, exec_lo, s73
	s_and_b32 s16, s16, exec_lo
	s_or_saveexec_b32 s23, s23
	v_mov_b32_e32 v111, 0x7f800001
	s_xor_b32 exec_lo, exec_lo, s23
	s_cbranch_execnz .LBB4_6150
.LBB4_5622:                             ;   in Loop: Header=BB4_5561 Depth=3
	s_or_b32 exec_lo, exec_lo, s23
	s_and_saveexec_b32 s23, s16
	s_cbranch_execz .LBB4_5624
.LBB4_5623:                             ;   in Loop: Header=BB4_5561 Depth=3
	v_and_b32_e32 v111, 7, v85
	v_lshrrev_b16 v122, 3, v85
	v_ffbh_u32_e32 v121, v111
	v_and_b32_e32 v122, 15, v122
	v_min_u32_e32 v121, 32, v121
	v_cmp_eq_u32_e32 vcc_lo, 0, v122
	v_subrev_nc_u32_e32 v123, 28, v121
	v_sub_nc_u32_e32 v121, 29, v121
	v_lshlrev_b32_e32 v123, v123, v85
	v_lshlrev_b32_e32 v85, 24, v85
	v_cndmask_b32_e32 v121, v122, v121, vcc_lo
	v_and_b32_e32 v123, 7, v123
	v_and_b32_e32 v85, 0x80000000, v85
	v_lshl_add_u32 v121, v121, 23, 0x3b800000
	v_cndmask_b32_e32 v111, v111, v123, vcc_lo
	v_lshlrev_b32_e32 v111, 20, v111
	v_or3_b32 v111, v85, v121, v111
.LBB4_5624:                             ;   in Loop: Header=BB4_5561 Depth=3
	s_or_b32 exec_lo, exec_lo, s23
	v_max_f32_e32 v85, v111, v111
	v_max_f32_e32 v111, v120, v120
	v_min_f32_e32 v120, v111, v85
.LBB4_5625:                             ;   in Loop: Header=BB4_5561 Depth=3
	s_waitcnt vmcnt(14) lgkmcnt(14)
	v_and_b32_e32 v85, 0x7f800000, v120
	v_cmp_ne_u32_e32 vcc_lo, 0x7f800000, v85
	v_mov_b32_e32 v85, 0x80
	s_and_saveexec_b32 s23, vcc_lo
	s_cbranch_execz .LBB4_5633
; %bb.5626:                             ;   in Loop: Header=BB4_5561 Depth=3
	v_mov_b32_e32 v85, 0
	s_mov_b32 s73, exec_lo
	v_cmpx_ne_u32_e32 0, v120
	s_cbranch_execz .LBB4_5632
; %bb.5627:                             ;   in Loop: Header=BB4_5561 Depth=3
	v_bfe_u32 v111, v120, 23, 8
	v_and_b32_e32 v85, 0x7fffff, v120
	v_cmp_gt_u32_e64 s16, 0x79, v111
	v_sub_nc_u32_e32 v121, 0x78, v111
	v_cmp_eq_u32_e32 vcc_lo, 0, v111
	v_or_b32_e32 v122, 0x800000, v85
	v_cndmask_b32_e64 v121, 0, v121, s16
	v_cndmask_b32_e32 v85, v122, v85, vcc_lo
	v_cndmask_b32_e64 v121, v121, 0x77, vcc_lo
	v_lshl_add_u32 v122, 0x100000, v121, -1
	v_lshlrev_b32_e64 v123, v121, 0x80000
	v_and_b32_e32 v122, v122, v85
	v_cmp_eq_u32_e64 s16, v122, v123
	v_lshrrev_b32_e32 v122, v121, v85
	v_add_nc_u32_e32 v85, 0xffffff89, v111
	v_lshrrev_b32_e32 v111, 23, v122
	v_cndmask_b32_e64 v85, v85, 0xffffff8a, vcc_lo
	v_xor_b32_e32 v111, 1, v111
	v_add_nc_u32_e32 v85, v121, v85
	v_bfe_u32 v121, v122, 20, 1
	v_add_nc_u32_e32 v121, -1, v121
	v_cndmask_b32_e64 v121, 0, v121, s16
	s_mov_b32 s16, exec_lo
	v_add_nc_u32_e32 v121, v121, v122
	v_and_b32_e32 v121, 0xfffff, v121
	v_add_nc_u32_e32 v122, v121, v122
                                        ; implicit-def: $vgpr121
	v_cmpx_ne_u32_e64 v85, v111
	s_xor_b32 s16, exec_lo, s16
; %bb.5628:                             ;   in Loop: Header=BB4_5561 Depth=3
	v_cmp_lt_u32_e32 vcc_lo, 0xffffff, v122
	v_sub_nc_u32_e32 v85, v85, v111
	v_cndmask_b32_e64 v111, 0, 1, vcc_lo
	v_add_co_ci_u32_e64 v121, null, 0, v85, vcc_lo
	v_lshrrev_b32_e32 v122, v111, v122
; %bb.5629:                             ;   in Loop: Header=BB4_5561 Depth=3
	s_andn2_saveexec_b32 s16, s16
; %bb.5630:                             ;   in Loop: Header=BB4_5561 Depth=3
	v_bfe_u32 v121, v122, 23, 1
; %bb.5631:                             ;   in Loop: Header=BB4_5561 Depth=3
	s_or_b32 exec_lo, exec_lo, s16
	v_lshrrev_b32_e32 v85, 20, v122
	v_cmp_gt_i32_e32 vcc_lo, 16, v121
	v_min_i32_e32 v111, 15, v121
	v_and_b32_sdwa v120, v120, v118 dst_sel:DWORD dst_unused:UNUSED_PAD src0_sel:BYTE_3 src1_sel:DWORD
	v_cndmask_b32_e32 v85, 7, v85, vcc_lo
	v_lshlrev_b32_e32 v111, 3, v111
	v_and_b32_e32 v122, 7, v85
	v_or_b32_e32 v85, v121, v85
	v_or3_b32 v111, v111, v120, v122
	v_cmp_ne_u32_e32 vcc_lo, 0, v85
	v_cndmask_b32_e32 v85, 0, v111, vcc_lo
.LBB4_5632:                             ;   in Loop: Header=BB4_5561 Depth=3
	s_or_b32 exec_lo, exec_lo, s73
.LBB4_5633:                             ;   in Loop: Header=BB4_5561 Depth=3
	s_or_b32 exec_lo, exec_lo, s23
	v_cmp_gt_i16_sdwa s23, v110, v117 src0_sel:BYTE_0 src1_sel:DWORD
	s_andn2_b32 vcc_lo, exec_lo, s19
	s_mov_b32 s16, -1
                                        ; implicit-def: $vgpr111
	s_cbranch_vccnz .LBB4_5647
; %bb.5634:                             ;   in Loop: Header=BB4_5561 Depth=3
	s_mov_b32 s16, 0
	s_and_saveexec_b32 s73, s23
	s_xor_b32 s23, exec_lo, s73
	s_cbranch_execz .LBB4_6151
; %bb.5635:                             ;   in Loop: Header=BB4_5561 Depth=3
	v_cmp_eq_u16_sdwa s74, v110, v118 src0_sel:BYTE_0 src1_sel:DWORD
	s_mov_b32 s16, -1
	s_and_saveexec_b32 s73, s74
; %bb.5636:                             ;   in Loop: Header=BB4_5561 Depth=3
	s_xor_b32 s16, exec_lo, -1
; %bb.5637:                             ;   in Loop: Header=BB4_5561 Depth=3
	s_or_b32 exec_lo, exec_lo, s73
	s_and_b32 s16, s16, exec_lo
	s_or_saveexec_b32 s23, s23
	v_mov_b32_e32 v111, 0x7f800001
	s_xor_b32 exec_lo, exec_lo, s23
	s_cbranch_execnz .LBB4_6152
.LBB4_5638:                             ;   in Loop: Header=BB4_5561 Depth=3
	s_or_b32 exec_lo, exec_lo, s23
	s_and_saveexec_b32 s23, s16
	s_cbranch_execz .LBB4_5640
.LBB4_5639:                             ;   in Loop: Header=BB4_5561 Depth=3
	v_and_b32_e32 v111, 7, v110
	v_lshrrev_b16 v121, 3, v110
	v_lshlrev_b32_e32 v123, 24, v110
	v_ffbh_u32_e32 v120, v111
	v_and_b32_e32 v121, 15, v121
	v_min_u32_e32 v120, 32, v120
	v_cmp_eq_u32_e32 vcc_lo, 0, v121
	v_subrev_nc_u32_e32 v122, 28, v120
	v_sub_nc_u32_e32 v120, 29, v120
	v_lshlrev_b32_e32 v122, v122, v110
	v_cndmask_b32_e32 v120, v121, v120, vcc_lo
	v_and_b32_e32 v121, 0x80000000, v123
	v_and_b32_e32 v122, 7, v122
	v_lshl_add_u32 v120, v120, 23, 0x3b800000
	v_cndmask_b32_e32 v111, v111, v122, vcc_lo
	v_lshlrev_b32_e32 v111, 20, v111
	v_or3_b32 v111, v121, v120, v111
.LBB4_5640:                             ;   in Loop: Header=BB4_5561 Depth=3
	s_or_b32 exec_lo, exec_lo, s23
	s_waitcnt vmcnt(13) lgkmcnt(13)
	v_cmp_gt_i16_sdwa s23, v96, v117 src0_sel:BYTE_0 src1_sel:DWORD
	s_mov_b32 s16, 0
	s_and_saveexec_b32 s73, s23
	s_xor_b32 s23, exec_lo, s73
	s_cbranch_execz .LBB4_6153
; %bb.5641:                             ;   in Loop: Header=BB4_5561 Depth=3
	v_cmp_eq_u16_sdwa s74, v96, v118 src0_sel:BYTE_0 src1_sel:DWORD
	s_mov_b32 s16, -1
	s_and_saveexec_b32 s73, s74
; %bb.5642:                             ;   in Loop: Header=BB4_5561 Depth=3
	s_xor_b32 s16, exec_lo, -1
; %bb.5643:                             ;   in Loop: Header=BB4_5561 Depth=3
	s_or_b32 exec_lo, exec_lo, s73
	s_and_b32 s16, s16, exec_lo
	s_or_saveexec_b32 s23, s23
	v_mov_b32_e32 v120, 0x7f800001
	s_xor_b32 exec_lo, exec_lo, s23
	s_cbranch_execnz .LBB4_6154
.LBB4_5644:                             ;   in Loop: Header=BB4_5561 Depth=3
	s_or_b32 exec_lo, exec_lo, s23
	s_and_saveexec_b32 s23, s16
	s_cbranch_execz .LBB4_5646
.LBB4_5645:                             ;   in Loop: Header=BB4_5561 Depth=3
	v_and_b32_e32 v120, 7, v96
	v_lshrrev_b16 v122, 3, v96
	v_lshlrev_b32_e32 v124, 24, v96
	v_ffbh_u32_e32 v121, v120
	v_and_b32_e32 v122, 15, v122
	v_min_u32_e32 v121, 32, v121
	v_cmp_eq_u32_e32 vcc_lo, 0, v122
	v_subrev_nc_u32_e32 v123, 28, v121
	v_sub_nc_u32_e32 v121, 29, v121
	v_lshlrev_b32_e32 v123, v123, v96
	v_cndmask_b32_e32 v121, v122, v121, vcc_lo
	v_and_b32_e32 v122, 0x80000000, v124
	v_and_b32_e32 v123, 7, v123
	v_lshl_add_u32 v121, v121, 23, 0x3b800000
	v_cndmask_b32_e32 v120, v120, v123, vcc_lo
	v_lshlrev_b32_e32 v120, 20, v120
	v_or3_b32 v120, v122, v121, v120
.LBB4_5646:                             ;   in Loop: Header=BB4_5561 Depth=3
	s_or_b32 exec_lo, exec_lo, s23
	v_max_f32_e32 v120, v120, v120
	v_max_f32_e32 v111, v111, v111
	s_mov_b32 s16, 0
	v_max_f32_e32 v111, v111, v120
.LBB4_5647:                             ;   in Loop: Header=BB4_5561 Depth=3
	s_and_b32 vcc_lo, exec_lo, s16
	s_cbranch_vccz .LBB4_5661
; %bb.5648:                             ;   in Loop: Header=BB4_5561 Depth=3
	v_cmp_gt_i16_sdwa s23, v110, v117 src0_sel:BYTE_0 src1_sel:DWORD
	s_mov_b32 s16, 0
	s_and_saveexec_b32 s73, s23
	s_xor_b32 s23, exec_lo, s73
	s_cbranch_execz .LBB4_6155
; %bb.5649:                             ;   in Loop: Header=BB4_5561 Depth=3
	v_cmp_eq_u16_sdwa s74, v110, v118 src0_sel:BYTE_0 src1_sel:DWORD
	s_mov_b32 s16, -1
	s_and_saveexec_b32 s73, s74
; %bb.5650:                             ;   in Loop: Header=BB4_5561 Depth=3
	s_xor_b32 s16, exec_lo, -1
; %bb.5651:                             ;   in Loop: Header=BB4_5561 Depth=3
	s_or_b32 exec_lo, exec_lo, s73
	s_and_b32 s16, s16, exec_lo
	s_or_saveexec_b32 s23, s23
	v_mov_b32_e32 v111, 0x7f800001
	s_xor_b32 exec_lo, exec_lo, s23
	s_cbranch_execnz .LBB4_6156
.LBB4_5652:                             ;   in Loop: Header=BB4_5561 Depth=3
	s_or_b32 exec_lo, exec_lo, s23
	s_and_saveexec_b32 s23, s16
	s_cbranch_execz .LBB4_5654
.LBB4_5653:                             ;   in Loop: Header=BB4_5561 Depth=3
	v_and_b32_e32 v111, 7, v110
	v_lshrrev_b16 v121, 3, v110
	v_ffbh_u32_e32 v120, v111
	v_and_b32_e32 v121, 15, v121
	v_min_u32_e32 v120, 32, v120
	v_cmp_eq_u32_e32 vcc_lo, 0, v121
	v_subrev_nc_u32_e32 v122, 28, v120
	v_sub_nc_u32_e32 v120, 29, v120
	v_lshlrev_b32_e32 v122, v122, v110
	v_lshlrev_b32_e32 v110, 24, v110
	v_cndmask_b32_e32 v120, v121, v120, vcc_lo
	v_and_b32_e32 v122, 7, v122
	v_and_b32_e32 v110, 0x80000000, v110
	v_lshl_add_u32 v120, v120, 23, 0x3b800000
	v_cndmask_b32_e32 v111, v111, v122, vcc_lo
	v_lshlrev_b32_e32 v111, 20, v111
	v_or3_b32 v111, v110, v120, v111
.LBB4_5654:                             ;   in Loop: Header=BB4_5561 Depth=3
	s_or_b32 exec_lo, exec_lo, s23
	s_waitcnt vmcnt(13) lgkmcnt(13)
	v_cmp_gt_i16_sdwa s23, v96, v117 src0_sel:BYTE_0 src1_sel:DWORD
	s_mov_b32 s16, 0
	s_and_saveexec_b32 s73, s23
	s_xor_b32 s23, exec_lo, s73
	s_cbranch_execz .LBB4_6157
; %bb.5655:                             ;   in Loop: Header=BB4_5561 Depth=3
	v_cmp_eq_u16_sdwa s74, v96, v118 src0_sel:BYTE_0 src1_sel:DWORD
	s_mov_b32 s16, -1
	s_and_saveexec_b32 s73, s74
; %bb.5656:                             ;   in Loop: Header=BB4_5561 Depth=3
	s_xor_b32 s16, exec_lo, -1
; %bb.5657:                             ;   in Loop: Header=BB4_5561 Depth=3
	s_or_b32 exec_lo, exec_lo, s73
	s_and_b32 s16, s16, exec_lo
	s_or_saveexec_b32 s23, s23
	v_mov_b32_e32 v110, 0x7f800001
	s_xor_b32 exec_lo, exec_lo, s23
	s_cbranch_execnz .LBB4_6158
.LBB4_5658:                             ;   in Loop: Header=BB4_5561 Depth=3
	s_or_b32 exec_lo, exec_lo, s23
	s_and_saveexec_b32 s23, s16
	s_cbranch_execz .LBB4_5660
.LBB4_5659:                             ;   in Loop: Header=BB4_5561 Depth=3
	v_and_b32_e32 v110, 7, v96
	v_lshrrev_b16 v121, 3, v96
	v_ffbh_u32_e32 v120, v110
	v_and_b32_e32 v121, 15, v121
	v_min_u32_e32 v120, 32, v120
	v_cmp_eq_u32_e32 vcc_lo, 0, v121
	v_subrev_nc_u32_e32 v122, 28, v120
	v_sub_nc_u32_e32 v120, 29, v120
	v_lshlrev_b32_e32 v122, v122, v96
	v_lshlrev_b32_e32 v96, 24, v96
	v_cndmask_b32_e32 v120, v121, v120, vcc_lo
	v_and_b32_e32 v122, 7, v122
	v_and_b32_e32 v96, 0x80000000, v96
	v_lshl_add_u32 v120, v120, 23, 0x3b800000
	v_cndmask_b32_e32 v110, v110, v122, vcc_lo
	v_lshlrev_b32_e32 v110, 20, v110
	v_or3_b32 v110, v96, v120, v110
.LBB4_5660:                             ;   in Loop: Header=BB4_5561 Depth=3
	s_or_b32 exec_lo, exec_lo, s23
	v_max_f32_e32 v96, v110, v110
	v_max_f32_e32 v110, v111, v111
	v_min_f32_e32 v111, v110, v96
.LBB4_5661:                             ;   in Loop: Header=BB4_5561 Depth=3
	s_waitcnt vmcnt(13) lgkmcnt(13)
	v_and_b32_e32 v96, 0x7f800000, v111
	v_cmp_ne_u32_e32 vcc_lo, 0x7f800000, v96
	v_mov_b32_e32 v96, 0x80
	s_and_saveexec_b32 s23, vcc_lo
	s_cbranch_execz .LBB4_5669
; %bb.5662:                             ;   in Loop: Header=BB4_5561 Depth=3
	v_mov_b32_e32 v96, 0
	s_mov_b32 s73, exec_lo
	v_cmpx_ne_u32_e32 0, v111
	s_cbranch_execz .LBB4_5668
; %bb.5663:                             ;   in Loop: Header=BB4_5561 Depth=3
	v_bfe_u32 v96, v111, 23, 8
	v_and_b32_e32 v110, 0x7fffff, v111
	v_sub_nc_u32_e32 v120, 0x78, v96
	v_cmp_gt_u32_e32 vcc_lo, 0x79, v96
	v_or_b32_e32 v121, 0x800000, v110
	v_cndmask_b32_e32 v120, 0, v120, vcc_lo
	v_cmp_eq_u32_e32 vcc_lo, 0, v96
	v_add_nc_u32_e32 v96, 0xffffff89, v96
	v_cndmask_b32_e64 v120, v120, 0x77, vcc_lo
	v_cndmask_b32_e32 v110, v121, v110, vcc_lo
	v_cndmask_b32_e64 v96, v96, 0xffffff8a, vcc_lo
	v_lshl_add_u32 v121, 0x100000, v120, -1
	v_lshrrev_b32_e32 v122, v120, v110
	v_lshlrev_b32_e64 v124, v120, 0x80000
	v_add_nc_u32_e32 v120, v120, v96
	v_and_b32_e32 v110, v121, v110
	v_bfe_u32 v123, v122, 20, 1
	v_cmp_eq_u32_e64 s16, v110, v124
	v_add_nc_u32_e32 v121, -1, v123
	v_cndmask_b32_e64 v110, 0, v121, s16
	v_lshrrev_b32_e32 v121, 23, v122
	s_mov_b32 s16, exec_lo
	v_add_nc_u32_e32 v110, v110, v122
	v_xor_b32_e32 v121, 1, v121
	v_and_b32_e32 v96, 0xfffff, v110
	v_add_nc_u32_e32 v110, v96, v122
                                        ; implicit-def: $vgpr96
	v_cmpx_ne_u32_e64 v120, v121
	s_xor_b32 s16, exec_lo, s16
; %bb.5664:                             ;   in Loop: Header=BB4_5561 Depth=3
	v_cmp_lt_u32_e32 vcc_lo, 0xffffff, v110
	v_sub_nc_u32_e32 v96, v120, v121
	v_cndmask_b32_e64 v120, 0, 1, vcc_lo
	v_add_co_ci_u32_e64 v96, null, 0, v96, vcc_lo
	v_lshrrev_b32_e32 v110, v120, v110
; %bb.5665:                             ;   in Loop: Header=BB4_5561 Depth=3
	s_andn2_saveexec_b32 s16, s16
; %bb.5666:                             ;   in Loop: Header=BB4_5561 Depth=3
	v_bfe_u32 v96, v110, 23, 1
; %bb.5667:                             ;   in Loop: Header=BB4_5561 Depth=3
	s_or_b32 exec_lo, exec_lo, s16
	v_lshrrev_b32_e32 v110, 20, v110
	v_cmp_gt_i32_e32 vcc_lo, 16, v96
	v_min_i32_e32 v120, 15, v96
	v_and_b32_sdwa v111, v111, v118 dst_sel:DWORD dst_unused:UNUSED_PAD src0_sel:BYTE_3 src1_sel:DWORD
	v_cndmask_b32_e32 v110, 7, v110, vcc_lo
	v_lshlrev_b32_e32 v120, 3, v120
	v_and_b32_e32 v121, 7, v110
	v_or_b32_e32 v96, v96, v110
	v_or3_b32 v110, v120, v111, v121
	v_cmp_ne_u32_e32 vcc_lo, 0, v96
	v_cndmask_b32_e32 v96, 0, v110, vcc_lo
.LBB4_5668:                             ;   in Loop: Header=BB4_5561 Depth=3
	s_or_b32 exec_lo, exec_lo, s73
.LBB4_5669:                             ;   in Loop: Header=BB4_5561 Depth=3
	s_or_b32 exec_lo, exec_lo, s23
	v_cmp_gt_i16_sdwa s23, v109, v117 src0_sel:BYTE_0 src1_sel:DWORD
	s_andn2_b32 vcc_lo, exec_lo, s19
	s_mov_b32 s16, -1
                                        ; implicit-def: $vgpr110
	s_cbranch_vccnz .LBB4_5683
; %bb.5670:                             ;   in Loop: Header=BB4_5561 Depth=3
	s_mov_b32 s16, 0
	s_and_saveexec_b32 s73, s23
	s_xor_b32 s23, exec_lo, s73
	s_cbranch_execz .LBB4_6159
; %bb.5671:                             ;   in Loop: Header=BB4_5561 Depth=3
	v_cmp_eq_u16_sdwa s74, v109, v118 src0_sel:BYTE_0 src1_sel:DWORD
	s_mov_b32 s16, -1
	s_and_saveexec_b32 s73, s74
; %bb.5672:                             ;   in Loop: Header=BB4_5561 Depth=3
	s_xor_b32 s16, exec_lo, -1
; %bb.5673:                             ;   in Loop: Header=BB4_5561 Depth=3
	s_or_b32 exec_lo, exec_lo, s73
	s_and_b32 s16, s16, exec_lo
	s_or_saveexec_b32 s23, s23
	v_mov_b32_e32 v110, 0x7f800001
	s_xor_b32 exec_lo, exec_lo, s23
	s_cbranch_execnz .LBB4_6160
.LBB4_5674:                             ;   in Loop: Header=BB4_5561 Depth=3
	s_or_b32 exec_lo, exec_lo, s23
	s_and_saveexec_b32 s23, s16
	s_cbranch_execz .LBB4_5676
.LBB4_5675:                             ;   in Loop: Header=BB4_5561 Depth=3
	v_and_b32_e32 v110, 7, v109
	v_lshrrev_b16 v120, 3, v109
	v_lshlrev_b32_e32 v122, 24, v109
	v_ffbh_u32_e32 v111, v110
	v_and_b32_e32 v120, 15, v120
	v_min_u32_e32 v111, 32, v111
	v_cmp_eq_u32_e32 vcc_lo, 0, v120
	v_subrev_nc_u32_e32 v121, 28, v111
	v_sub_nc_u32_e32 v111, 29, v111
	v_lshlrev_b32_e32 v121, v121, v109
	v_cndmask_b32_e32 v111, v120, v111, vcc_lo
	v_and_b32_e32 v120, 0x80000000, v122
	v_and_b32_e32 v121, 7, v121
	v_lshl_add_u32 v111, v111, 23, 0x3b800000
	v_cndmask_b32_e32 v110, v110, v121, vcc_lo
	v_lshlrev_b32_e32 v110, 20, v110
	v_or3_b32 v110, v120, v111, v110
.LBB4_5676:                             ;   in Loop: Header=BB4_5561 Depth=3
	s_or_b32 exec_lo, exec_lo, s23
	s_waitcnt vmcnt(12) lgkmcnt(12)
	v_cmp_gt_i16_sdwa s23, v99, v117 src0_sel:BYTE_0 src1_sel:DWORD
	s_mov_b32 s16, 0
	s_and_saveexec_b32 s73, s23
	s_xor_b32 s23, exec_lo, s73
	s_cbranch_execz .LBB4_6161
; %bb.5677:                             ;   in Loop: Header=BB4_5561 Depth=3
	v_cmp_eq_u16_sdwa s74, v99, v118 src0_sel:BYTE_0 src1_sel:DWORD
	s_mov_b32 s16, -1
	s_and_saveexec_b32 s73, s74
; %bb.5678:                             ;   in Loop: Header=BB4_5561 Depth=3
	s_xor_b32 s16, exec_lo, -1
; %bb.5679:                             ;   in Loop: Header=BB4_5561 Depth=3
	s_or_b32 exec_lo, exec_lo, s73
	s_and_b32 s16, s16, exec_lo
	s_or_saveexec_b32 s23, s23
	v_mov_b32_e32 v111, 0x7f800001
	s_xor_b32 exec_lo, exec_lo, s23
	s_cbranch_execnz .LBB4_6162
.LBB4_5680:                             ;   in Loop: Header=BB4_5561 Depth=3
	s_or_b32 exec_lo, exec_lo, s23
	s_and_saveexec_b32 s23, s16
	s_cbranch_execz .LBB4_5682
.LBB4_5681:                             ;   in Loop: Header=BB4_5561 Depth=3
	v_and_b32_e32 v111, 7, v99
	v_lshrrev_b16 v121, 3, v99
	v_lshlrev_b32_e32 v123, 24, v99
	v_ffbh_u32_e32 v120, v111
	v_and_b32_e32 v121, 15, v121
	v_min_u32_e32 v120, 32, v120
	v_cmp_eq_u32_e32 vcc_lo, 0, v121
	v_subrev_nc_u32_e32 v122, 28, v120
	v_sub_nc_u32_e32 v120, 29, v120
	v_lshlrev_b32_e32 v122, v122, v99
	v_cndmask_b32_e32 v120, v121, v120, vcc_lo
	v_and_b32_e32 v121, 0x80000000, v123
	v_and_b32_e32 v122, 7, v122
	v_lshl_add_u32 v120, v120, 23, 0x3b800000
	v_cndmask_b32_e32 v111, v111, v122, vcc_lo
	v_lshlrev_b32_e32 v111, 20, v111
	v_or3_b32 v111, v121, v120, v111
.LBB4_5682:                             ;   in Loop: Header=BB4_5561 Depth=3
	s_or_b32 exec_lo, exec_lo, s23
	v_max_f32_e32 v111, v111, v111
	v_max_f32_e32 v110, v110, v110
	s_mov_b32 s16, 0
	v_max_f32_e32 v110, v110, v111
.LBB4_5683:                             ;   in Loop: Header=BB4_5561 Depth=3
	s_and_b32 vcc_lo, exec_lo, s16
	s_cbranch_vccz .LBB4_5697
; %bb.5684:                             ;   in Loop: Header=BB4_5561 Depth=3
	v_cmp_gt_i16_sdwa s23, v109, v117 src0_sel:BYTE_0 src1_sel:DWORD
	s_mov_b32 s16, 0
	s_and_saveexec_b32 s73, s23
	s_xor_b32 s23, exec_lo, s73
	s_cbranch_execz .LBB4_6163
; %bb.5685:                             ;   in Loop: Header=BB4_5561 Depth=3
	v_cmp_eq_u16_sdwa s74, v109, v118 src0_sel:BYTE_0 src1_sel:DWORD
	s_mov_b32 s16, -1
	s_and_saveexec_b32 s73, s74
; %bb.5686:                             ;   in Loop: Header=BB4_5561 Depth=3
	s_xor_b32 s16, exec_lo, -1
; %bb.5687:                             ;   in Loop: Header=BB4_5561 Depth=3
	s_or_b32 exec_lo, exec_lo, s73
	s_and_b32 s16, s16, exec_lo
	s_or_saveexec_b32 s23, s23
	v_mov_b32_e32 v110, 0x7f800001
	s_xor_b32 exec_lo, exec_lo, s23
	s_cbranch_execnz .LBB4_6164
.LBB4_5688:                             ;   in Loop: Header=BB4_5561 Depth=3
	s_or_b32 exec_lo, exec_lo, s23
	s_and_saveexec_b32 s23, s16
	s_cbranch_execz .LBB4_5690
.LBB4_5689:                             ;   in Loop: Header=BB4_5561 Depth=3
	v_and_b32_e32 v110, 7, v109
	v_lshrrev_b16 v120, 3, v109
	v_ffbh_u32_e32 v111, v110
	v_and_b32_e32 v120, 15, v120
	v_min_u32_e32 v111, 32, v111
	v_cmp_eq_u32_e32 vcc_lo, 0, v120
	v_subrev_nc_u32_e32 v121, 28, v111
	v_sub_nc_u32_e32 v111, 29, v111
	v_lshlrev_b32_e32 v121, v121, v109
	v_lshlrev_b32_e32 v109, 24, v109
	v_cndmask_b32_e32 v111, v120, v111, vcc_lo
	v_and_b32_e32 v121, 7, v121
	v_and_b32_e32 v109, 0x80000000, v109
	v_lshl_add_u32 v111, v111, 23, 0x3b800000
	v_cndmask_b32_e32 v110, v110, v121, vcc_lo
	v_lshlrev_b32_e32 v110, 20, v110
	v_or3_b32 v110, v109, v111, v110
.LBB4_5690:                             ;   in Loop: Header=BB4_5561 Depth=3
	s_or_b32 exec_lo, exec_lo, s23
	s_waitcnt vmcnt(12) lgkmcnt(12)
	v_cmp_gt_i16_sdwa s23, v99, v117 src0_sel:BYTE_0 src1_sel:DWORD
	s_mov_b32 s16, 0
	s_and_saveexec_b32 s73, s23
	s_xor_b32 s23, exec_lo, s73
	s_cbranch_execz .LBB4_6165
; %bb.5691:                             ;   in Loop: Header=BB4_5561 Depth=3
	v_cmp_eq_u16_sdwa s74, v99, v118 src0_sel:BYTE_0 src1_sel:DWORD
	s_mov_b32 s16, -1
	s_and_saveexec_b32 s73, s74
; %bb.5692:                             ;   in Loop: Header=BB4_5561 Depth=3
	s_xor_b32 s16, exec_lo, -1
; %bb.5693:                             ;   in Loop: Header=BB4_5561 Depth=3
	s_or_b32 exec_lo, exec_lo, s73
	s_and_b32 s16, s16, exec_lo
	s_or_saveexec_b32 s23, s23
	v_mov_b32_e32 v109, 0x7f800001
	s_xor_b32 exec_lo, exec_lo, s23
	s_cbranch_execnz .LBB4_6166
.LBB4_5694:                             ;   in Loop: Header=BB4_5561 Depth=3
	s_or_b32 exec_lo, exec_lo, s23
	s_and_saveexec_b32 s23, s16
	s_cbranch_execz .LBB4_5696
.LBB4_5695:                             ;   in Loop: Header=BB4_5561 Depth=3
	v_and_b32_e32 v109, 7, v99
	v_lshrrev_b16 v120, 3, v99
	v_ffbh_u32_e32 v111, v109
	v_and_b32_e32 v120, 15, v120
	v_min_u32_e32 v111, 32, v111
	v_cmp_eq_u32_e32 vcc_lo, 0, v120
	v_subrev_nc_u32_e32 v121, 28, v111
	v_sub_nc_u32_e32 v111, 29, v111
	v_lshlrev_b32_e32 v121, v121, v99
	v_lshlrev_b32_e32 v99, 24, v99
	v_cndmask_b32_e32 v111, v120, v111, vcc_lo
	v_and_b32_e32 v121, 7, v121
	v_and_b32_e32 v99, 0x80000000, v99
	v_lshl_add_u32 v111, v111, 23, 0x3b800000
	v_cndmask_b32_e32 v109, v109, v121, vcc_lo
	v_lshlrev_b32_e32 v109, 20, v109
	v_or3_b32 v109, v99, v111, v109
.LBB4_5696:                             ;   in Loop: Header=BB4_5561 Depth=3
	s_or_b32 exec_lo, exec_lo, s23
	v_max_f32_e32 v99, v109, v109
	v_max_f32_e32 v109, v110, v110
	v_min_f32_e32 v110, v109, v99
.LBB4_5697:                             ;   in Loop: Header=BB4_5561 Depth=3
	s_waitcnt vmcnt(12) lgkmcnt(12)
	v_and_b32_e32 v99, 0x7f800000, v110
	v_cmp_ne_u32_e32 vcc_lo, 0x7f800000, v99
	v_mov_b32_e32 v99, 0x80
	s_and_saveexec_b32 s23, vcc_lo
	s_cbranch_execz .LBB4_5705
; %bb.5698:                             ;   in Loop: Header=BB4_5561 Depth=3
	v_mov_b32_e32 v99, 0
	s_mov_b32 s73, exec_lo
	v_cmpx_ne_u32_e32 0, v110
	s_cbranch_execz .LBB4_5704
; %bb.5699:                             ;   in Loop: Header=BB4_5561 Depth=3
	v_bfe_u32 v99, v110, 23, 8
	v_and_b32_e32 v109, 0x7fffff, v110
	v_sub_nc_u32_e32 v111, 0x78, v99
	v_cmp_gt_u32_e32 vcc_lo, 0x79, v99
	v_or_b32_e32 v120, 0x800000, v109
	v_cndmask_b32_e32 v111, 0, v111, vcc_lo
	v_cmp_eq_u32_e32 vcc_lo, 0, v99
	v_add_nc_u32_e32 v99, 0xffffff89, v99
	v_cndmask_b32_e64 v111, v111, 0x77, vcc_lo
	v_cndmask_b32_e32 v109, v120, v109, vcc_lo
	v_cndmask_b32_e64 v99, v99, 0xffffff8a, vcc_lo
	v_lshl_add_u32 v120, 0x100000, v111, -1
	v_lshrrev_b32_e32 v121, v111, v109
	v_lshlrev_b32_e64 v123, v111, 0x80000
	v_add_nc_u32_e32 v111, v111, v99
	v_and_b32_e32 v109, v120, v109
	v_bfe_u32 v122, v121, 20, 1
	v_cmp_eq_u32_e64 s16, v109, v123
	v_add_nc_u32_e32 v120, -1, v122
	v_cndmask_b32_e64 v109, 0, v120, s16
	v_lshrrev_b32_e32 v120, 23, v121
	s_mov_b32 s16, exec_lo
	v_add_nc_u32_e32 v109, v109, v121
	v_xor_b32_e32 v120, 1, v120
	v_and_b32_e32 v99, 0xfffff, v109
	v_add_nc_u32_e32 v109, v99, v121
                                        ; implicit-def: $vgpr99
	v_cmpx_ne_u32_e64 v111, v120
	s_xor_b32 s16, exec_lo, s16
; %bb.5700:                             ;   in Loop: Header=BB4_5561 Depth=3
	v_cmp_lt_u32_e32 vcc_lo, 0xffffff, v109
	v_sub_nc_u32_e32 v99, v111, v120
	v_cndmask_b32_e64 v111, 0, 1, vcc_lo
	v_add_co_ci_u32_e64 v99, null, 0, v99, vcc_lo
	v_lshrrev_b32_e32 v109, v111, v109
; %bb.5701:                             ;   in Loop: Header=BB4_5561 Depth=3
	s_andn2_saveexec_b32 s16, s16
; %bb.5702:                             ;   in Loop: Header=BB4_5561 Depth=3
	v_bfe_u32 v99, v109, 23, 1
; %bb.5703:                             ;   in Loop: Header=BB4_5561 Depth=3
	s_or_b32 exec_lo, exec_lo, s16
	v_lshrrev_b32_e32 v109, 20, v109
	v_cmp_gt_i32_e32 vcc_lo, 16, v99
	v_min_i32_e32 v111, 15, v99
	v_and_b32_sdwa v110, v110, v118 dst_sel:DWORD dst_unused:UNUSED_PAD src0_sel:BYTE_3 src1_sel:DWORD
	v_cndmask_b32_e32 v109, 7, v109, vcc_lo
	v_lshlrev_b32_e32 v111, 3, v111
	v_and_b32_e32 v120, 7, v109
	v_or_b32_e32 v99, v99, v109
	v_or3_b32 v109, v111, v110, v120
	v_cmp_ne_u32_e32 vcc_lo, 0, v99
	v_cndmask_b32_e32 v99, 0, v109, vcc_lo
.LBB4_5704:                             ;   in Loop: Header=BB4_5561 Depth=3
	s_or_b32 exec_lo, exec_lo, s73
.LBB4_5705:                             ;   in Loop: Header=BB4_5561 Depth=3
	s_or_b32 exec_lo, exec_lo, s23
	v_cmp_gt_i16_sdwa s23, v108, v117 src0_sel:BYTE_0 src1_sel:DWORD
	s_andn2_b32 vcc_lo, exec_lo, s19
	s_mov_b32 s16, -1
                                        ; implicit-def: $vgpr109
	s_cbranch_vccnz .LBB4_5719
; %bb.5706:                             ;   in Loop: Header=BB4_5561 Depth=3
	s_mov_b32 s16, 0
	s_and_saveexec_b32 s73, s23
	s_xor_b32 s23, exec_lo, s73
	s_cbranch_execz .LBB4_6167
; %bb.5707:                             ;   in Loop: Header=BB4_5561 Depth=3
	v_cmp_eq_u16_sdwa s74, v108, v118 src0_sel:BYTE_0 src1_sel:DWORD
	s_mov_b32 s16, -1
	s_and_saveexec_b32 s73, s74
; %bb.5708:                             ;   in Loop: Header=BB4_5561 Depth=3
	s_xor_b32 s16, exec_lo, -1
; %bb.5709:                             ;   in Loop: Header=BB4_5561 Depth=3
	s_or_b32 exec_lo, exec_lo, s73
	s_and_b32 s16, s16, exec_lo
	s_or_saveexec_b32 s23, s23
	v_mov_b32_e32 v109, 0x7f800001
	s_xor_b32 exec_lo, exec_lo, s23
	s_cbranch_execnz .LBB4_6168
.LBB4_5710:                             ;   in Loop: Header=BB4_5561 Depth=3
	s_or_b32 exec_lo, exec_lo, s23
	s_and_saveexec_b32 s23, s16
	s_cbranch_execz .LBB4_5712
.LBB4_5711:                             ;   in Loop: Header=BB4_5561 Depth=3
	v_and_b32_e32 v109, 7, v108
	v_lshrrev_b16 v111, 3, v108
	v_lshlrev_b32_e32 v121, 24, v108
	v_ffbh_u32_e32 v110, v109
	v_and_b32_e32 v111, 15, v111
	v_min_u32_e32 v110, 32, v110
	v_cmp_eq_u32_e32 vcc_lo, 0, v111
	v_subrev_nc_u32_e32 v120, 28, v110
	v_sub_nc_u32_e32 v110, 29, v110
	v_lshlrev_b32_e32 v120, v120, v108
	v_cndmask_b32_e32 v110, v111, v110, vcc_lo
	v_and_b32_e32 v111, 0x80000000, v121
	v_and_b32_e32 v120, 7, v120
	v_lshl_add_u32 v110, v110, 23, 0x3b800000
	v_cndmask_b32_e32 v109, v109, v120, vcc_lo
	v_lshlrev_b32_e32 v109, 20, v109
	v_or3_b32 v109, v111, v110, v109
.LBB4_5712:                             ;   in Loop: Header=BB4_5561 Depth=3
	s_or_b32 exec_lo, exec_lo, s23
	s_waitcnt vmcnt(11) lgkmcnt(11)
	v_cmp_gt_i16_sdwa s23, v79, v117 src0_sel:BYTE_0 src1_sel:DWORD
	s_mov_b32 s16, 0
	s_and_saveexec_b32 s73, s23
	s_xor_b32 s23, exec_lo, s73
	s_cbranch_execz .LBB4_6169
; %bb.5713:                             ;   in Loop: Header=BB4_5561 Depth=3
	v_cmp_eq_u16_sdwa s74, v79, v118 src0_sel:BYTE_0 src1_sel:DWORD
	s_mov_b32 s16, -1
	s_and_saveexec_b32 s73, s74
; %bb.5714:                             ;   in Loop: Header=BB4_5561 Depth=3
	s_xor_b32 s16, exec_lo, -1
; %bb.5715:                             ;   in Loop: Header=BB4_5561 Depth=3
	s_or_b32 exec_lo, exec_lo, s73
	s_and_b32 s16, s16, exec_lo
	s_or_saveexec_b32 s23, s23
	v_mov_b32_e32 v110, 0x7f800001
	s_xor_b32 exec_lo, exec_lo, s23
	s_cbranch_execnz .LBB4_6170
.LBB4_5716:                             ;   in Loop: Header=BB4_5561 Depth=3
	s_or_b32 exec_lo, exec_lo, s23
	s_and_saveexec_b32 s23, s16
	s_cbranch_execz .LBB4_5718
.LBB4_5717:                             ;   in Loop: Header=BB4_5561 Depth=3
	v_and_b32_e32 v110, 7, v79
	v_lshrrev_b16 v120, 3, v79
	v_lshlrev_b32_e32 v122, 24, v79
	v_ffbh_u32_e32 v111, v110
	v_and_b32_e32 v120, 15, v120
	v_min_u32_e32 v111, 32, v111
	v_cmp_eq_u32_e32 vcc_lo, 0, v120
	v_subrev_nc_u32_e32 v121, 28, v111
	v_sub_nc_u32_e32 v111, 29, v111
	v_lshlrev_b32_e32 v121, v121, v79
	v_cndmask_b32_e32 v111, v120, v111, vcc_lo
	v_and_b32_e32 v120, 0x80000000, v122
	v_and_b32_e32 v121, 7, v121
	v_lshl_add_u32 v111, v111, 23, 0x3b800000
	v_cndmask_b32_e32 v110, v110, v121, vcc_lo
	v_lshlrev_b32_e32 v110, 20, v110
	v_or3_b32 v110, v120, v111, v110
.LBB4_5718:                             ;   in Loop: Header=BB4_5561 Depth=3
	s_or_b32 exec_lo, exec_lo, s23
	v_max_f32_e32 v110, v110, v110
	v_max_f32_e32 v109, v109, v109
	s_mov_b32 s16, 0
	v_max_f32_e32 v109, v109, v110
.LBB4_5719:                             ;   in Loop: Header=BB4_5561 Depth=3
	s_and_b32 vcc_lo, exec_lo, s16
	s_cbranch_vccz .LBB4_5733
; %bb.5720:                             ;   in Loop: Header=BB4_5561 Depth=3
	v_cmp_gt_i16_sdwa s23, v108, v117 src0_sel:BYTE_0 src1_sel:DWORD
	s_mov_b32 s16, 0
	s_and_saveexec_b32 s73, s23
	s_xor_b32 s23, exec_lo, s73
	s_cbranch_execz .LBB4_6171
; %bb.5721:                             ;   in Loop: Header=BB4_5561 Depth=3
	v_cmp_eq_u16_sdwa s74, v108, v118 src0_sel:BYTE_0 src1_sel:DWORD
	s_mov_b32 s16, -1
	s_and_saveexec_b32 s73, s74
; %bb.5722:                             ;   in Loop: Header=BB4_5561 Depth=3
	s_xor_b32 s16, exec_lo, -1
; %bb.5723:                             ;   in Loop: Header=BB4_5561 Depth=3
	s_or_b32 exec_lo, exec_lo, s73
	s_and_b32 s16, s16, exec_lo
	s_or_saveexec_b32 s23, s23
	v_mov_b32_e32 v109, 0x7f800001
	s_xor_b32 exec_lo, exec_lo, s23
	s_cbranch_execnz .LBB4_6172
.LBB4_5724:                             ;   in Loop: Header=BB4_5561 Depth=3
	s_or_b32 exec_lo, exec_lo, s23
	s_and_saveexec_b32 s23, s16
	s_cbranch_execz .LBB4_5726
.LBB4_5725:                             ;   in Loop: Header=BB4_5561 Depth=3
	v_and_b32_e32 v109, 7, v108
	v_lshrrev_b16 v111, 3, v108
	v_ffbh_u32_e32 v110, v109
	v_and_b32_e32 v111, 15, v111
	v_min_u32_e32 v110, 32, v110
	v_cmp_eq_u32_e32 vcc_lo, 0, v111
	v_subrev_nc_u32_e32 v120, 28, v110
	v_sub_nc_u32_e32 v110, 29, v110
	v_lshlrev_b32_e32 v120, v120, v108
	v_lshlrev_b32_e32 v108, 24, v108
	v_cndmask_b32_e32 v110, v111, v110, vcc_lo
	v_and_b32_e32 v120, 7, v120
	v_and_b32_e32 v108, 0x80000000, v108
	v_lshl_add_u32 v110, v110, 23, 0x3b800000
	v_cndmask_b32_e32 v109, v109, v120, vcc_lo
	v_lshlrev_b32_e32 v109, 20, v109
	v_or3_b32 v109, v108, v110, v109
.LBB4_5726:                             ;   in Loop: Header=BB4_5561 Depth=3
	s_or_b32 exec_lo, exec_lo, s23
	s_waitcnt vmcnt(11) lgkmcnt(11)
	v_cmp_gt_i16_sdwa s23, v79, v117 src0_sel:BYTE_0 src1_sel:DWORD
	s_mov_b32 s16, 0
	s_and_saveexec_b32 s73, s23
	s_xor_b32 s23, exec_lo, s73
	s_cbranch_execz .LBB4_6173
; %bb.5727:                             ;   in Loop: Header=BB4_5561 Depth=3
	v_cmp_eq_u16_sdwa s74, v79, v118 src0_sel:BYTE_0 src1_sel:DWORD
	s_mov_b32 s16, -1
	s_and_saveexec_b32 s73, s74
; %bb.5728:                             ;   in Loop: Header=BB4_5561 Depth=3
	s_xor_b32 s16, exec_lo, -1
; %bb.5729:                             ;   in Loop: Header=BB4_5561 Depth=3
	s_or_b32 exec_lo, exec_lo, s73
	s_and_b32 s16, s16, exec_lo
	s_or_saveexec_b32 s23, s23
	v_mov_b32_e32 v108, 0x7f800001
	s_xor_b32 exec_lo, exec_lo, s23
	s_cbranch_execnz .LBB4_6174
.LBB4_5730:                             ;   in Loop: Header=BB4_5561 Depth=3
	s_or_b32 exec_lo, exec_lo, s23
	s_and_saveexec_b32 s23, s16
	s_cbranch_execz .LBB4_5732
.LBB4_5731:                             ;   in Loop: Header=BB4_5561 Depth=3
	v_and_b32_e32 v108, 7, v79
	v_lshrrev_b16 v111, 3, v79
	v_ffbh_u32_e32 v110, v108
	v_and_b32_e32 v111, 15, v111
	v_min_u32_e32 v110, 32, v110
	v_cmp_eq_u32_e32 vcc_lo, 0, v111
	v_subrev_nc_u32_e32 v120, 28, v110
	v_sub_nc_u32_e32 v110, 29, v110
	v_lshlrev_b32_e32 v120, v120, v79
	v_lshlrev_b32_e32 v79, 24, v79
	v_cndmask_b32_e32 v110, v111, v110, vcc_lo
	v_and_b32_e32 v120, 7, v120
	v_and_b32_e32 v79, 0x80000000, v79
	v_lshl_add_u32 v110, v110, 23, 0x3b800000
	v_cndmask_b32_e32 v108, v108, v120, vcc_lo
	v_lshlrev_b32_e32 v108, 20, v108
	v_or3_b32 v108, v79, v110, v108
.LBB4_5732:                             ;   in Loop: Header=BB4_5561 Depth=3
	s_or_b32 exec_lo, exec_lo, s23
	v_max_f32_e32 v79, v108, v108
	v_max_f32_e32 v108, v109, v109
	v_min_f32_e32 v109, v108, v79
.LBB4_5733:                             ;   in Loop: Header=BB4_5561 Depth=3
	s_waitcnt vmcnt(11) lgkmcnt(11)
	v_and_b32_e32 v79, 0x7f800000, v109
	v_cmp_ne_u32_e32 vcc_lo, 0x7f800000, v79
	v_mov_b32_e32 v79, 0x80
	s_and_saveexec_b32 s23, vcc_lo
	s_cbranch_execz .LBB4_5741
; %bb.5734:                             ;   in Loop: Header=BB4_5561 Depth=3
	v_mov_b32_e32 v79, 0
	s_mov_b32 s73, exec_lo
	v_cmpx_ne_u32_e32 0, v109
	s_cbranch_execz .LBB4_5740
; %bb.5735:                             ;   in Loop: Header=BB4_5561 Depth=3
	v_bfe_u32 v79, v109, 23, 8
	v_and_b32_e32 v108, 0x7fffff, v109
	v_sub_nc_u32_e32 v110, 0x78, v79
	v_cmp_gt_u32_e32 vcc_lo, 0x79, v79
	v_or_b32_e32 v111, 0x800000, v108
	v_cndmask_b32_e32 v110, 0, v110, vcc_lo
	v_cmp_eq_u32_e32 vcc_lo, 0, v79
	v_add_nc_u32_e32 v79, 0xffffff89, v79
	v_cndmask_b32_e64 v110, v110, 0x77, vcc_lo
	v_cndmask_b32_e32 v108, v111, v108, vcc_lo
	v_cndmask_b32_e64 v79, v79, 0xffffff8a, vcc_lo
	v_lshl_add_u32 v111, 0x100000, v110, -1
	v_lshrrev_b32_e32 v120, v110, v108
	v_lshlrev_b32_e64 v122, v110, 0x80000
	v_add_nc_u32_e32 v110, v110, v79
	v_and_b32_e32 v108, v111, v108
	v_bfe_u32 v121, v120, 20, 1
	v_cmp_eq_u32_e64 s16, v108, v122
	v_add_nc_u32_e32 v111, -1, v121
	v_cndmask_b32_e64 v108, 0, v111, s16
	v_lshrrev_b32_e32 v111, 23, v120
	s_mov_b32 s16, exec_lo
	v_add_nc_u32_e32 v108, v108, v120
	v_xor_b32_e32 v111, 1, v111
	v_and_b32_e32 v79, 0xfffff, v108
	v_add_nc_u32_e32 v108, v79, v120
                                        ; implicit-def: $vgpr79
	v_cmpx_ne_u32_e64 v110, v111
	s_xor_b32 s16, exec_lo, s16
; %bb.5736:                             ;   in Loop: Header=BB4_5561 Depth=3
	v_cmp_lt_u32_e32 vcc_lo, 0xffffff, v108
	v_sub_nc_u32_e32 v79, v110, v111
	v_cndmask_b32_e64 v110, 0, 1, vcc_lo
	v_add_co_ci_u32_e64 v79, null, 0, v79, vcc_lo
	v_lshrrev_b32_e32 v108, v110, v108
; %bb.5737:                             ;   in Loop: Header=BB4_5561 Depth=3
	s_andn2_saveexec_b32 s16, s16
; %bb.5738:                             ;   in Loop: Header=BB4_5561 Depth=3
	v_bfe_u32 v79, v108, 23, 1
; %bb.5739:                             ;   in Loop: Header=BB4_5561 Depth=3
	s_or_b32 exec_lo, exec_lo, s16
	v_lshrrev_b32_e32 v108, 20, v108
	v_cmp_gt_i32_e32 vcc_lo, 16, v79
	v_min_i32_e32 v110, 15, v79
	v_and_b32_sdwa v109, v109, v118 dst_sel:DWORD dst_unused:UNUSED_PAD src0_sel:BYTE_3 src1_sel:DWORD
	v_cndmask_b32_e32 v108, 7, v108, vcc_lo
	v_lshlrev_b32_e32 v110, 3, v110
	v_and_b32_e32 v111, 7, v108
	v_or_b32_e32 v79, v79, v108
	v_or3_b32 v108, v110, v109, v111
	v_cmp_ne_u32_e32 vcc_lo, 0, v79
	v_cndmask_b32_e32 v79, 0, v108, vcc_lo
.LBB4_5740:                             ;   in Loop: Header=BB4_5561 Depth=3
	s_or_b32 exec_lo, exec_lo, s73
.LBB4_5741:                             ;   in Loop: Header=BB4_5561 Depth=3
	s_or_b32 exec_lo, exec_lo, s23
	v_cmp_gt_i16_sdwa s23, v107, v117 src0_sel:BYTE_0 src1_sel:DWORD
	s_andn2_b32 vcc_lo, exec_lo, s19
	s_mov_b32 s16, -1
                                        ; implicit-def: $vgpr108
	s_cbranch_vccnz .LBB4_5755
; %bb.5742:                             ;   in Loop: Header=BB4_5561 Depth=3
	s_mov_b32 s16, 0
	s_and_saveexec_b32 s73, s23
	s_xor_b32 s23, exec_lo, s73
	s_cbranch_execz .LBB4_6175
; %bb.5743:                             ;   in Loop: Header=BB4_5561 Depth=3
	v_cmp_eq_u16_sdwa s74, v107, v118 src0_sel:BYTE_0 src1_sel:DWORD
	s_mov_b32 s16, -1
	s_and_saveexec_b32 s73, s74
; %bb.5744:                             ;   in Loop: Header=BB4_5561 Depth=3
	s_xor_b32 s16, exec_lo, -1
; %bb.5745:                             ;   in Loop: Header=BB4_5561 Depth=3
	s_or_b32 exec_lo, exec_lo, s73
	s_and_b32 s16, s16, exec_lo
	s_or_saveexec_b32 s23, s23
	v_mov_b32_e32 v108, 0x7f800001
	s_xor_b32 exec_lo, exec_lo, s23
	s_cbranch_execnz .LBB4_6176
.LBB4_5746:                             ;   in Loop: Header=BB4_5561 Depth=3
	s_or_b32 exec_lo, exec_lo, s23
	s_and_saveexec_b32 s23, s16
	s_cbranch_execz .LBB4_5748
.LBB4_5747:                             ;   in Loop: Header=BB4_5561 Depth=3
	v_and_b32_e32 v108, 7, v107
	v_lshrrev_b16 v110, 3, v107
	v_lshlrev_b32_e32 v120, 24, v107
	v_ffbh_u32_e32 v109, v108
	v_and_b32_e32 v110, 15, v110
	v_min_u32_e32 v109, 32, v109
	v_cmp_eq_u32_e32 vcc_lo, 0, v110
	v_subrev_nc_u32_e32 v111, 28, v109
	v_sub_nc_u32_e32 v109, 29, v109
	v_lshlrev_b32_e32 v111, v111, v107
	v_cndmask_b32_e32 v109, v110, v109, vcc_lo
	v_and_b32_e32 v110, 0x80000000, v120
	v_and_b32_e32 v111, 7, v111
	v_lshl_add_u32 v109, v109, 23, 0x3b800000
	v_cndmask_b32_e32 v108, v108, v111, vcc_lo
	v_lshlrev_b32_e32 v108, 20, v108
	v_or3_b32 v108, v110, v109, v108
.LBB4_5748:                             ;   in Loop: Header=BB4_5561 Depth=3
	s_or_b32 exec_lo, exec_lo, s23
	s_waitcnt vmcnt(10) lgkmcnt(10)
	v_cmp_gt_i16_sdwa s23, v90, v117 src0_sel:BYTE_0 src1_sel:DWORD
	s_mov_b32 s16, 0
	s_and_saveexec_b32 s73, s23
	s_xor_b32 s23, exec_lo, s73
	s_cbranch_execz .LBB4_6177
; %bb.5749:                             ;   in Loop: Header=BB4_5561 Depth=3
	v_cmp_eq_u16_sdwa s74, v90, v118 src0_sel:BYTE_0 src1_sel:DWORD
	s_mov_b32 s16, -1
	s_and_saveexec_b32 s73, s74
; %bb.5750:                             ;   in Loop: Header=BB4_5561 Depth=3
	s_xor_b32 s16, exec_lo, -1
; %bb.5751:                             ;   in Loop: Header=BB4_5561 Depth=3
	s_or_b32 exec_lo, exec_lo, s73
	s_and_b32 s16, s16, exec_lo
	s_or_saveexec_b32 s23, s23
	v_mov_b32_e32 v109, 0x7f800001
	s_xor_b32 exec_lo, exec_lo, s23
	s_cbranch_execnz .LBB4_6178
.LBB4_5752:                             ;   in Loop: Header=BB4_5561 Depth=3
	s_or_b32 exec_lo, exec_lo, s23
	s_and_saveexec_b32 s23, s16
	s_cbranch_execz .LBB4_5754
.LBB4_5753:                             ;   in Loop: Header=BB4_5561 Depth=3
	v_and_b32_e32 v109, 7, v90
	v_lshrrev_b16 v111, 3, v90
	v_lshlrev_b32_e32 v121, 24, v90
	v_ffbh_u32_e32 v110, v109
	v_and_b32_e32 v111, 15, v111
	v_min_u32_e32 v110, 32, v110
	v_cmp_eq_u32_e32 vcc_lo, 0, v111
	v_subrev_nc_u32_e32 v120, 28, v110
	v_sub_nc_u32_e32 v110, 29, v110
	v_lshlrev_b32_e32 v120, v120, v90
	v_cndmask_b32_e32 v110, v111, v110, vcc_lo
	v_and_b32_e32 v111, 0x80000000, v121
	v_and_b32_e32 v120, 7, v120
	v_lshl_add_u32 v110, v110, 23, 0x3b800000
	v_cndmask_b32_e32 v109, v109, v120, vcc_lo
	v_lshlrev_b32_e32 v109, 20, v109
	v_or3_b32 v109, v111, v110, v109
.LBB4_5754:                             ;   in Loop: Header=BB4_5561 Depth=3
	s_or_b32 exec_lo, exec_lo, s23
	v_max_f32_e32 v109, v109, v109
	v_max_f32_e32 v108, v108, v108
	s_mov_b32 s16, 0
	v_max_f32_e32 v108, v108, v109
.LBB4_5755:                             ;   in Loop: Header=BB4_5561 Depth=3
	s_and_b32 vcc_lo, exec_lo, s16
	s_cbranch_vccz .LBB4_5769
; %bb.5756:                             ;   in Loop: Header=BB4_5561 Depth=3
	v_cmp_gt_i16_sdwa s23, v107, v117 src0_sel:BYTE_0 src1_sel:DWORD
	s_mov_b32 s16, 0
	s_and_saveexec_b32 s73, s23
	s_xor_b32 s23, exec_lo, s73
	s_cbranch_execz .LBB4_6179
; %bb.5757:                             ;   in Loop: Header=BB4_5561 Depth=3
	v_cmp_eq_u16_sdwa s74, v107, v118 src0_sel:BYTE_0 src1_sel:DWORD
	s_mov_b32 s16, -1
	s_and_saveexec_b32 s73, s74
; %bb.5758:                             ;   in Loop: Header=BB4_5561 Depth=3
	s_xor_b32 s16, exec_lo, -1
; %bb.5759:                             ;   in Loop: Header=BB4_5561 Depth=3
	s_or_b32 exec_lo, exec_lo, s73
	s_and_b32 s16, s16, exec_lo
	s_or_saveexec_b32 s23, s23
	v_mov_b32_e32 v108, 0x7f800001
	s_xor_b32 exec_lo, exec_lo, s23
	s_cbranch_execnz .LBB4_6180
.LBB4_5760:                             ;   in Loop: Header=BB4_5561 Depth=3
	s_or_b32 exec_lo, exec_lo, s23
	s_and_saveexec_b32 s23, s16
	s_cbranch_execz .LBB4_5762
.LBB4_5761:                             ;   in Loop: Header=BB4_5561 Depth=3
	v_and_b32_e32 v108, 7, v107
	v_lshrrev_b16 v110, 3, v107
	v_ffbh_u32_e32 v109, v108
	v_and_b32_e32 v110, 15, v110
	v_min_u32_e32 v109, 32, v109
	v_cmp_eq_u32_e32 vcc_lo, 0, v110
	v_subrev_nc_u32_e32 v111, 28, v109
	v_sub_nc_u32_e32 v109, 29, v109
	v_lshlrev_b32_e32 v111, v111, v107
	v_lshlrev_b32_e32 v107, 24, v107
	v_cndmask_b32_e32 v109, v110, v109, vcc_lo
	v_and_b32_e32 v111, 7, v111
	v_and_b32_e32 v107, 0x80000000, v107
	v_lshl_add_u32 v109, v109, 23, 0x3b800000
	v_cndmask_b32_e32 v108, v108, v111, vcc_lo
	v_lshlrev_b32_e32 v108, 20, v108
	v_or3_b32 v108, v107, v109, v108
.LBB4_5762:                             ;   in Loop: Header=BB4_5561 Depth=3
	s_or_b32 exec_lo, exec_lo, s23
	s_waitcnt vmcnt(10) lgkmcnt(10)
	v_cmp_gt_i16_sdwa s23, v90, v117 src0_sel:BYTE_0 src1_sel:DWORD
	s_mov_b32 s16, 0
	s_and_saveexec_b32 s73, s23
	s_xor_b32 s23, exec_lo, s73
	s_cbranch_execz .LBB4_6181
; %bb.5763:                             ;   in Loop: Header=BB4_5561 Depth=3
	v_cmp_eq_u16_sdwa s74, v90, v118 src0_sel:BYTE_0 src1_sel:DWORD
	s_mov_b32 s16, -1
	s_and_saveexec_b32 s73, s74
; %bb.5764:                             ;   in Loop: Header=BB4_5561 Depth=3
	s_xor_b32 s16, exec_lo, -1
; %bb.5765:                             ;   in Loop: Header=BB4_5561 Depth=3
	s_or_b32 exec_lo, exec_lo, s73
	s_and_b32 s16, s16, exec_lo
	s_or_saveexec_b32 s23, s23
	v_mov_b32_e32 v107, 0x7f800001
	s_xor_b32 exec_lo, exec_lo, s23
	s_cbranch_execnz .LBB4_6182
.LBB4_5766:                             ;   in Loop: Header=BB4_5561 Depth=3
	s_or_b32 exec_lo, exec_lo, s23
	s_and_saveexec_b32 s23, s16
	s_cbranch_execz .LBB4_5768
.LBB4_5767:                             ;   in Loop: Header=BB4_5561 Depth=3
	v_and_b32_e32 v107, 7, v90
	v_lshrrev_b16 v110, 3, v90
	v_ffbh_u32_e32 v109, v107
	v_and_b32_e32 v110, 15, v110
	v_min_u32_e32 v109, 32, v109
	v_cmp_eq_u32_e32 vcc_lo, 0, v110
	v_subrev_nc_u32_e32 v111, 28, v109
	v_sub_nc_u32_e32 v109, 29, v109
	v_lshlrev_b32_e32 v111, v111, v90
	v_lshlrev_b32_e32 v90, 24, v90
	v_cndmask_b32_e32 v109, v110, v109, vcc_lo
	v_and_b32_e32 v111, 7, v111
	v_and_b32_e32 v90, 0x80000000, v90
	v_lshl_add_u32 v109, v109, 23, 0x3b800000
	v_cndmask_b32_e32 v107, v107, v111, vcc_lo
	v_lshlrev_b32_e32 v107, 20, v107
	v_or3_b32 v107, v90, v109, v107
.LBB4_5768:                             ;   in Loop: Header=BB4_5561 Depth=3
	s_or_b32 exec_lo, exec_lo, s23
	v_max_f32_e32 v90, v107, v107
	v_max_f32_e32 v107, v108, v108
	v_min_f32_e32 v108, v107, v90
.LBB4_5769:                             ;   in Loop: Header=BB4_5561 Depth=3
	s_waitcnt vmcnt(10) lgkmcnt(10)
	v_and_b32_e32 v90, 0x7f800000, v108
	v_cmp_ne_u32_e32 vcc_lo, 0x7f800000, v90
	v_mov_b32_e32 v90, 0x80
	s_and_saveexec_b32 s23, vcc_lo
	s_cbranch_execz .LBB4_5777
; %bb.5770:                             ;   in Loop: Header=BB4_5561 Depth=3
	v_mov_b32_e32 v90, 0
	s_mov_b32 s73, exec_lo
	v_cmpx_ne_u32_e32 0, v108
	s_cbranch_execz .LBB4_5776
; %bb.5771:                             ;   in Loop: Header=BB4_5561 Depth=3
	v_bfe_u32 v90, v108, 23, 8
	v_and_b32_e32 v107, 0x7fffff, v108
	v_sub_nc_u32_e32 v109, 0x78, v90
	v_cmp_gt_u32_e32 vcc_lo, 0x79, v90
	v_or_b32_e32 v110, 0x800000, v107
	v_cndmask_b32_e32 v109, 0, v109, vcc_lo
	v_cmp_eq_u32_e32 vcc_lo, 0, v90
	v_add_nc_u32_e32 v90, 0xffffff89, v90
	v_cndmask_b32_e64 v109, v109, 0x77, vcc_lo
	v_cndmask_b32_e32 v107, v110, v107, vcc_lo
	v_cndmask_b32_e64 v90, v90, 0xffffff8a, vcc_lo
	v_lshl_add_u32 v110, 0x100000, v109, -1
	v_lshrrev_b32_e32 v111, v109, v107
	v_lshlrev_b32_e64 v121, v109, 0x80000
	v_add_nc_u32_e32 v109, v109, v90
	v_and_b32_e32 v107, v110, v107
	v_bfe_u32 v120, v111, 20, 1
	v_cmp_eq_u32_e64 s16, v107, v121
	v_add_nc_u32_e32 v110, -1, v120
	v_cndmask_b32_e64 v107, 0, v110, s16
	v_lshrrev_b32_e32 v110, 23, v111
	s_mov_b32 s16, exec_lo
	v_add_nc_u32_e32 v107, v107, v111
	v_xor_b32_e32 v110, 1, v110
	v_and_b32_e32 v90, 0xfffff, v107
	v_add_nc_u32_e32 v107, v90, v111
                                        ; implicit-def: $vgpr90
	v_cmpx_ne_u32_e64 v109, v110
	s_xor_b32 s16, exec_lo, s16
; %bb.5772:                             ;   in Loop: Header=BB4_5561 Depth=3
	v_cmp_lt_u32_e32 vcc_lo, 0xffffff, v107
	v_sub_nc_u32_e32 v90, v109, v110
	v_cndmask_b32_e64 v109, 0, 1, vcc_lo
	v_add_co_ci_u32_e64 v90, null, 0, v90, vcc_lo
	v_lshrrev_b32_e32 v107, v109, v107
; %bb.5773:                             ;   in Loop: Header=BB4_5561 Depth=3
	s_andn2_saveexec_b32 s16, s16
; %bb.5774:                             ;   in Loop: Header=BB4_5561 Depth=3
	v_bfe_u32 v90, v107, 23, 1
; %bb.5775:                             ;   in Loop: Header=BB4_5561 Depth=3
	s_or_b32 exec_lo, exec_lo, s16
	v_lshrrev_b32_e32 v107, 20, v107
	v_cmp_gt_i32_e32 vcc_lo, 16, v90
	v_min_i32_e32 v109, 15, v90
	v_and_b32_sdwa v108, v108, v118 dst_sel:DWORD dst_unused:UNUSED_PAD src0_sel:BYTE_3 src1_sel:DWORD
	v_cndmask_b32_e32 v107, 7, v107, vcc_lo
	v_lshlrev_b32_e32 v109, 3, v109
	v_and_b32_e32 v110, 7, v107
	v_or_b32_e32 v90, v90, v107
	v_or3_b32 v107, v109, v108, v110
	v_cmp_ne_u32_e32 vcc_lo, 0, v90
	v_cndmask_b32_e32 v90, 0, v107, vcc_lo
.LBB4_5776:                             ;   in Loop: Header=BB4_5561 Depth=3
	s_or_b32 exec_lo, exec_lo, s73
.LBB4_5777:                             ;   in Loop: Header=BB4_5561 Depth=3
	s_or_b32 exec_lo, exec_lo, s23
	v_cmp_gt_i16_sdwa s23, v106, v117 src0_sel:BYTE_0 src1_sel:DWORD
	s_andn2_b32 vcc_lo, exec_lo, s19
	s_mov_b32 s16, -1
                                        ; implicit-def: $vgpr107
	s_cbranch_vccnz .LBB4_5791
; %bb.5778:                             ;   in Loop: Header=BB4_5561 Depth=3
	s_mov_b32 s16, 0
	s_and_saveexec_b32 s73, s23
	s_xor_b32 s23, exec_lo, s73
	s_cbranch_execz .LBB4_6183
; %bb.5779:                             ;   in Loop: Header=BB4_5561 Depth=3
	v_cmp_eq_u16_sdwa s74, v106, v118 src0_sel:BYTE_0 src1_sel:DWORD
	s_mov_b32 s16, -1
	s_and_saveexec_b32 s73, s74
; %bb.5780:                             ;   in Loop: Header=BB4_5561 Depth=3
	s_xor_b32 s16, exec_lo, -1
; %bb.5781:                             ;   in Loop: Header=BB4_5561 Depth=3
	s_or_b32 exec_lo, exec_lo, s73
	s_and_b32 s16, s16, exec_lo
	s_or_saveexec_b32 s23, s23
	v_mov_b32_e32 v107, 0x7f800001
	s_xor_b32 exec_lo, exec_lo, s23
	s_cbranch_execnz .LBB4_6184
.LBB4_5782:                             ;   in Loop: Header=BB4_5561 Depth=3
	s_or_b32 exec_lo, exec_lo, s23
	s_and_saveexec_b32 s23, s16
	s_cbranch_execz .LBB4_5784
.LBB4_5783:                             ;   in Loop: Header=BB4_5561 Depth=3
	v_and_b32_e32 v107, 7, v106
	v_lshrrev_b16 v109, 3, v106
	v_lshlrev_b32_e32 v111, 24, v106
	v_ffbh_u32_e32 v108, v107
	v_and_b32_e32 v109, 15, v109
	v_min_u32_e32 v108, 32, v108
	v_cmp_eq_u32_e32 vcc_lo, 0, v109
	v_subrev_nc_u32_e32 v110, 28, v108
	v_sub_nc_u32_e32 v108, 29, v108
	v_lshlrev_b32_e32 v110, v110, v106
	v_cndmask_b32_e32 v108, v109, v108, vcc_lo
	v_and_b32_e32 v109, 0x80000000, v111
	v_and_b32_e32 v110, 7, v110
	v_lshl_add_u32 v108, v108, 23, 0x3b800000
	v_cndmask_b32_e32 v107, v107, v110, vcc_lo
	v_lshlrev_b32_e32 v107, 20, v107
	v_or3_b32 v107, v109, v108, v107
.LBB4_5784:                             ;   in Loop: Header=BB4_5561 Depth=3
	s_or_b32 exec_lo, exec_lo, s23
	s_waitcnt vmcnt(9) lgkmcnt(9)
	v_cmp_gt_i16_sdwa s23, v93, v117 src0_sel:BYTE_0 src1_sel:DWORD
	s_mov_b32 s16, 0
	s_and_saveexec_b32 s73, s23
	s_xor_b32 s23, exec_lo, s73
	s_cbranch_execz .LBB4_6185
; %bb.5785:                             ;   in Loop: Header=BB4_5561 Depth=3
	v_cmp_eq_u16_sdwa s74, v93, v118 src0_sel:BYTE_0 src1_sel:DWORD
	s_mov_b32 s16, -1
	s_and_saveexec_b32 s73, s74
; %bb.5786:                             ;   in Loop: Header=BB4_5561 Depth=3
	s_xor_b32 s16, exec_lo, -1
; %bb.5787:                             ;   in Loop: Header=BB4_5561 Depth=3
	s_or_b32 exec_lo, exec_lo, s73
	s_and_b32 s16, s16, exec_lo
	s_or_saveexec_b32 s23, s23
	v_mov_b32_e32 v108, 0x7f800001
	s_xor_b32 exec_lo, exec_lo, s23
	s_cbranch_execnz .LBB4_6186
.LBB4_5788:                             ;   in Loop: Header=BB4_5561 Depth=3
	s_or_b32 exec_lo, exec_lo, s23
	s_and_saveexec_b32 s23, s16
	s_cbranch_execz .LBB4_5790
.LBB4_5789:                             ;   in Loop: Header=BB4_5561 Depth=3
	v_and_b32_e32 v108, 7, v93
	v_lshrrev_b16 v110, 3, v93
	v_lshlrev_b32_e32 v120, 24, v93
	v_ffbh_u32_e32 v109, v108
	v_and_b32_e32 v110, 15, v110
	v_min_u32_e32 v109, 32, v109
	v_cmp_eq_u32_e32 vcc_lo, 0, v110
	v_subrev_nc_u32_e32 v111, 28, v109
	v_sub_nc_u32_e32 v109, 29, v109
	v_lshlrev_b32_e32 v111, v111, v93
	v_cndmask_b32_e32 v109, v110, v109, vcc_lo
	v_and_b32_e32 v110, 0x80000000, v120
	v_and_b32_e32 v111, 7, v111
	v_lshl_add_u32 v109, v109, 23, 0x3b800000
	v_cndmask_b32_e32 v108, v108, v111, vcc_lo
	v_lshlrev_b32_e32 v108, 20, v108
	v_or3_b32 v108, v110, v109, v108
.LBB4_5790:                             ;   in Loop: Header=BB4_5561 Depth=3
	s_or_b32 exec_lo, exec_lo, s23
	v_max_f32_e32 v108, v108, v108
	v_max_f32_e32 v107, v107, v107
	s_mov_b32 s16, 0
	v_max_f32_e32 v107, v107, v108
.LBB4_5791:                             ;   in Loop: Header=BB4_5561 Depth=3
	s_and_b32 vcc_lo, exec_lo, s16
	s_cbranch_vccz .LBB4_5805
; %bb.5792:                             ;   in Loop: Header=BB4_5561 Depth=3
	v_cmp_gt_i16_sdwa s23, v106, v117 src0_sel:BYTE_0 src1_sel:DWORD
	s_mov_b32 s16, 0
	s_and_saveexec_b32 s73, s23
	s_xor_b32 s23, exec_lo, s73
	s_cbranch_execz .LBB4_6187
; %bb.5793:                             ;   in Loop: Header=BB4_5561 Depth=3
	v_cmp_eq_u16_sdwa s74, v106, v118 src0_sel:BYTE_0 src1_sel:DWORD
	s_mov_b32 s16, -1
	s_and_saveexec_b32 s73, s74
; %bb.5794:                             ;   in Loop: Header=BB4_5561 Depth=3
	s_xor_b32 s16, exec_lo, -1
; %bb.5795:                             ;   in Loop: Header=BB4_5561 Depth=3
	s_or_b32 exec_lo, exec_lo, s73
	s_and_b32 s16, s16, exec_lo
	s_or_saveexec_b32 s23, s23
	v_mov_b32_e32 v107, 0x7f800001
	s_xor_b32 exec_lo, exec_lo, s23
	s_cbranch_execnz .LBB4_6188
.LBB4_5796:                             ;   in Loop: Header=BB4_5561 Depth=3
	s_or_b32 exec_lo, exec_lo, s23
	s_and_saveexec_b32 s23, s16
	s_cbranch_execz .LBB4_5798
.LBB4_5797:                             ;   in Loop: Header=BB4_5561 Depth=3
	v_and_b32_e32 v107, 7, v106
	v_lshrrev_b16 v109, 3, v106
	v_ffbh_u32_e32 v108, v107
	v_and_b32_e32 v109, 15, v109
	v_min_u32_e32 v108, 32, v108
	v_cmp_eq_u32_e32 vcc_lo, 0, v109
	v_subrev_nc_u32_e32 v110, 28, v108
	v_sub_nc_u32_e32 v108, 29, v108
	v_lshlrev_b32_e32 v110, v110, v106
	v_lshlrev_b32_e32 v106, 24, v106
	v_cndmask_b32_e32 v108, v109, v108, vcc_lo
	v_and_b32_e32 v110, 7, v110
	v_and_b32_e32 v106, 0x80000000, v106
	v_lshl_add_u32 v108, v108, 23, 0x3b800000
	v_cndmask_b32_e32 v107, v107, v110, vcc_lo
	v_lshlrev_b32_e32 v107, 20, v107
	v_or3_b32 v107, v106, v108, v107
.LBB4_5798:                             ;   in Loop: Header=BB4_5561 Depth=3
	s_or_b32 exec_lo, exec_lo, s23
	s_waitcnt vmcnt(9) lgkmcnt(9)
	v_cmp_gt_i16_sdwa s23, v93, v117 src0_sel:BYTE_0 src1_sel:DWORD
	s_mov_b32 s16, 0
	s_and_saveexec_b32 s73, s23
	s_xor_b32 s23, exec_lo, s73
	s_cbranch_execz .LBB4_6189
; %bb.5799:                             ;   in Loop: Header=BB4_5561 Depth=3
	v_cmp_eq_u16_sdwa s74, v93, v118 src0_sel:BYTE_0 src1_sel:DWORD
	s_mov_b32 s16, -1
	s_and_saveexec_b32 s73, s74
; %bb.5800:                             ;   in Loop: Header=BB4_5561 Depth=3
	s_xor_b32 s16, exec_lo, -1
; %bb.5801:                             ;   in Loop: Header=BB4_5561 Depth=3
	s_or_b32 exec_lo, exec_lo, s73
	s_and_b32 s16, s16, exec_lo
	s_or_saveexec_b32 s23, s23
	v_mov_b32_e32 v106, 0x7f800001
	s_xor_b32 exec_lo, exec_lo, s23
	s_cbranch_execnz .LBB4_6190
.LBB4_5802:                             ;   in Loop: Header=BB4_5561 Depth=3
	s_or_b32 exec_lo, exec_lo, s23
	s_and_saveexec_b32 s23, s16
	s_cbranch_execz .LBB4_5804
.LBB4_5803:                             ;   in Loop: Header=BB4_5561 Depth=3
	v_and_b32_e32 v106, 7, v93
	v_lshrrev_b16 v109, 3, v93
	v_ffbh_u32_e32 v108, v106
	v_and_b32_e32 v109, 15, v109
	v_min_u32_e32 v108, 32, v108
	v_cmp_eq_u32_e32 vcc_lo, 0, v109
	v_subrev_nc_u32_e32 v110, 28, v108
	v_sub_nc_u32_e32 v108, 29, v108
	v_lshlrev_b32_e32 v110, v110, v93
	v_lshlrev_b32_e32 v93, 24, v93
	v_cndmask_b32_e32 v108, v109, v108, vcc_lo
	v_and_b32_e32 v110, 7, v110
	v_and_b32_e32 v93, 0x80000000, v93
	v_lshl_add_u32 v108, v108, 23, 0x3b800000
	v_cndmask_b32_e32 v106, v106, v110, vcc_lo
	v_lshlrev_b32_e32 v106, 20, v106
	v_or3_b32 v106, v93, v108, v106
.LBB4_5804:                             ;   in Loop: Header=BB4_5561 Depth=3
	s_or_b32 exec_lo, exec_lo, s23
	v_max_f32_e32 v93, v106, v106
	v_max_f32_e32 v106, v107, v107
	v_min_f32_e32 v107, v106, v93
.LBB4_5805:                             ;   in Loop: Header=BB4_5561 Depth=3
	s_waitcnt vmcnt(9) lgkmcnt(9)
	v_and_b32_e32 v93, 0x7f800000, v107
	v_cmp_ne_u32_e32 vcc_lo, 0x7f800000, v93
	v_mov_b32_e32 v93, 0x80
	s_and_saveexec_b32 s23, vcc_lo
	s_cbranch_execz .LBB4_5813
; %bb.5806:                             ;   in Loop: Header=BB4_5561 Depth=3
	v_mov_b32_e32 v93, 0
	s_mov_b32 s73, exec_lo
	v_cmpx_ne_u32_e32 0, v107
	s_cbranch_execz .LBB4_5812
; %bb.5807:                             ;   in Loop: Header=BB4_5561 Depth=3
	v_bfe_u32 v93, v107, 23, 8
	v_and_b32_e32 v106, 0x7fffff, v107
	v_sub_nc_u32_e32 v108, 0x78, v93
	v_cmp_gt_u32_e32 vcc_lo, 0x79, v93
	v_or_b32_e32 v109, 0x800000, v106
	v_cndmask_b32_e32 v108, 0, v108, vcc_lo
	v_cmp_eq_u32_e32 vcc_lo, 0, v93
	v_add_nc_u32_e32 v93, 0xffffff89, v93
	v_cndmask_b32_e64 v108, v108, 0x77, vcc_lo
	v_cndmask_b32_e32 v106, v109, v106, vcc_lo
	v_cndmask_b32_e64 v93, v93, 0xffffff8a, vcc_lo
	v_lshl_add_u32 v109, 0x100000, v108, -1
	v_lshrrev_b32_e32 v110, v108, v106
	v_lshlrev_b32_e64 v120, v108, 0x80000
	v_add_nc_u32_e32 v108, v108, v93
	v_and_b32_e32 v106, v109, v106
	v_bfe_u32 v111, v110, 20, 1
	v_cmp_eq_u32_e64 s16, v106, v120
	v_add_nc_u32_e32 v109, -1, v111
	v_cndmask_b32_e64 v106, 0, v109, s16
	v_lshrrev_b32_e32 v109, 23, v110
	s_mov_b32 s16, exec_lo
	v_add_nc_u32_e32 v106, v106, v110
	v_xor_b32_e32 v109, 1, v109
	v_and_b32_e32 v93, 0xfffff, v106
	v_add_nc_u32_e32 v106, v93, v110
                                        ; implicit-def: $vgpr93
	v_cmpx_ne_u32_e64 v108, v109
	s_xor_b32 s16, exec_lo, s16
; %bb.5808:                             ;   in Loop: Header=BB4_5561 Depth=3
	v_cmp_lt_u32_e32 vcc_lo, 0xffffff, v106
	v_sub_nc_u32_e32 v93, v108, v109
	v_cndmask_b32_e64 v108, 0, 1, vcc_lo
	v_add_co_ci_u32_e64 v93, null, 0, v93, vcc_lo
	v_lshrrev_b32_e32 v106, v108, v106
; %bb.5809:                             ;   in Loop: Header=BB4_5561 Depth=3
	s_andn2_saveexec_b32 s16, s16
; %bb.5810:                             ;   in Loop: Header=BB4_5561 Depth=3
	v_bfe_u32 v93, v106, 23, 1
; %bb.5811:                             ;   in Loop: Header=BB4_5561 Depth=3
	s_or_b32 exec_lo, exec_lo, s16
	v_lshrrev_b32_e32 v106, 20, v106
	v_cmp_gt_i32_e32 vcc_lo, 16, v93
	v_min_i32_e32 v108, 15, v93
	v_and_b32_sdwa v107, v107, v118 dst_sel:DWORD dst_unused:UNUSED_PAD src0_sel:BYTE_3 src1_sel:DWORD
	v_cndmask_b32_e32 v106, 7, v106, vcc_lo
	v_lshlrev_b32_e32 v108, 3, v108
	v_and_b32_e32 v109, 7, v106
	v_or_b32_e32 v93, v93, v106
	v_or3_b32 v106, v108, v107, v109
	v_cmp_ne_u32_e32 vcc_lo, 0, v93
	v_cndmask_b32_e32 v93, 0, v106, vcc_lo
.LBB4_5812:                             ;   in Loop: Header=BB4_5561 Depth=3
	s_or_b32 exec_lo, exec_lo, s73
.LBB4_5813:                             ;   in Loop: Header=BB4_5561 Depth=3
	s_or_b32 exec_lo, exec_lo, s23
	v_cmp_gt_i16_sdwa s23, v105, v117 src0_sel:BYTE_0 src1_sel:DWORD
	s_andn2_b32 vcc_lo, exec_lo, s19
	s_mov_b32 s16, -1
                                        ; implicit-def: $vgpr106
	s_cbranch_vccnz .LBB4_5827
; %bb.5814:                             ;   in Loop: Header=BB4_5561 Depth=3
	s_mov_b32 s16, 0
	s_and_saveexec_b32 s73, s23
	s_xor_b32 s23, exec_lo, s73
	s_cbranch_execz .LBB4_6191
; %bb.5815:                             ;   in Loop: Header=BB4_5561 Depth=3
	v_cmp_eq_u16_sdwa s74, v105, v118 src0_sel:BYTE_0 src1_sel:DWORD
	s_mov_b32 s16, -1
	s_and_saveexec_b32 s73, s74
; %bb.5816:                             ;   in Loop: Header=BB4_5561 Depth=3
	s_xor_b32 s16, exec_lo, -1
; %bb.5817:                             ;   in Loop: Header=BB4_5561 Depth=3
	s_or_b32 exec_lo, exec_lo, s73
	s_and_b32 s16, s16, exec_lo
	s_or_saveexec_b32 s23, s23
	v_mov_b32_e32 v106, 0x7f800001
	s_xor_b32 exec_lo, exec_lo, s23
	s_cbranch_execnz .LBB4_6192
.LBB4_5818:                             ;   in Loop: Header=BB4_5561 Depth=3
	s_or_b32 exec_lo, exec_lo, s23
	s_and_saveexec_b32 s23, s16
	s_cbranch_execz .LBB4_5820
.LBB4_5819:                             ;   in Loop: Header=BB4_5561 Depth=3
	v_and_b32_e32 v106, 7, v105
	v_lshrrev_b16 v108, 3, v105
	v_lshlrev_b32_e32 v110, 24, v105
	v_ffbh_u32_e32 v107, v106
	v_and_b32_e32 v108, 15, v108
	v_min_u32_e32 v107, 32, v107
	v_cmp_eq_u32_e32 vcc_lo, 0, v108
	v_subrev_nc_u32_e32 v109, 28, v107
	v_sub_nc_u32_e32 v107, 29, v107
	v_lshlrev_b32_e32 v109, v109, v105
	v_cndmask_b32_e32 v107, v108, v107, vcc_lo
	v_and_b32_e32 v108, 0x80000000, v110
	v_and_b32_e32 v109, 7, v109
	v_lshl_add_u32 v107, v107, 23, 0x3b800000
	v_cndmask_b32_e32 v106, v106, v109, vcc_lo
	v_lshlrev_b32_e32 v106, 20, v106
	v_or3_b32 v106, v108, v107, v106
.LBB4_5820:                             ;   in Loop: Header=BB4_5561 Depth=3
	s_or_b32 exec_lo, exec_lo, s23
	s_waitcnt vmcnt(8) lgkmcnt(8)
	v_cmp_gt_i16_sdwa s23, v104, v117 src0_sel:BYTE_0 src1_sel:DWORD
	s_mov_b32 s16, 0
	s_and_saveexec_b32 s73, s23
	s_xor_b32 s23, exec_lo, s73
	s_cbranch_execz .LBB4_6193
; %bb.5821:                             ;   in Loop: Header=BB4_5561 Depth=3
	v_cmp_eq_u16_sdwa s74, v104, v118 src0_sel:BYTE_0 src1_sel:DWORD
	s_mov_b32 s16, -1
	s_and_saveexec_b32 s73, s74
; %bb.5822:                             ;   in Loop: Header=BB4_5561 Depth=3
	s_xor_b32 s16, exec_lo, -1
; %bb.5823:                             ;   in Loop: Header=BB4_5561 Depth=3
	s_or_b32 exec_lo, exec_lo, s73
	s_and_b32 s16, s16, exec_lo
	s_or_saveexec_b32 s23, s23
	v_mov_b32_e32 v107, 0x7f800001
	s_xor_b32 exec_lo, exec_lo, s23
	s_cbranch_execnz .LBB4_6194
.LBB4_5824:                             ;   in Loop: Header=BB4_5561 Depth=3
	s_or_b32 exec_lo, exec_lo, s23
	s_and_saveexec_b32 s23, s16
	s_cbranch_execz .LBB4_5826
.LBB4_5825:                             ;   in Loop: Header=BB4_5561 Depth=3
	v_and_b32_e32 v107, 7, v104
	v_lshrrev_b16 v109, 3, v104
	v_lshlrev_b32_e32 v111, 24, v104
	v_ffbh_u32_e32 v108, v107
	v_and_b32_e32 v109, 15, v109
	v_min_u32_e32 v108, 32, v108
	v_cmp_eq_u32_e32 vcc_lo, 0, v109
	v_subrev_nc_u32_e32 v110, 28, v108
	v_sub_nc_u32_e32 v108, 29, v108
	v_lshlrev_b32_e32 v110, v110, v104
	v_cndmask_b32_e32 v108, v109, v108, vcc_lo
	v_and_b32_e32 v109, 0x80000000, v111
	v_and_b32_e32 v110, 7, v110
	v_lshl_add_u32 v108, v108, 23, 0x3b800000
	v_cndmask_b32_e32 v107, v107, v110, vcc_lo
	v_lshlrev_b32_e32 v107, 20, v107
	v_or3_b32 v107, v109, v108, v107
.LBB4_5826:                             ;   in Loop: Header=BB4_5561 Depth=3
	s_or_b32 exec_lo, exec_lo, s23
	v_max_f32_e32 v107, v107, v107
	v_max_f32_e32 v106, v106, v106
	s_mov_b32 s16, 0
	v_max_f32_e32 v106, v106, v107
.LBB4_5827:                             ;   in Loop: Header=BB4_5561 Depth=3
	s_and_b32 vcc_lo, exec_lo, s16
	s_cbranch_vccz .LBB4_5841
; %bb.5828:                             ;   in Loop: Header=BB4_5561 Depth=3
	v_cmp_gt_i16_sdwa s23, v105, v117 src0_sel:BYTE_0 src1_sel:DWORD
	s_mov_b32 s16, 0
	s_and_saveexec_b32 s73, s23
	s_xor_b32 s23, exec_lo, s73
	s_cbranch_execz .LBB4_6195
; %bb.5829:                             ;   in Loop: Header=BB4_5561 Depth=3
	v_cmp_eq_u16_sdwa s74, v105, v118 src0_sel:BYTE_0 src1_sel:DWORD
	s_mov_b32 s16, -1
	s_and_saveexec_b32 s73, s74
; %bb.5830:                             ;   in Loop: Header=BB4_5561 Depth=3
	s_xor_b32 s16, exec_lo, -1
; %bb.5831:                             ;   in Loop: Header=BB4_5561 Depth=3
	s_or_b32 exec_lo, exec_lo, s73
	s_and_b32 s16, s16, exec_lo
	s_or_saveexec_b32 s23, s23
	v_mov_b32_e32 v106, 0x7f800001
	s_xor_b32 exec_lo, exec_lo, s23
	s_cbranch_execnz .LBB4_6196
.LBB4_5832:                             ;   in Loop: Header=BB4_5561 Depth=3
	s_or_b32 exec_lo, exec_lo, s23
	s_and_saveexec_b32 s23, s16
	s_cbranch_execz .LBB4_5834
.LBB4_5833:                             ;   in Loop: Header=BB4_5561 Depth=3
	v_and_b32_e32 v106, 7, v105
	v_lshrrev_b16 v108, 3, v105
	v_ffbh_u32_e32 v107, v106
	v_and_b32_e32 v108, 15, v108
	v_min_u32_e32 v107, 32, v107
	v_cmp_eq_u32_e32 vcc_lo, 0, v108
	v_subrev_nc_u32_e32 v109, 28, v107
	v_sub_nc_u32_e32 v107, 29, v107
	v_lshlrev_b32_e32 v109, v109, v105
	v_lshlrev_b32_e32 v105, 24, v105
	v_cndmask_b32_e32 v107, v108, v107, vcc_lo
	v_and_b32_e32 v109, 7, v109
	v_and_b32_e32 v105, 0x80000000, v105
	v_lshl_add_u32 v107, v107, 23, 0x3b800000
	v_cndmask_b32_e32 v106, v106, v109, vcc_lo
	v_lshlrev_b32_e32 v106, 20, v106
	v_or3_b32 v106, v105, v107, v106
.LBB4_5834:                             ;   in Loop: Header=BB4_5561 Depth=3
	s_or_b32 exec_lo, exec_lo, s23
	s_waitcnt vmcnt(8) lgkmcnt(8)
	v_cmp_gt_i16_sdwa s23, v104, v117 src0_sel:BYTE_0 src1_sel:DWORD
	s_mov_b32 s16, 0
	s_and_saveexec_b32 s73, s23
	s_xor_b32 s23, exec_lo, s73
	s_cbranch_execz .LBB4_6197
; %bb.5835:                             ;   in Loop: Header=BB4_5561 Depth=3
	v_cmp_eq_u16_sdwa s74, v104, v118 src0_sel:BYTE_0 src1_sel:DWORD
	s_mov_b32 s16, -1
	s_and_saveexec_b32 s73, s74
; %bb.5836:                             ;   in Loop: Header=BB4_5561 Depth=3
	s_xor_b32 s16, exec_lo, -1
; %bb.5837:                             ;   in Loop: Header=BB4_5561 Depth=3
	s_or_b32 exec_lo, exec_lo, s73
	s_and_b32 s16, s16, exec_lo
	s_or_saveexec_b32 s23, s23
	v_mov_b32_e32 v105, 0x7f800001
	s_xor_b32 exec_lo, exec_lo, s23
	s_cbranch_execnz .LBB4_6198
.LBB4_5838:                             ;   in Loop: Header=BB4_5561 Depth=3
	s_or_b32 exec_lo, exec_lo, s23
	s_and_saveexec_b32 s23, s16
	s_cbranch_execz .LBB4_5840
.LBB4_5839:                             ;   in Loop: Header=BB4_5561 Depth=3
	v_and_b32_e32 v105, 7, v104
	v_lshrrev_b16 v108, 3, v104
	v_ffbh_u32_e32 v107, v105
	v_and_b32_e32 v108, 15, v108
	v_min_u32_e32 v107, 32, v107
	v_cmp_eq_u32_e32 vcc_lo, 0, v108
	v_subrev_nc_u32_e32 v109, 28, v107
	v_sub_nc_u32_e32 v107, 29, v107
	v_lshlrev_b32_e32 v109, v109, v104
	v_lshlrev_b32_e32 v104, 24, v104
	v_cndmask_b32_e32 v107, v108, v107, vcc_lo
	v_and_b32_e32 v109, 7, v109
	v_and_b32_e32 v104, 0x80000000, v104
	v_lshl_add_u32 v107, v107, 23, 0x3b800000
	v_cndmask_b32_e32 v105, v105, v109, vcc_lo
	v_lshlrev_b32_e32 v105, 20, v105
	v_or3_b32 v105, v104, v107, v105
.LBB4_5840:                             ;   in Loop: Header=BB4_5561 Depth=3
	s_or_b32 exec_lo, exec_lo, s23
	v_max_f32_e32 v104, v105, v105
	v_max_f32_e32 v105, v106, v106
	v_min_f32_e32 v106, v105, v104
.LBB4_5841:                             ;   in Loop: Header=BB4_5561 Depth=3
	s_waitcnt vmcnt(8) lgkmcnt(8)
	v_and_b32_e32 v104, 0x7f800000, v106
	v_cmp_ne_u32_e32 vcc_lo, 0x7f800000, v104
	v_mov_b32_e32 v104, 0x80
	s_and_saveexec_b32 s23, vcc_lo
	s_cbranch_execz .LBB4_5849
; %bb.5842:                             ;   in Loop: Header=BB4_5561 Depth=3
	v_mov_b32_e32 v104, 0
	s_mov_b32 s73, exec_lo
	v_cmpx_ne_u32_e32 0, v106
	s_cbranch_execz .LBB4_5848
; %bb.5843:                             ;   in Loop: Header=BB4_5561 Depth=3
	v_bfe_u32 v104, v106, 23, 8
	v_and_b32_e32 v105, 0x7fffff, v106
	v_sub_nc_u32_e32 v107, 0x78, v104
	v_cmp_gt_u32_e32 vcc_lo, 0x79, v104
	v_or_b32_e32 v108, 0x800000, v105
	v_cndmask_b32_e32 v107, 0, v107, vcc_lo
	v_cmp_eq_u32_e32 vcc_lo, 0, v104
	v_add_nc_u32_e32 v104, 0xffffff89, v104
	v_cndmask_b32_e64 v107, v107, 0x77, vcc_lo
	v_cndmask_b32_e32 v105, v108, v105, vcc_lo
	v_cndmask_b32_e64 v104, v104, 0xffffff8a, vcc_lo
	v_lshl_add_u32 v108, 0x100000, v107, -1
	v_lshrrev_b32_e32 v109, v107, v105
	v_lshlrev_b32_e64 v111, v107, 0x80000
	v_add_nc_u32_e32 v107, v107, v104
	v_and_b32_e32 v105, v108, v105
	v_bfe_u32 v110, v109, 20, 1
	v_cmp_eq_u32_e64 s16, v105, v111
	v_add_nc_u32_e32 v108, -1, v110
	v_cndmask_b32_e64 v105, 0, v108, s16
	v_lshrrev_b32_e32 v108, 23, v109
	s_mov_b32 s16, exec_lo
	v_add_nc_u32_e32 v105, v105, v109
	v_xor_b32_e32 v108, 1, v108
	v_and_b32_e32 v104, 0xfffff, v105
	v_add_nc_u32_e32 v105, v104, v109
                                        ; implicit-def: $vgpr104
	v_cmpx_ne_u32_e64 v107, v108
	s_xor_b32 s16, exec_lo, s16
; %bb.5844:                             ;   in Loop: Header=BB4_5561 Depth=3
	v_cmp_lt_u32_e32 vcc_lo, 0xffffff, v105
	v_sub_nc_u32_e32 v104, v107, v108
	v_cndmask_b32_e64 v107, 0, 1, vcc_lo
	v_add_co_ci_u32_e64 v104, null, 0, v104, vcc_lo
	v_lshrrev_b32_e32 v105, v107, v105
; %bb.5845:                             ;   in Loop: Header=BB4_5561 Depth=3
	s_andn2_saveexec_b32 s16, s16
; %bb.5846:                             ;   in Loop: Header=BB4_5561 Depth=3
	v_bfe_u32 v104, v105, 23, 1
; %bb.5847:                             ;   in Loop: Header=BB4_5561 Depth=3
	s_or_b32 exec_lo, exec_lo, s16
	v_lshrrev_b32_e32 v105, 20, v105
	v_cmp_gt_i32_e32 vcc_lo, 16, v104
	v_min_i32_e32 v107, 15, v104
	v_and_b32_sdwa v106, v106, v118 dst_sel:DWORD dst_unused:UNUSED_PAD src0_sel:BYTE_3 src1_sel:DWORD
	v_cndmask_b32_e32 v105, 7, v105, vcc_lo
	v_lshlrev_b32_e32 v107, 3, v107
	v_and_b32_e32 v108, 7, v105
	v_or_b32_e32 v104, v104, v105
	v_or3_b32 v105, v107, v106, v108
	v_cmp_ne_u32_e32 vcc_lo, 0, v104
	v_cndmask_b32_e32 v104, 0, v105, vcc_lo
.LBB4_5848:                             ;   in Loop: Header=BB4_5561 Depth=3
	s_or_b32 exec_lo, exec_lo, s73
.LBB4_5849:                             ;   in Loop: Header=BB4_5561 Depth=3
	s_or_b32 exec_lo, exec_lo, s23
	v_cmp_gt_i16_sdwa s23, v95, v117 src0_sel:BYTE_0 src1_sel:DWORD
	s_andn2_b32 vcc_lo, exec_lo, s19
	s_mov_b32 s16, -1
                                        ; implicit-def: $vgpr105
	s_cbranch_vccnz .LBB4_5863
; %bb.5850:                             ;   in Loop: Header=BB4_5561 Depth=3
	s_mov_b32 s16, 0
	s_and_saveexec_b32 s73, s23
	s_xor_b32 s23, exec_lo, s73
	s_cbranch_execz .LBB4_6199
; %bb.5851:                             ;   in Loop: Header=BB4_5561 Depth=3
	v_cmp_eq_u16_sdwa s74, v95, v118 src0_sel:BYTE_0 src1_sel:DWORD
	s_mov_b32 s16, -1
	s_and_saveexec_b32 s73, s74
; %bb.5852:                             ;   in Loop: Header=BB4_5561 Depth=3
	s_xor_b32 s16, exec_lo, -1
; %bb.5853:                             ;   in Loop: Header=BB4_5561 Depth=3
	s_or_b32 exec_lo, exec_lo, s73
	s_and_b32 s16, s16, exec_lo
	s_or_saveexec_b32 s23, s23
	v_mov_b32_e32 v105, 0x7f800001
	s_xor_b32 exec_lo, exec_lo, s23
	s_cbranch_execnz .LBB4_6200
.LBB4_5854:                             ;   in Loop: Header=BB4_5561 Depth=3
	s_or_b32 exec_lo, exec_lo, s23
	s_and_saveexec_b32 s23, s16
	s_cbranch_execz .LBB4_5856
.LBB4_5855:                             ;   in Loop: Header=BB4_5561 Depth=3
	v_and_b32_e32 v105, 7, v95
	v_lshrrev_b16 v107, 3, v95
	v_lshlrev_b32_e32 v109, 24, v95
	v_ffbh_u32_e32 v106, v105
	v_and_b32_e32 v107, 15, v107
	v_min_u32_e32 v106, 32, v106
	v_cmp_eq_u32_e32 vcc_lo, 0, v107
	v_subrev_nc_u32_e32 v108, 28, v106
	v_sub_nc_u32_e32 v106, 29, v106
	v_lshlrev_b32_e32 v108, v108, v95
	v_cndmask_b32_e32 v106, v107, v106, vcc_lo
	v_and_b32_e32 v107, 0x80000000, v109
	v_and_b32_e32 v108, 7, v108
	v_lshl_add_u32 v106, v106, 23, 0x3b800000
	v_cndmask_b32_e32 v105, v105, v108, vcc_lo
	v_lshlrev_b32_e32 v105, 20, v105
	v_or3_b32 v105, v107, v106, v105
.LBB4_5856:                             ;   in Loop: Header=BB4_5561 Depth=3
	s_or_b32 exec_lo, exec_lo, s23
	s_waitcnt vmcnt(7) lgkmcnt(7)
	v_cmp_gt_i16_sdwa s23, v94, v117 src0_sel:BYTE_0 src1_sel:DWORD
	s_mov_b32 s16, 0
	s_and_saveexec_b32 s73, s23
	s_xor_b32 s23, exec_lo, s73
	s_cbranch_execz .LBB4_6201
; %bb.5857:                             ;   in Loop: Header=BB4_5561 Depth=3
	v_cmp_eq_u16_sdwa s74, v94, v118 src0_sel:BYTE_0 src1_sel:DWORD
	s_mov_b32 s16, -1
	s_and_saveexec_b32 s73, s74
; %bb.5858:                             ;   in Loop: Header=BB4_5561 Depth=3
	s_xor_b32 s16, exec_lo, -1
; %bb.5859:                             ;   in Loop: Header=BB4_5561 Depth=3
	s_or_b32 exec_lo, exec_lo, s73
	s_and_b32 s16, s16, exec_lo
	s_or_saveexec_b32 s23, s23
	v_mov_b32_e32 v106, 0x7f800001
	s_xor_b32 exec_lo, exec_lo, s23
	s_cbranch_execnz .LBB4_6202
.LBB4_5860:                             ;   in Loop: Header=BB4_5561 Depth=3
	s_or_b32 exec_lo, exec_lo, s23
	s_and_saveexec_b32 s23, s16
	s_cbranch_execz .LBB4_5862
.LBB4_5861:                             ;   in Loop: Header=BB4_5561 Depth=3
	v_and_b32_e32 v106, 7, v94
	v_lshrrev_b16 v108, 3, v94
	v_lshlrev_b32_e32 v110, 24, v94
	v_ffbh_u32_e32 v107, v106
	v_and_b32_e32 v108, 15, v108
	v_min_u32_e32 v107, 32, v107
	v_cmp_eq_u32_e32 vcc_lo, 0, v108
	v_subrev_nc_u32_e32 v109, 28, v107
	v_sub_nc_u32_e32 v107, 29, v107
	v_lshlrev_b32_e32 v109, v109, v94
	v_cndmask_b32_e32 v107, v108, v107, vcc_lo
	v_and_b32_e32 v108, 0x80000000, v110
	v_and_b32_e32 v109, 7, v109
	v_lshl_add_u32 v107, v107, 23, 0x3b800000
	v_cndmask_b32_e32 v106, v106, v109, vcc_lo
	v_lshlrev_b32_e32 v106, 20, v106
	v_or3_b32 v106, v108, v107, v106
.LBB4_5862:                             ;   in Loop: Header=BB4_5561 Depth=3
	s_or_b32 exec_lo, exec_lo, s23
	v_max_f32_e32 v106, v106, v106
	v_max_f32_e32 v105, v105, v105
	s_mov_b32 s16, 0
	v_max_f32_e32 v105, v105, v106
.LBB4_5863:                             ;   in Loop: Header=BB4_5561 Depth=3
	s_and_b32 vcc_lo, exec_lo, s16
	s_cbranch_vccz .LBB4_5877
; %bb.5864:                             ;   in Loop: Header=BB4_5561 Depth=3
	v_cmp_gt_i16_sdwa s23, v95, v117 src0_sel:BYTE_0 src1_sel:DWORD
	s_mov_b32 s16, 0
	s_and_saveexec_b32 s73, s23
	s_xor_b32 s23, exec_lo, s73
	s_cbranch_execz .LBB4_6203
; %bb.5865:                             ;   in Loop: Header=BB4_5561 Depth=3
	v_cmp_eq_u16_sdwa s74, v95, v118 src0_sel:BYTE_0 src1_sel:DWORD
	s_mov_b32 s16, -1
	s_and_saveexec_b32 s73, s74
; %bb.5866:                             ;   in Loop: Header=BB4_5561 Depth=3
	s_xor_b32 s16, exec_lo, -1
; %bb.5867:                             ;   in Loop: Header=BB4_5561 Depth=3
	s_or_b32 exec_lo, exec_lo, s73
	s_and_b32 s16, s16, exec_lo
	s_or_saveexec_b32 s23, s23
	v_mov_b32_e32 v105, 0x7f800001
	s_xor_b32 exec_lo, exec_lo, s23
	s_cbranch_execnz .LBB4_6204
.LBB4_5868:                             ;   in Loop: Header=BB4_5561 Depth=3
	s_or_b32 exec_lo, exec_lo, s23
	s_and_saveexec_b32 s23, s16
	s_cbranch_execz .LBB4_5870
.LBB4_5869:                             ;   in Loop: Header=BB4_5561 Depth=3
	v_and_b32_e32 v105, 7, v95
	v_lshrrev_b16 v107, 3, v95
	v_ffbh_u32_e32 v106, v105
	v_and_b32_e32 v107, 15, v107
	v_min_u32_e32 v106, 32, v106
	v_cmp_eq_u32_e32 vcc_lo, 0, v107
	v_subrev_nc_u32_e32 v108, 28, v106
	v_sub_nc_u32_e32 v106, 29, v106
	v_lshlrev_b32_e32 v108, v108, v95
	v_lshlrev_b32_e32 v95, 24, v95
	v_cndmask_b32_e32 v106, v107, v106, vcc_lo
	v_and_b32_e32 v108, 7, v108
	v_and_b32_e32 v95, 0x80000000, v95
	v_lshl_add_u32 v106, v106, 23, 0x3b800000
	v_cndmask_b32_e32 v105, v105, v108, vcc_lo
	v_lshlrev_b32_e32 v105, 20, v105
	v_or3_b32 v105, v95, v106, v105
.LBB4_5870:                             ;   in Loop: Header=BB4_5561 Depth=3
	s_or_b32 exec_lo, exec_lo, s23
	s_waitcnt vmcnt(7) lgkmcnt(7)
	v_cmp_gt_i16_sdwa s23, v94, v117 src0_sel:BYTE_0 src1_sel:DWORD
	s_mov_b32 s16, 0
	s_and_saveexec_b32 s73, s23
	s_xor_b32 s23, exec_lo, s73
	s_cbranch_execz .LBB4_6205
; %bb.5871:                             ;   in Loop: Header=BB4_5561 Depth=3
	v_cmp_eq_u16_sdwa s74, v94, v118 src0_sel:BYTE_0 src1_sel:DWORD
	s_mov_b32 s16, -1
	s_and_saveexec_b32 s73, s74
; %bb.5872:                             ;   in Loop: Header=BB4_5561 Depth=3
	s_xor_b32 s16, exec_lo, -1
; %bb.5873:                             ;   in Loop: Header=BB4_5561 Depth=3
	s_or_b32 exec_lo, exec_lo, s73
	s_and_b32 s16, s16, exec_lo
	s_or_saveexec_b32 s23, s23
	v_mov_b32_e32 v95, 0x7f800001
	s_xor_b32 exec_lo, exec_lo, s23
	s_cbranch_execnz .LBB4_6206
.LBB4_5874:                             ;   in Loop: Header=BB4_5561 Depth=3
	s_or_b32 exec_lo, exec_lo, s23
	s_and_saveexec_b32 s23, s16
	s_cbranch_execz .LBB4_5876
.LBB4_5875:                             ;   in Loop: Header=BB4_5561 Depth=3
	v_and_b32_e32 v95, 7, v94
	v_lshrrev_b16 v107, 3, v94
	v_ffbh_u32_e32 v106, v95
	v_and_b32_e32 v107, 15, v107
	v_min_u32_e32 v106, 32, v106
	v_cmp_eq_u32_e32 vcc_lo, 0, v107
	v_subrev_nc_u32_e32 v108, 28, v106
	v_sub_nc_u32_e32 v106, 29, v106
	v_lshlrev_b32_e32 v108, v108, v94
	v_lshlrev_b32_e32 v94, 24, v94
	v_cndmask_b32_e32 v106, v107, v106, vcc_lo
	v_and_b32_e32 v108, 7, v108
	v_and_b32_e32 v94, 0x80000000, v94
	v_lshl_add_u32 v106, v106, 23, 0x3b800000
	v_cndmask_b32_e32 v95, v95, v108, vcc_lo
	v_lshlrev_b32_e32 v95, 20, v95
	v_or3_b32 v95, v94, v106, v95
.LBB4_5876:                             ;   in Loop: Header=BB4_5561 Depth=3
	s_or_b32 exec_lo, exec_lo, s23
	v_max_f32_e32 v94, v95, v95
	v_max_f32_e32 v95, v105, v105
	v_min_f32_e32 v105, v95, v94
.LBB4_5877:                             ;   in Loop: Header=BB4_5561 Depth=3
	s_waitcnt vmcnt(7) lgkmcnt(7)
	v_and_b32_e32 v94, 0x7f800000, v105
	v_cmp_ne_u32_e32 vcc_lo, 0x7f800000, v94
	v_mov_b32_e32 v94, 0x80
	s_and_saveexec_b32 s23, vcc_lo
	s_cbranch_execz .LBB4_5885
; %bb.5878:                             ;   in Loop: Header=BB4_5561 Depth=3
	v_mov_b32_e32 v94, 0
	s_mov_b32 s73, exec_lo
	v_cmpx_ne_u32_e32 0, v105
	s_cbranch_execz .LBB4_5884
; %bb.5879:                             ;   in Loop: Header=BB4_5561 Depth=3
	v_bfe_u32 v94, v105, 23, 8
	v_and_b32_e32 v95, 0x7fffff, v105
	v_sub_nc_u32_e32 v106, 0x78, v94
	v_cmp_gt_u32_e32 vcc_lo, 0x79, v94
	v_or_b32_e32 v107, 0x800000, v95
	v_cndmask_b32_e32 v106, 0, v106, vcc_lo
	v_cmp_eq_u32_e32 vcc_lo, 0, v94
	v_add_nc_u32_e32 v94, 0xffffff89, v94
	v_cndmask_b32_e64 v106, v106, 0x77, vcc_lo
	v_cndmask_b32_e32 v95, v107, v95, vcc_lo
	v_cndmask_b32_e64 v94, v94, 0xffffff8a, vcc_lo
	v_lshl_add_u32 v107, 0x100000, v106, -1
	v_lshrrev_b32_e32 v108, v106, v95
	v_lshlrev_b32_e64 v110, v106, 0x80000
	v_add_nc_u32_e32 v106, v106, v94
	v_and_b32_e32 v95, v107, v95
	v_bfe_u32 v109, v108, 20, 1
	v_cmp_eq_u32_e64 s16, v95, v110
	v_add_nc_u32_e32 v107, -1, v109
	v_cndmask_b32_e64 v95, 0, v107, s16
	v_lshrrev_b32_e32 v107, 23, v108
	s_mov_b32 s16, exec_lo
	v_add_nc_u32_e32 v95, v95, v108
	v_xor_b32_e32 v107, 1, v107
	v_and_b32_e32 v94, 0xfffff, v95
	v_add_nc_u32_e32 v95, v94, v108
                                        ; implicit-def: $vgpr94
	v_cmpx_ne_u32_e64 v106, v107
	s_xor_b32 s16, exec_lo, s16
; %bb.5880:                             ;   in Loop: Header=BB4_5561 Depth=3
	v_cmp_lt_u32_e32 vcc_lo, 0xffffff, v95
	v_sub_nc_u32_e32 v94, v106, v107
	v_cndmask_b32_e64 v106, 0, 1, vcc_lo
	v_add_co_ci_u32_e64 v94, null, 0, v94, vcc_lo
	v_lshrrev_b32_e32 v95, v106, v95
; %bb.5881:                             ;   in Loop: Header=BB4_5561 Depth=3
	s_andn2_saveexec_b32 s16, s16
; %bb.5882:                             ;   in Loop: Header=BB4_5561 Depth=3
	v_bfe_u32 v94, v95, 23, 1
; %bb.5883:                             ;   in Loop: Header=BB4_5561 Depth=3
	s_or_b32 exec_lo, exec_lo, s16
	v_lshrrev_b32_e32 v95, 20, v95
	v_cmp_gt_i32_e32 vcc_lo, 16, v94
	v_min_i32_e32 v106, 15, v94
	v_and_b32_sdwa v105, v105, v118 dst_sel:DWORD dst_unused:UNUSED_PAD src0_sel:BYTE_3 src1_sel:DWORD
	v_cndmask_b32_e32 v95, 7, v95, vcc_lo
	v_lshlrev_b32_e32 v106, 3, v106
	v_and_b32_e32 v107, 7, v95
	v_or_b32_e32 v94, v94, v95
	v_or3_b32 v95, v106, v105, v107
	v_cmp_ne_u32_e32 vcc_lo, 0, v94
	v_cndmask_b32_e32 v94, 0, v95, vcc_lo
.LBB4_5884:                             ;   in Loop: Header=BB4_5561 Depth=3
	s_or_b32 exec_lo, exec_lo, s73
.LBB4_5885:                             ;   in Loop: Header=BB4_5561 Depth=3
	s_or_b32 exec_lo, exec_lo, s23
	v_cmp_gt_i16_sdwa s23, v92, v117 src0_sel:BYTE_0 src1_sel:DWORD
	s_andn2_b32 vcc_lo, exec_lo, s19
	s_mov_b32 s16, -1
                                        ; implicit-def: $vgpr95
	s_cbranch_vccnz .LBB4_5899
; %bb.5886:                             ;   in Loop: Header=BB4_5561 Depth=3
	s_mov_b32 s16, 0
	s_and_saveexec_b32 s73, s23
	s_xor_b32 s23, exec_lo, s73
	s_cbranch_execz .LBB4_6207
; %bb.5887:                             ;   in Loop: Header=BB4_5561 Depth=3
	v_cmp_eq_u16_sdwa s74, v92, v118 src0_sel:BYTE_0 src1_sel:DWORD
	s_mov_b32 s16, -1
	s_and_saveexec_b32 s73, s74
; %bb.5888:                             ;   in Loop: Header=BB4_5561 Depth=3
	s_xor_b32 s16, exec_lo, -1
; %bb.5889:                             ;   in Loop: Header=BB4_5561 Depth=3
	s_or_b32 exec_lo, exec_lo, s73
	s_and_b32 s16, s16, exec_lo
	s_or_saveexec_b32 s23, s23
	v_mov_b32_e32 v95, 0x7f800001
	s_xor_b32 exec_lo, exec_lo, s23
	s_cbranch_execnz .LBB4_6208
.LBB4_5890:                             ;   in Loop: Header=BB4_5561 Depth=3
	s_or_b32 exec_lo, exec_lo, s23
	s_and_saveexec_b32 s23, s16
	s_cbranch_execz .LBB4_5892
.LBB4_5891:                             ;   in Loop: Header=BB4_5561 Depth=3
	v_and_b32_e32 v95, 7, v92
	v_lshrrev_b16 v106, 3, v92
	v_lshlrev_b32_e32 v108, 24, v92
	v_ffbh_u32_e32 v105, v95
	v_and_b32_e32 v106, 15, v106
	v_min_u32_e32 v105, 32, v105
	v_cmp_eq_u32_e32 vcc_lo, 0, v106
	v_subrev_nc_u32_e32 v107, 28, v105
	v_sub_nc_u32_e32 v105, 29, v105
	v_lshlrev_b32_e32 v107, v107, v92
	v_cndmask_b32_e32 v105, v106, v105, vcc_lo
	v_and_b32_e32 v106, 0x80000000, v108
	v_and_b32_e32 v107, 7, v107
	v_lshl_add_u32 v105, v105, 23, 0x3b800000
	v_cndmask_b32_e32 v95, v95, v107, vcc_lo
	v_lshlrev_b32_e32 v95, 20, v95
	v_or3_b32 v95, v106, v105, v95
.LBB4_5892:                             ;   in Loop: Header=BB4_5561 Depth=3
	s_or_b32 exec_lo, exec_lo, s23
	s_waitcnt vmcnt(6) lgkmcnt(6)
	v_cmp_gt_i16_sdwa s23, v91, v117 src0_sel:BYTE_0 src1_sel:DWORD
	s_mov_b32 s16, 0
	s_and_saveexec_b32 s73, s23
	s_xor_b32 s23, exec_lo, s73
	s_cbranch_execz .LBB4_6209
; %bb.5893:                             ;   in Loop: Header=BB4_5561 Depth=3
	v_cmp_eq_u16_sdwa s74, v91, v118 src0_sel:BYTE_0 src1_sel:DWORD
	s_mov_b32 s16, -1
	s_and_saveexec_b32 s73, s74
; %bb.5894:                             ;   in Loop: Header=BB4_5561 Depth=3
	s_xor_b32 s16, exec_lo, -1
; %bb.5895:                             ;   in Loop: Header=BB4_5561 Depth=3
	s_or_b32 exec_lo, exec_lo, s73
	s_and_b32 s16, s16, exec_lo
	s_or_saveexec_b32 s23, s23
	v_mov_b32_e32 v105, 0x7f800001
	s_xor_b32 exec_lo, exec_lo, s23
	s_cbranch_execnz .LBB4_6210
.LBB4_5896:                             ;   in Loop: Header=BB4_5561 Depth=3
	s_or_b32 exec_lo, exec_lo, s23
	s_and_saveexec_b32 s23, s16
	s_cbranch_execz .LBB4_5898
.LBB4_5897:                             ;   in Loop: Header=BB4_5561 Depth=3
	v_and_b32_e32 v105, 7, v91
	v_lshrrev_b16 v107, 3, v91
	v_lshlrev_b32_e32 v109, 24, v91
	v_ffbh_u32_e32 v106, v105
	v_and_b32_e32 v107, 15, v107
	v_min_u32_e32 v106, 32, v106
	v_cmp_eq_u32_e32 vcc_lo, 0, v107
	v_subrev_nc_u32_e32 v108, 28, v106
	v_sub_nc_u32_e32 v106, 29, v106
	v_lshlrev_b32_e32 v108, v108, v91
	v_cndmask_b32_e32 v106, v107, v106, vcc_lo
	v_and_b32_e32 v107, 0x80000000, v109
	v_and_b32_e32 v108, 7, v108
	v_lshl_add_u32 v106, v106, 23, 0x3b800000
	v_cndmask_b32_e32 v105, v105, v108, vcc_lo
	v_lshlrev_b32_e32 v105, 20, v105
	v_or3_b32 v105, v107, v106, v105
.LBB4_5898:                             ;   in Loop: Header=BB4_5561 Depth=3
	s_or_b32 exec_lo, exec_lo, s23
	v_max_f32_e32 v105, v105, v105
	v_max_f32_e32 v95, v95, v95
	s_mov_b32 s16, 0
	v_max_f32_e32 v95, v95, v105
.LBB4_5899:                             ;   in Loop: Header=BB4_5561 Depth=3
	s_and_b32 vcc_lo, exec_lo, s16
	s_cbranch_vccz .LBB4_5913
; %bb.5900:                             ;   in Loop: Header=BB4_5561 Depth=3
	v_cmp_gt_i16_sdwa s23, v92, v117 src0_sel:BYTE_0 src1_sel:DWORD
	s_mov_b32 s16, 0
	s_and_saveexec_b32 s73, s23
	s_xor_b32 s23, exec_lo, s73
	s_cbranch_execz .LBB4_6211
; %bb.5901:                             ;   in Loop: Header=BB4_5561 Depth=3
	v_cmp_eq_u16_sdwa s74, v92, v118 src0_sel:BYTE_0 src1_sel:DWORD
	s_mov_b32 s16, -1
	s_and_saveexec_b32 s73, s74
; %bb.5902:                             ;   in Loop: Header=BB4_5561 Depth=3
	s_xor_b32 s16, exec_lo, -1
; %bb.5903:                             ;   in Loop: Header=BB4_5561 Depth=3
	s_or_b32 exec_lo, exec_lo, s73
	s_and_b32 s16, s16, exec_lo
	s_or_saveexec_b32 s23, s23
	v_mov_b32_e32 v95, 0x7f800001
	s_xor_b32 exec_lo, exec_lo, s23
	s_cbranch_execnz .LBB4_6212
.LBB4_5904:                             ;   in Loop: Header=BB4_5561 Depth=3
	s_or_b32 exec_lo, exec_lo, s23
	s_and_saveexec_b32 s23, s16
	s_cbranch_execz .LBB4_5906
.LBB4_5905:                             ;   in Loop: Header=BB4_5561 Depth=3
	v_and_b32_e32 v95, 7, v92
	v_lshrrev_b16 v106, 3, v92
	v_ffbh_u32_e32 v105, v95
	v_and_b32_e32 v106, 15, v106
	v_min_u32_e32 v105, 32, v105
	v_cmp_eq_u32_e32 vcc_lo, 0, v106
	v_subrev_nc_u32_e32 v107, 28, v105
	v_sub_nc_u32_e32 v105, 29, v105
	v_lshlrev_b32_e32 v107, v107, v92
	v_lshlrev_b32_e32 v92, 24, v92
	v_cndmask_b32_e32 v105, v106, v105, vcc_lo
	v_and_b32_e32 v107, 7, v107
	v_and_b32_e32 v92, 0x80000000, v92
	v_lshl_add_u32 v105, v105, 23, 0x3b800000
	v_cndmask_b32_e32 v95, v95, v107, vcc_lo
	v_lshlrev_b32_e32 v95, 20, v95
	v_or3_b32 v95, v92, v105, v95
.LBB4_5906:                             ;   in Loop: Header=BB4_5561 Depth=3
	s_or_b32 exec_lo, exec_lo, s23
	s_waitcnt vmcnt(6) lgkmcnt(6)
	v_cmp_gt_i16_sdwa s23, v91, v117 src0_sel:BYTE_0 src1_sel:DWORD
	s_mov_b32 s16, 0
	s_and_saveexec_b32 s73, s23
	s_xor_b32 s23, exec_lo, s73
	s_cbranch_execz .LBB4_6213
; %bb.5907:                             ;   in Loop: Header=BB4_5561 Depth=3
	v_cmp_eq_u16_sdwa s74, v91, v118 src0_sel:BYTE_0 src1_sel:DWORD
	s_mov_b32 s16, -1
	s_and_saveexec_b32 s73, s74
; %bb.5908:                             ;   in Loop: Header=BB4_5561 Depth=3
	s_xor_b32 s16, exec_lo, -1
; %bb.5909:                             ;   in Loop: Header=BB4_5561 Depth=3
	s_or_b32 exec_lo, exec_lo, s73
	s_and_b32 s16, s16, exec_lo
	s_or_saveexec_b32 s23, s23
	v_mov_b32_e32 v92, 0x7f800001
	s_xor_b32 exec_lo, exec_lo, s23
	s_cbranch_execnz .LBB4_6214
.LBB4_5910:                             ;   in Loop: Header=BB4_5561 Depth=3
	s_or_b32 exec_lo, exec_lo, s23
	s_and_saveexec_b32 s23, s16
	s_cbranch_execz .LBB4_5912
.LBB4_5911:                             ;   in Loop: Header=BB4_5561 Depth=3
	v_and_b32_e32 v92, 7, v91
	v_lshrrev_b16 v106, 3, v91
	v_ffbh_u32_e32 v105, v92
	v_and_b32_e32 v106, 15, v106
	v_min_u32_e32 v105, 32, v105
	v_cmp_eq_u32_e32 vcc_lo, 0, v106
	v_subrev_nc_u32_e32 v107, 28, v105
	v_sub_nc_u32_e32 v105, 29, v105
	v_lshlrev_b32_e32 v107, v107, v91
	v_lshlrev_b32_e32 v91, 24, v91
	v_cndmask_b32_e32 v105, v106, v105, vcc_lo
	v_and_b32_e32 v107, 7, v107
	v_and_b32_e32 v91, 0x80000000, v91
	v_lshl_add_u32 v105, v105, 23, 0x3b800000
	v_cndmask_b32_e32 v92, v92, v107, vcc_lo
	v_lshlrev_b32_e32 v92, 20, v92
	v_or3_b32 v92, v91, v105, v92
.LBB4_5912:                             ;   in Loop: Header=BB4_5561 Depth=3
	s_or_b32 exec_lo, exec_lo, s23
	v_max_f32_e32 v91, v92, v92
	v_max_f32_e32 v92, v95, v95
	v_min_f32_e32 v95, v92, v91
.LBB4_5913:                             ;   in Loop: Header=BB4_5561 Depth=3
	s_waitcnt vmcnt(6) lgkmcnt(6)
	v_and_b32_e32 v91, 0x7f800000, v95
	v_cmp_ne_u32_e32 vcc_lo, 0x7f800000, v91
	v_mov_b32_e32 v91, 0x80
	s_and_saveexec_b32 s23, vcc_lo
	s_cbranch_execz .LBB4_5921
; %bb.5914:                             ;   in Loop: Header=BB4_5561 Depth=3
	v_mov_b32_e32 v91, 0
	s_mov_b32 s73, exec_lo
	v_cmpx_ne_u32_e32 0, v95
	s_cbranch_execz .LBB4_5920
; %bb.5915:                             ;   in Loop: Header=BB4_5561 Depth=3
	v_bfe_u32 v91, v95, 23, 8
	v_and_b32_e32 v92, 0x7fffff, v95
	v_sub_nc_u32_e32 v105, 0x78, v91
	v_cmp_gt_u32_e32 vcc_lo, 0x79, v91
	v_or_b32_e32 v106, 0x800000, v92
	v_cndmask_b32_e32 v105, 0, v105, vcc_lo
	v_cmp_eq_u32_e32 vcc_lo, 0, v91
	v_add_nc_u32_e32 v91, 0xffffff89, v91
	v_cndmask_b32_e64 v105, v105, 0x77, vcc_lo
	v_cndmask_b32_e32 v92, v106, v92, vcc_lo
	v_cndmask_b32_e64 v91, v91, 0xffffff8a, vcc_lo
	v_lshl_add_u32 v106, 0x100000, v105, -1
	v_lshrrev_b32_e32 v107, v105, v92
	v_lshlrev_b32_e64 v109, v105, 0x80000
	v_add_nc_u32_e32 v105, v105, v91
	v_and_b32_e32 v92, v106, v92
	v_bfe_u32 v108, v107, 20, 1
	v_cmp_eq_u32_e64 s16, v92, v109
	v_add_nc_u32_e32 v106, -1, v108
	v_cndmask_b32_e64 v92, 0, v106, s16
	v_lshrrev_b32_e32 v106, 23, v107
	s_mov_b32 s16, exec_lo
	v_add_nc_u32_e32 v92, v92, v107
	v_xor_b32_e32 v106, 1, v106
	v_and_b32_e32 v91, 0xfffff, v92
	v_add_nc_u32_e32 v92, v91, v107
                                        ; implicit-def: $vgpr91
	v_cmpx_ne_u32_e64 v105, v106
	s_xor_b32 s16, exec_lo, s16
; %bb.5916:                             ;   in Loop: Header=BB4_5561 Depth=3
	v_cmp_lt_u32_e32 vcc_lo, 0xffffff, v92
	v_sub_nc_u32_e32 v91, v105, v106
	v_cndmask_b32_e64 v105, 0, 1, vcc_lo
	v_add_co_ci_u32_e64 v91, null, 0, v91, vcc_lo
	v_lshrrev_b32_e32 v92, v105, v92
; %bb.5917:                             ;   in Loop: Header=BB4_5561 Depth=3
	s_andn2_saveexec_b32 s16, s16
; %bb.5918:                             ;   in Loop: Header=BB4_5561 Depth=3
	v_bfe_u32 v91, v92, 23, 1
; %bb.5919:                             ;   in Loop: Header=BB4_5561 Depth=3
	s_or_b32 exec_lo, exec_lo, s16
	v_lshrrev_b32_e32 v92, 20, v92
	v_cmp_gt_i32_e32 vcc_lo, 16, v91
	v_min_i32_e32 v105, 15, v91
	v_and_b32_sdwa v95, v95, v118 dst_sel:DWORD dst_unused:UNUSED_PAD src0_sel:BYTE_3 src1_sel:DWORD
	v_cndmask_b32_e32 v92, 7, v92, vcc_lo
	v_lshlrev_b32_e32 v105, 3, v105
	v_and_b32_e32 v106, 7, v92
	v_or_b32_e32 v91, v91, v92
	v_or3_b32 v92, v105, v95, v106
	v_cmp_ne_u32_e32 vcc_lo, 0, v91
	v_cndmask_b32_e32 v91, 0, v92, vcc_lo
.LBB4_5920:                             ;   in Loop: Header=BB4_5561 Depth=3
	s_or_b32 exec_lo, exec_lo, s73
.LBB4_5921:                             ;   in Loop: Header=BB4_5561 Depth=3
	s_or_b32 exec_lo, exec_lo, s23
	v_cmp_gt_i16_sdwa s23, v89, v117 src0_sel:BYTE_0 src1_sel:DWORD
	s_andn2_b32 vcc_lo, exec_lo, s19
	s_mov_b32 s16, -1
                                        ; implicit-def: $vgpr92
	s_cbranch_vccnz .LBB4_5935
; %bb.5922:                             ;   in Loop: Header=BB4_5561 Depth=3
	s_mov_b32 s16, 0
	s_and_saveexec_b32 s73, s23
	s_xor_b32 s23, exec_lo, s73
	s_cbranch_execz .LBB4_6215
; %bb.5923:                             ;   in Loop: Header=BB4_5561 Depth=3
	v_cmp_eq_u16_sdwa s74, v89, v118 src0_sel:BYTE_0 src1_sel:DWORD
	s_mov_b32 s16, -1
	s_and_saveexec_b32 s73, s74
; %bb.5924:                             ;   in Loop: Header=BB4_5561 Depth=3
	s_xor_b32 s16, exec_lo, -1
; %bb.5925:                             ;   in Loop: Header=BB4_5561 Depth=3
	s_or_b32 exec_lo, exec_lo, s73
	s_and_b32 s16, s16, exec_lo
	s_or_saveexec_b32 s23, s23
	v_mov_b32_e32 v92, 0x7f800001
	s_xor_b32 exec_lo, exec_lo, s23
	s_cbranch_execnz .LBB4_6216
.LBB4_5926:                             ;   in Loop: Header=BB4_5561 Depth=3
	s_or_b32 exec_lo, exec_lo, s23
	s_and_saveexec_b32 s23, s16
	s_cbranch_execz .LBB4_5928
.LBB4_5927:                             ;   in Loop: Header=BB4_5561 Depth=3
	v_and_b32_e32 v92, 7, v89
	v_lshrrev_b16 v105, 3, v89
	v_lshlrev_b32_e32 v107, 24, v89
	v_ffbh_u32_e32 v95, v92
	v_and_b32_e32 v105, 15, v105
	v_min_u32_e32 v95, 32, v95
	v_cmp_eq_u32_e32 vcc_lo, 0, v105
	v_subrev_nc_u32_e32 v106, 28, v95
	v_sub_nc_u32_e32 v95, 29, v95
	v_lshlrev_b32_e32 v106, v106, v89
	v_cndmask_b32_e32 v95, v105, v95, vcc_lo
	v_and_b32_e32 v105, 0x80000000, v107
	v_and_b32_e32 v106, 7, v106
	v_lshl_add_u32 v95, v95, 23, 0x3b800000
	v_cndmask_b32_e32 v92, v92, v106, vcc_lo
	v_lshlrev_b32_e32 v92, 20, v92
	v_or3_b32 v92, v105, v95, v92
.LBB4_5928:                             ;   in Loop: Header=BB4_5561 Depth=3
	s_or_b32 exec_lo, exec_lo, s23
	s_waitcnt vmcnt(5) lgkmcnt(5)
	v_cmp_gt_i16_sdwa s23, v88, v117 src0_sel:BYTE_0 src1_sel:DWORD
	s_mov_b32 s16, 0
	s_and_saveexec_b32 s73, s23
	s_xor_b32 s23, exec_lo, s73
	s_cbranch_execz .LBB4_6217
; %bb.5929:                             ;   in Loop: Header=BB4_5561 Depth=3
	v_cmp_eq_u16_sdwa s74, v88, v118 src0_sel:BYTE_0 src1_sel:DWORD
	s_mov_b32 s16, -1
	s_and_saveexec_b32 s73, s74
; %bb.5930:                             ;   in Loop: Header=BB4_5561 Depth=3
	s_xor_b32 s16, exec_lo, -1
; %bb.5931:                             ;   in Loop: Header=BB4_5561 Depth=3
	s_or_b32 exec_lo, exec_lo, s73
	s_and_b32 s16, s16, exec_lo
	s_or_saveexec_b32 s23, s23
	v_mov_b32_e32 v95, 0x7f800001
	s_xor_b32 exec_lo, exec_lo, s23
	s_cbranch_execnz .LBB4_6218
.LBB4_5932:                             ;   in Loop: Header=BB4_5561 Depth=3
	s_or_b32 exec_lo, exec_lo, s23
	s_and_saveexec_b32 s23, s16
	s_cbranch_execz .LBB4_5934
.LBB4_5933:                             ;   in Loop: Header=BB4_5561 Depth=3
	v_and_b32_e32 v95, 7, v88
	v_lshrrev_b16 v106, 3, v88
	v_lshlrev_b32_e32 v108, 24, v88
	v_ffbh_u32_e32 v105, v95
	v_and_b32_e32 v106, 15, v106
	v_min_u32_e32 v105, 32, v105
	v_cmp_eq_u32_e32 vcc_lo, 0, v106
	v_subrev_nc_u32_e32 v107, 28, v105
	v_sub_nc_u32_e32 v105, 29, v105
	v_lshlrev_b32_e32 v107, v107, v88
	v_cndmask_b32_e32 v105, v106, v105, vcc_lo
	v_and_b32_e32 v106, 0x80000000, v108
	v_and_b32_e32 v107, 7, v107
	v_lshl_add_u32 v105, v105, 23, 0x3b800000
	v_cndmask_b32_e32 v95, v95, v107, vcc_lo
	v_lshlrev_b32_e32 v95, 20, v95
	v_or3_b32 v95, v106, v105, v95
.LBB4_5934:                             ;   in Loop: Header=BB4_5561 Depth=3
	s_or_b32 exec_lo, exec_lo, s23
	v_max_f32_e32 v95, v95, v95
	v_max_f32_e32 v92, v92, v92
	s_mov_b32 s16, 0
	v_max_f32_e32 v92, v92, v95
.LBB4_5935:                             ;   in Loop: Header=BB4_5561 Depth=3
	s_and_b32 vcc_lo, exec_lo, s16
	s_cbranch_vccz .LBB4_5949
; %bb.5936:                             ;   in Loop: Header=BB4_5561 Depth=3
	v_cmp_gt_i16_sdwa s23, v89, v117 src0_sel:BYTE_0 src1_sel:DWORD
	s_mov_b32 s16, 0
	s_and_saveexec_b32 s73, s23
	s_xor_b32 s23, exec_lo, s73
	s_cbranch_execz .LBB4_6219
; %bb.5937:                             ;   in Loop: Header=BB4_5561 Depth=3
	v_cmp_eq_u16_sdwa s74, v89, v118 src0_sel:BYTE_0 src1_sel:DWORD
	s_mov_b32 s16, -1
	s_and_saveexec_b32 s73, s74
; %bb.5938:                             ;   in Loop: Header=BB4_5561 Depth=3
	s_xor_b32 s16, exec_lo, -1
; %bb.5939:                             ;   in Loop: Header=BB4_5561 Depth=3
	s_or_b32 exec_lo, exec_lo, s73
	s_and_b32 s16, s16, exec_lo
	s_or_saveexec_b32 s23, s23
	v_mov_b32_e32 v92, 0x7f800001
	s_xor_b32 exec_lo, exec_lo, s23
	s_cbranch_execnz .LBB4_6220
.LBB4_5940:                             ;   in Loop: Header=BB4_5561 Depth=3
	s_or_b32 exec_lo, exec_lo, s23
	s_and_saveexec_b32 s23, s16
	s_cbranch_execz .LBB4_5942
.LBB4_5941:                             ;   in Loop: Header=BB4_5561 Depth=3
	v_and_b32_e32 v92, 7, v89
	v_lshrrev_b16 v105, 3, v89
	v_ffbh_u32_e32 v95, v92
	v_and_b32_e32 v105, 15, v105
	v_min_u32_e32 v95, 32, v95
	v_cmp_eq_u32_e32 vcc_lo, 0, v105
	v_subrev_nc_u32_e32 v106, 28, v95
	v_sub_nc_u32_e32 v95, 29, v95
	v_lshlrev_b32_e32 v106, v106, v89
	v_lshlrev_b32_e32 v89, 24, v89
	v_cndmask_b32_e32 v95, v105, v95, vcc_lo
	v_and_b32_e32 v106, 7, v106
	v_and_b32_e32 v89, 0x80000000, v89
	v_lshl_add_u32 v95, v95, 23, 0x3b800000
	v_cndmask_b32_e32 v92, v92, v106, vcc_lo
	v_lshlrev_b32_e32 v92, 20, v92
	v_or3_b32 v92, v89, v95, v92
.LBB4_5942:                             ;   in Loop: Header=BB4_5561 Depth=3
	s_or_b32 exec_lo, exec_lo, s23
	s_waitcnt vmcnt(5) lgkmcnt(5)
	v_cmp_gt_i16_sdwa s23, v88, v117 src0_sel:BYTE_0 src1_sel:DWORD
	s_mov_b32 s16, 0
	s_and_saveexec_b32 s73, s23
	s_xor_b32 s23, exec_lo, s73
	s_cbranch_execz .LBB4_6221
; %bb.5943:                             ;   in Loop: Header=BB4_5561 Depth=3
	v_cmp_eq_u16_sdwa s74, v88, v118 src0_sel:BYTE_0 src1_sel:DWORD
	s_mov_b32 s16, -1
	s_and_saveexec_b32 s73, s74
; %bb.5944:                             ;   in Loop: Header=BB4_5561 Depth=3
	s_xor_b32 s16, exec_lo, -1
; %bb.5945:                             ;   in Loop: Header=BB4_5561 Depth=3
	s_or_b32 exec_lo, exec_lo, s73
	s_and_b32 s16, s16, exec_lo
	s_or_saveexec_b32 s23, s23
	v_mov_b32_e32 v89, 0x7f800001
	s_xor_b32 exec_lo, exec_lo, s23
	s_cbranch_execnz .LBB4_6222
.LBB4_5946:                             ;   in Loop: Header=BB4_5561 Depth=3
	s_or_b32 exec_lo, exec_lo, s23
	s_and_saveexec_b32 s23, s16
	s_cbranch_execz .LBB4_5948
.LBB4_5947:                             ;   in Loop: Header=BB4_5561 Depth=3
	v_and_b32_e32 v89, 7, v88
	v_lshrrev_b16 v105, 3, v88
	v_ffbh_u32_e32 v95, v89
	v_and_b32_e32 v105, 15, v105
	v_min_u32_e32 v95, 32, v95
	v_cmp_eq_u32_e32 vcc_lo, 0, v105
	v_subrev_nc_u32_e32 v106, 28, v95
	v_sub_nc_u32_e32 v95, 29, v95
	v_lshlrev_b32_e32 v106, v106, v88
	v_lshlrev_b32_e32 v88, 24, v88
	v_cndmask_b32_e32 v95, v105, v95, vcc_lo
	v_and_b32_e32 v106, 7, v106
	v_and_b32_e32 v88, 0x80000000, v88
	v_lshl_add_u32 v95, v95, 23, 0x3b800000
	v_cndmask_b32_e32 v89, v89, v106, vcc_lo
	v_lshlrev_b32_e32 v89, 20, v89
	v_or3_b32 v89, v88, v95, v89
.LBB4_5948:                             ;   in Loop: Header=BB4_5561 Depth=3
	s_or_b32 exec_lo, exec_lo, s23
	v_max_f32_e32 v88, v89, v89
	v_max_f32_e32 v89, v92, v92
	v_min_f32_e32 v92, v89, v88
.LBB4_5949:                             ;   in Loop: Header=BB4_5561 Depth=3
	s_waitcnt vmcnt(5) lgkmcnt(5)
	v_and_b32_e32 v88, 0x7f800000, v92
	v_cmp_ne_u32_e32 vcc_lo, 0x7f800000, v88
	v_mov_b32_e32 v88, 0x80
	s_and_saveexec_b32 s23, vcc_lo
	s_cbranch_execz .LBB4_5957
; %bb.5950:                             ;   in Loop: Header=BB4_5561 Depth=3
	v_mov_b32_e32 v88, 0
	s_mov_b32 s73, exec_lo
	v_cmpx_ne_u32_e32 0, v92
	s_cbranch_execz .LBB4_5956
; %bb.5951:                             ;   in Loop: Header=BB4_5561 Depth=3
	v_bfe_u32 v88, v92, 23, 8
	v_and_b32_e32 v89, 0x7fffff, v92
	v_sub_nc_u32_e32 v95, 0x78, v88
	v_cmp_gt_u32_e32 vcc_lo, 0x79, v88
	v_or_b32_e32 v105, 0x800000, v89
	v_cndmask_b32_e32 v95, 0, v95, vcc_lo
	v_cmp_eq_u32_e32 vcc_lo, 0, v88
	v_add_nc_u32_e32 v88, 0xffffff89, v88
	v_cndmask_b32_e64 v95, v95, 0x77, vcc_lo
	v_cndmask_b32_e32 v89, v105, v89, vcc_lo
	v_cndmask_b32_e64 v88, v88, 0xffffff8a, vcc_lo
	v_lshl_add_u32 v105, 0x100000, v95, -1
	v_lshrrev_b32_e32 v106, v95, v89
	v_lshlrev_b32_e64 v108, v95, 0x80000
	v_add_nc_u32_e32 v95, v95, v88
	v_and_b32_e32 v89, v105, v89
	v_bfe_u32 v107, v106, 20, 1
	v_cmp_eq_u32_e64 s16, v89, v108
	v_add_nc_u32_e32 v105, -1, v107
	v_cndmask_b32_e64 v89, 0, v105, s16
	v_lshrrev_b32_e32 v105, 23, v106
	s_mov_b32 s16, exec_lo
	v_add_nc_u32_e32 v89, v89, v106
	v_xor_b32_e32 v105, 1, v105
	v_and_b32_e32 v88, 0xfffff, v89
	v_add_nc_u32_e32 v89, v88, v106
                                        ; implicit-def: $vgpr88
	v_cmpx_ne_u32_e64 v95, v105
	s_xor_b32 s16, exec_lo, s16
; %bb.5952:                             ;   in Loop: Header=BB4_5561 Depth=3
	v_cmp_lt_u32_e32 vcc_lo, 0xffffff, v89
	v_sub_nc_u32_e32 v88, v95, v105
	v_cndmask_b32_e64 v95, 0, 1, vcc_lo
	v_add_co_ci_u32_e64 v88, null, 0, v88, vcc_lo
	v_lshrrev_b32_e32 v89, v95, v89
; %bb.5953:                             ;   in Loop: Header=BB4_5561 Depth=3
	s_andn2_saveexec_b32 s16, s16
; %bb.5954:                             ;   in Loop: Header=BB4_5561 Depth=3
	v_bfe_u32 v88, v89, 23, 1
; %bb.5955:                             ;   in Loop: Header=BB4_5561 Depth=3
	s_or_b32 exec_lo, exec_lo, s16
	v_lshrrev_b32_e32 v89, 20, v89
	v_cmp_gt_i32_e32 vcc_lo, 16, v88
	v_min_i32_e32 v95, 15, v88
	v_and_b32_sdwa v92, v92, v118 dst_sel:DWORD dst_unused:UNUSED_PAD src0_sel:BYTE_3 src1_sel:DWORD
	v_cndmask_b32_e32 v89, 7, v89, vcc_lo
	v_lshlrev_b32_e32 v95, 3, v95
	v_and_b32_e32 v105, 7, v89
	v_or_b32_e32 v88, v88, v89
	v_or3_b32 v89, v95, v92, v105
	v_cmp_ne_u32_e32 vcc_lo, 0, v88
	v_cndmask_b32_e32 v88, 0, v89, vcc_lo
.LBB4_5956:                             ;   in Loop: Header=BB4_5561 Depth=3
	s_or_b32 exec_lo, exec_lo, s73
.LBB4_5957:                             ;   in Loop: Header=BB4_5561 Depth=3
	s_or_b32 exec_lo, exec_lo, s23
	v_cmp_gt_i16_sdwa s23, v78, v117 src0_sel:BYTE_0 src1_sel:DWORD
	s_andn2_b32 vcc_lo, exec_lo, s19
	s_mov_b32 s16, -1
                                        ; implicit-def: $vgpr89
	s_cbranch_vccnz .LBB4_5971
; %bb.5958:                             ;   in Loop: Header=BB4_5561 Depth=3
	s_mov_b32 s16, 0
	s_and_saveexec_b32 s73, s23
	s_xor_b32 s23, exec_lo, s73
	s_cbranch_execz .LBB4_6223
; %bb.5959:                             ;   in Loop: Header=BB4_5561 Depth=3
	v_cmp_eq_u16_sdwa s74, v78, v118 src0_sel:BYTE_0 src1_sel:DWORD
	s_mov_b32 s16, -1
	s_and_saveexec_b32 s73, s74
; %bb.5960:                             ;   in Loop: Header=BB4_5561 Depth=3
	s_xor_b32 s16, exec_lo, -1
; %bb.5961:                             ;   in Loop: Header=BB4_5561 Depth=3
	s_or_b32 exec_lo, exec_lo, s73
	s_and_b32 s16, s16, exec_lo
	s_or_saveexec_b32 s23, s23
	v_mov_b32_e32 v89, 0x7f800001
	s_xor_b32 exec_lo, exec_lo, s23
	s_cbranch_execnz .LBB4_6224
.LBB4_5962:                             ;   in Loop: Header=BB4_5561 Depth=3
	s_or_b32 exec_lo, exec_lo, s23
	s_and_saveexec_b32 s23, s16
	s_cbranch_execz .LBB4_5964
.LBB4_5963:                             ;   in Loop: Header=BB4_5561 Depth=3
	v_and_b32_e32 v89, 7, v78
	v_lshrrev_b16 v95, 3, v78
	v_lshlrev_b32_e32 v106, 24, v78
	v_ffbh_u32_e32 v92, v89
	v_and_b32_e32 v95, 15, v95
	v_min_u32_e32 v92, 32, v92
	v_cmp_eq_u32_e32 vcc_lo, 0, v95
	v_subrev_nc_u32_e32 v105, 28, v92
	v_sub_nc_u32_e32 v92, 29, v92
	v_lshlrev_b32_e32 v105, v105, v78
	v_cndmask_b32_e32 v92, v95, v92, vcc_lo
	v_and_b32_e32 v95, 0x80000000, v106
	v_and_b32_e32 v105, 7, v105
	v_lshl_add_u32 v92, v92, 23, 0x3b800000
	v_cndmask_b32_e32 v89, v89, v105, vcc_lo
	v_lshlrev_b32_e32 v89, 20, v89
	v_or3_b32 v89, v95, v92, v89
.LBB4_5964:                             ;   in Loop: Header=BB4_5561 Depth=3
	s_or_b32 exec_lo, exec_lo, s23
	s_waitcnt vmcnt(4) lgkmcnt(4)
	v_cmp_gt_i16_sdwa s23, v77, v117 src0_sel:BYTE_0 src1_sel:DWORD
	s_mov_b32 s16, 0
	s_and_saveexec_b32 s73, s23
	s_xor_b32 s23, exec_lo, s73
	s_cbranch_execz .LBB4_6225
; %bb.5965:                             ;   in Loop: Header=BB4_5561 Depth=3
	v_cmp_eq_u16_sdwa s74, v77, v118 src0_sel:BYTE_0 src1_sel:DWORD
	s_mov_b32 s16, -1
	s_and_saveexec_b32 s73, s74
; %bb.5966:                             ;   in Loop: Header=BB4_5561 Depth=3
	s_xor_b32 s16, exec_lo, -1
; %bb.5967:                             ;   in Loop: Header=BB4_5561 Depth=3
	s_or_b32 exec_lo, exec_lo, s73
	s_and_b32 s16, s16, exec_lo
	s_or_saveexec_b32 s23, s23
	v_mov_b32_e32 v92, 0x7f800001
	s_xor_b32 exec_lo, exec_lo, s23
	s_cbranch_execnz .LBB4_6226
.LBB4_5968:                             ;   in Loop: Header=BB4_5561 Depth=3
	s_or_b32 exec_lo, exec_lo, s23
	s_and_saveexec_b32 s23, s16
	s_cbranch_execz .LBB4_5970
.LBB4_5969:                             ;   in Loop: Header=BB4_5561 Depth=3
	v_and_b32_e32 v92, 7, v77
	v_lshrrev_b16 v105, 3, v77
	v_lshlrev_b32_e32 v107, 24, v77
	v_ffbh_u32_e32 v95, v92
	v_and_b32_e32 v105, 15, v105
	v_min_u32_e32 v95, 32, v95
	v_cmp_eq_u32_e32 vcc_lo, 0, v105
	v_subrev_nc_u32_e32 v106, 28, v95
	v_sub_nc_u32_e32 v95, 29, v95
	v_lshlrev_b32_e32 v106, v106, v77
	v_cndmask_b32_e32 v95, v105, v95, vcc_lo
	v_and_b32_e32 v105, 0x80000000, v107
	v_and_b32_e32 v106, 7, v106
	v_lshl_add_u32 v95, v95, 23, 0x3b800000
	v_cndmask_b32_e32 v92, v92, v106, vcc_lo
	v_lshlrev_b32_e32 v92, 20, v92
	v_or3_b32 v92, v105, v95, v92
.LBB4_5970:                             ;   in Loop: Header=BB4_5561 Depth=3
	s_or_b32 exec_lo, exec_lo, s23
	v_max_f32_e32 v92, v92, v92
	v_max_f32_e32 v89, v89, v89
	s_mov_b32 s16, 0
	v_max_f32_e32 v89, v89, v92
.LBB4_5971:                             ;   in Loop: Header=BB4_5561 Depth=3
	s_and_b32 vcc_lo, exec_lo, s16
	s_cbranch_vccz .LBB4_5985
; %bb.5972:                             ;   in Loop: Header=BB4_5561 Depth=3
	v_cmp_gt_i16_sdwa s23, v78, v117 src0_sel:BYTE_0 src1_sel:DWORD
	s_mov_b32 s16, 0
	s_and_saveexec_b32 s73, s23
	s_xor_b32 s23, exec_lo, s73
	s_cbranch_execz .LBB4_6227
; %bb.5973:                             ;   in Loop: Header=BB4_5561 Depth=3
	v_cmp_eq_u16_sdwa s74, v78, v118 src0_sel:BYTE_0 src1_sel:DWORD
	s_mov_b32 s16, -1
	s_and_saveexec_b32 s73, s74
; %bb.5974:                             ;   in Loop: Header=BB4_5561 Depth=3
	s_xor_b32 s16, exec_lo, -1
; %bb.5975:                             ;   in Loop: Header=BB4_5561 Depth=3
	s_or_b32 exec_lo, exec_lo, s73
	s_and_b32 s16, s16, exec_lo
	s_or_saveexec_b32 s23, s23
	v_mov_b32_e32 v89, 0x7f800001
	s_xor_b32 exec_lo, exec_lo, s23
	s_cbranch_execnz .LBB4_6228
.LBB4_5976:                             ;   in Loop: Header=BB4_5561 Depth=3
	s_or_b32 exec_lo, exec_lo, s23
	s_and_saveexec_b32 s23, s16
	s_cbranch_execz .LBB4_5978
.LBB4_5977:                             ;   in Loop: Header=BB4_5561 Depth=3
	v_and_b32_e32 v89, 7, v78
	v_lshrrev_b16 v95, 3, v78
	v_ffbh_u32_e32 v92, v89
	v_and_b32_e32 v95, 15, v95
	v_min_u32_e32 v92, 32, v92
	v_cmp_eq_u32_e32 vcc_lo, 0, v95
	v_subrev_nc_u32_e32 v105, 28, v92
	v_sub_nc_u32_e32 v92, 29, v92
	v_lshlrev_b32_e32 v105, v105, v78
	v_lshlrev_b32_e32 v78, 24, v78
	v_cndmask_b32_e32 v92, v95, v92, vcc_lo
	v_and_b32_e32 v105, 7, v105
	v_and_b32_e32 v78, 0x80000000, v78
	v_lshl_add_u32 v92, v92, 23, 0x3b800000
	v_cndmask_b32_e32 v89, v89, v105, vcc_lo
	v_lshlrev_b32_e32 v89, 20, v89
	v_or3_b32 v89, v78, v92, v89
.LBB4_5978:                             ;   in Loop: Header=BB4_5561 Depth=3
	s_or_b32 exec_lo, exec_lo, s23
	s_waitcnt vmcnt(4) lgkmcnt(4)
	v_cmp_gt_i16_sdwa s23, v77, v117 src0_sel:BYTE_0 src1_sel:DWORD
	s_mov_b32 s16, 0
	s_and_saveexec_b32 s73, s23
	s_xor_b32 s23, exec_lo, s73
	s_cbranch_execz .LBB4_6229
; %bb.5979:                             ;   in Loop: Header=BB4_5561 Depth=3
	v_cmp_eq_u16_sdwa s74, v77, v118 src0_sel:BYTE_0 src1_sel:DWORD
	s_mov_b32 s16, -1
	s_and_saveexec_b32 s73, s74
; %bb.5980:                             ;   in Loop: Header=BB4_5561 Depth=3
	s_xor_b32 s16, exec_lo, -1
; %bb.5981:                             ;   in Loop: Header=BB4_5561 Depth=3
	s_or_b32 exec_lo, exec_lo, s73
	s_and_b32 s16, s16, exec_lo
	s_or_saveexec_b32 s23, s23
	v_mov_b32_e32 v78, 0x7f800001
	s_xor_b32 exec_lo, exec_lo, s23
	s_cbranch_execnz .LBB4_6230
.LBB4_5982:                             ;   in Loop: Header=BB4_5561 Depth=3
	s_or_b32 exec_lo, exec_lo, s23
	s_and_saveexec_b32 s23, s16
	s_cbranch_execz .LBB4_5984
.LBB4_5983:                             ;   in Loop: Header=BB4_5561 Depth=3
	v_and_b32_e32 v78, 7, v77
	v_lshrrev_b16 v95, 3, v77
	v_ffbh_u32_e32 v92, v78
	v_and_b32_e32 v95, 15, v95
	v_min_u32_e32 v92, 32, v92
	v_cmp_eq_u32_e32 vcc_lo, 0, v95
	v_subrev_nc_u32_e32 v105, 28, v92
	v_sub_nc_u32_e32 v92, 29, v92
	v_lshlrev_b32_e32 v105, v105, v77
	v_lshlrev_b32_e32 v77, 24, v77
	v_cndmask_b32_e32 v92, v95, v92, vcc_lo
	v_and_b32_e32 v105, 7, v105
	v_and_b32_e32 v77, 0x80000000, v77
	v_lshl_add_u32 v92, v92, 23, 0x3b800000
	v_cndmask_b32_e32 v78, v78, v105, vcc_lo
	v_lshlrev_b32_e32 v78, 20, v78
	v_or3_b32 v78, v77, v92, v78
.LBB4_5984:                             ;   in Loop: Header=BB4_5561 Depth=3
	s_or_b32 exec_lo, exec_lo, s23
	v_max_f32_e32 v77, v78, v78
	v_max_f32_e32 v78, v89, v89
	v_min_f32_e32 v89, v78, v77
.LBB4_5985:                             ;   in Loop: Header=BB4_5561 Depth=3
	s_waitcnt vmcnt(4) lgkmcnt(4)
	v_and_b32_e32 v77, 0x7f800000, v89
	v_cmp_ne_u32_e32 vcc_lo, 0x7f800000, v77
	v_mov_b32_e32 v77, 0x80
	s_and_saveexec_b32 s23, vcc_lo
	s_cbranch_execz .LBB4_5993
; %bb.5986:                             ;   in Loop: Header=BB4_5561 Depth=3
	v_mov_b32_e32 v77, 0
	s_mov_b32 s73, exec_lo
	v_cmpx_ne_u32_e32 0, v89
	s_cbranch_execz .LBB4_5992
; %bb.5987:                             ;   in Loop: Header=BB4_5561 Depth=3
	v_bfe_u32 v77, v89, 23, 8
	v_and_b32_e32 v78, 0x7fffff, v89
	v_sub_nc_u32_e32 v92, 0x78, v77
	v_cmp_gt_u32_e32 vcc_lo, 0x79, v77
	v_or_b32_e32 v95, 0x800000, v78
	v_cndmask_b32_e32 v92, 0, v92, vcc_lo
	v_cmp_eq_u32_e32 vcc_lo, 0, v77
	v_add_nc_u32_e32 v77, 0xffffff89, v77
	v_cndmask_b32_e64 v92, v92, 0x77, vcc_lo
	v_cndmask_b32_e32 v78, v95, v78, vcc_lo
	v_cndmask_b32_e64 v77, v77, 0xffffff8a, vcc_lo
	v_lshl_add_u32 v95, 0x100000, v92, -1
	v_lshrrev_b32_e32 v105, v92, v78
	v_lshlrev_b32_e64 v107, v92, 0x80000
	v_add_nc_u32_e32 v92, v92, v77
	v_and_b32_e32 v78, v95, v78
	v_bfe_u32 v106, v105, 20, 1
	v_cmp_eq_u32_e64 s16, v78, v107
	v_add_nc_u32_e32 v95, -1, v106
	v_cndmask_b32_e64 v78, 0, v95, s16
	v_lshrrev_b32_e32 v95, 23, v105
	s_mov_b32 s16, exec_lo
	v_add_nc_u32_e32 v78, v78, v105
	v_xor_b32_e32 v95, 1, v95
	v_and_b32_e32 v77, 0xfffff, v78
	v_add_nc_u32_e32 v78, v77, v105
                                        ; implicit-def: $vgpr77
	v_cmpx_ne_u32_e64 v92, v95
	s_xor_b32 s16, exec_lo, s16
; %bb.5988:                             ;   in Loop: Header=BB4_5561 Depth=3
	v_cmp_lt_u32_e32 vcc_lo, 0xffffff, v78
	v_sub_nc_u32_e32 v77, v92, v95
	v_cndmask_b32_e64 v92, 0, 1, vcc_lo
	v_add_co_ci_u32_e64 v77, null, 0, v77, vcc_lo
	v_lshrrev_b32_e32 v78, v92, v78
; %bb.5989:                             ;   in Loop: Header=BB4_5561 Depth=3
	s_andn2_saveexec_b32 s16, s16
; %bb.5990:                             ;   in Loop: Header=BB4_5561 Depth=3
	v_bfe_u32 v77, v78, 23, 1
; %bb.5991:                             ;   in Loop: Header=BB4_5561 Depth=3
	s_or_b32 exec_lo, exec_lo, s16
	v_lshrrev_b32_e32 v78, 20, v78
	v_cmp_gt_i32_e32 vcc_lo, 16, v77
	v_min_i32_e32 v92, 15, v77
	v_and_b32_sdwa v89, v89, v118 dst_sel:DWORD dst_unused:UNUSED_PAD src0_sel:BYTE_3 src1_sel:DWORD
	v_cndmask_b32_e32 v78, 7, v78, vcc_lo
	v_lshlrev_b32_e32 v92, 3, v92
	v_and_b32_e32 v95, 7, v78
	v_or_b32_e32 v77, v77, v78
	v_or3_b32 v78, v92, v89, v95
	v_cmp_ne_u32_e32 vcc_lo, 0, v77
	v_cndmask_b32_e32 v77, 0, v78, vcc_lo
.LBB4_5992:                             ;   in Loop: Header=BB4_5561 Depth=3
	s_or_b32 exec_lo, exec_lo, s73
.LBB4_5993:                             ;   in Loop: Header=BB4_5561 Depth=3
	s_or_b32 exec_lo, exec_lo, s23
	v_cmp_gt_i16_sdwa s23, v98, v117 src0_sel:BYTE_0 src1_sel:DWORD
	s_andn2_b32 vcc_lo, exec_lo, s19
	s_mov_b32 s16, -1
                                        ; implicit-def: $vgpr78
	s_cbranch_vccnz .LBB4_6007
; %bb.5994:                             ;   in Loop: Header=BB4_5561 Depth=3
	s_mov_b32 s16, 0
	s_and_saveexec_b32 s73, s23
	s_xor_b32 s23, exec_lo, s73
	s_cbranch_execz .LBB4_6231
; %bb.5995:                             ;   in Loop: Header=BB4_5561 Depth=3
	v_cmp_eq_u16_sdwa s74, v98, v118 src0_sel:BYTE_0 src1_sel:DWORD
	s_mov_b32 s16, -1
	s_and_saveexec_b32 s73, s74
; %bb.5996:                             ;   in Loop: Header=BB4_5561 Depth=3
	s_xor_b32 s16, exec_lo, -1
; %bb.5997:                             ;   in Loop: Header=BB4_5561 Depth=3
	s_or_b32 exec_lo, exec_lo, s73
	s_and_b32 s16, s16, exec_lo
	s_or_saveexec_b32 s23, s23
	v_mov_b32_e32 v78, 0x7f800001
	s_xor_b32 exec_lo, exec_lo, s23
	s_cbranch_execnz .LBB4_6232
.LBB4_5998:                             ;   in Loop: Header=BB4_5561 Depth=3
	s_or_b32 exec_lo, exec_lo, s23
	s_and_saveexec_b32 s23, s16
	s_cbranch_execz .LBB4_6000
.LBB4_5999:                             ;   in Loop: Header=BB4_5561 Depth=3
	v_and_b32_e32 v78, 7, v98
	v_lshrrev_b16 v92, 3, v98
	v_lshlrev_b32_e32 v105, 24, v98
	v_ffbh_u32_e32 v89, v78
	v_and_b32_e32 v92, 15, v92
	v_min_u32_e32 v89, 32, v89
	v_cmp_eq_u32_e32 vcc_lo, 0, v92
	v_subrev_nc_u32_e32 v95, 28, v89
	v_sub_nc_u32_e32 v89, 29, v89
	v_lshlrev_b32_e32 v95, v95, v98
	v_cndmask_b32_e32 v89, v92, v89, vcc_lo
	v_and_b32_e32 v92, 0x80000000, v105
	v_and_b32_e32 v95, 7, v95
	v_lshl_add_u32 v89, v89, 23, 0x3b800000
	v_cndmask_b32_e32 v78, v78, v95, vcc_lo
	v_lshlrev_b32_e32 v78, 20, v78
	v_or3_b32 v78, v92, v89, v78
.LBB4_6000:                             ;   in Loop: Header=BB4_5561 Depth=3
	s_or_b32 exec_lo, exec_lo, s23
	s_waitcnt vmcnt(3) lgkmcnt(3)
	v_cmp_gt_i16_sdwa s23, v97, v117 src0_sel:BYTE_0 src1_sel:DWORD
	s_mov_b32 s16, 0
	s_and_saveexec_b32 s73, s23
	s_xor_b32 s23, exec_lo, s73
	s_cbranch_execz .LBB4_6233
; %bb.6001:                             ;   in Loop: Header=BB4_5561 Depth=3
	v_cmp_eq_u16_sdwa s74, v97, v118 src0_sel:BYTE_0 src1_sel:DWORD
	s_mov_b32 s16, -1
	s_and_saveexec_b32 s73, s74
; %bb.6002:                             ;   in Loop: Header=BB4_5561 Depth=3
	s_xor_b32 s16, exec_lo, -1
; %bb.6003:                             ;   in Loop: Header=BB4_5561 Depth=3
	s_or_b32 exec_lo, exec_lo, s73
	s_and_b32 s16, s16, exec_lo
	s_or_saveexec_b32 s23, s23
	v_mov_b32_e32 v89, 0x7f800001
	s_xor_b32 exec_lo, exec_lo, s23
	s_cbranch_execnz .LBB4_6234
.LBB4_6004:                             ;   in Loop: Header=BB4_5561 Depth=3
	s_or_b32 exec_lo, exec_lo, s23
	s_and_saveexec_b32 s23, s16
	s_cbranch_execz .LBB4_6006
.LBB4_6005:                             ;   in Loop: Header=BB4_5561 Depth=3
	v_and_b32_e32 v89, 7, v97
	v_lshrrev_b16 v95, 3, v97
	v_lshlrev_b32_e32 v106, 24, v97
	v_ffbh_u32_e32 v92, v89
	v_and_b32_e32 v95, 15, v95
	v_min_u32_e32 v92, 32, v92
	v_cmp_eq_u32_e32 vcc_lo, 0, v95
	v_subrev_nc_u32_e32 v105, 28, v92
	v_sub_nc_u32_e32 v92, 29, v92
	v_lshlrev_b32_e32 v105, v105, v97
	v_cndmask_b32_e32 v92, v95, v92, vcc_lo
	v_and_b32_e32 v95, 0x80000000, v106
	v_and_b32_e32 v105, 7, v105
	v_lshl_add_u32 v92, v92, 23, 0x3b800000
	v_cndmask_b32_e32 v89, v89, v105, vcc_lo
	v_lshlrev_b32_e32 v89, 20, v89
	v_or3_b32 v89, v95, v92, v89
.LBB4_6006:                             ;   in Loop: Header=BB4_5561 Depth=3
	s_or_b32 exec_lo, exec_lo, s23
	v_max_f32_e32 v89, v89, v89
	v_max_f32_e32 v78, v78, v78
	s_mov_b32 s16, 0
	v_max_f32_e32 v78, v78, v89
.LBB4_6007:                             ;   in Loop: Header=BB4_5561 Depth=3
	s_and_b32 vcc_lo, exec_lo, s16
	s_cbranch_vccz .LBB4_6021
; %bb.6008:                             ;   in Loop: Header=BB4_5561 Depth=3
	v_cmp_gt_i16_sdwa s23, v98, v117 src0_sel:BYTE_0 src1_sel:DWORD
	s_mov_b32 s16, 0
	s_and_saveexec_b32 s73, s23
	s_xor_b32 s23, exec_lo, s73
	s_cbranch_execz .LBB4_6235
; %bb.6009:                             ;   in Loop: Header=BB4_5561 Depth=3
	v_cmp_eq_u16_sdwa s74, v98, v118 src0_sel:BYTE_0 src1_sel:DWORD
	s_mov_b32 s16, -1
	s_and_saveexec_b32 s73, s74
; %bb.6010:                             ;   in Loop: Header=BB4_5561 Depth=3
	s_xor_b32 s16, exec_lo, -1
; %bb.6011:                             ;   in Loop: Header=BB4_5561 Depth=3
	s_or_b32 exec_lo, exec_lo, s73
	s_and_b32 s16, s16, exec_lo
	s_or_saveexec_b32 s23, s23
	v_mov_b32_e32 v78, 0x7f800001
	s_xor_b32 exec_lo, exec_lo, s23
	s_cbranch_execnz .LBB4_6236
.LBB4_6012:                             ;   in Loop: Header=BB4_5561 Depth=3
	s_or_b32 exec_lo, exec_lo, s23
	s_and_saveexec_b32 s23, s16
	s_cbranch_execz .LBB4_6014
.LBB4_6013:                             ;   in Loop: Header=BB4_5561 Depth=3
	v_and_b32_e32 v78, 7, v98
	v_lshrrev_b16 v92, 3, v98
	v_ffbh_u32_e32 v89, v78
	v_and_b32_e32 v92, 15, v92
	v_min_u32_e32 v89, 32, v89
	v_cmp_eq_u32_e32 vcc_lo, 0, v92
	v_subrev_nc_u32_e32 v95, 28, v89
	v_sub_nc_u32_e32 v89, 29, v89
	v_lshlrev_b32_e32 v95, v95, v98
	v_lshlrev_b32_e32 v98, 24, v98
	v_cndmask_b32_e32 v89, v92, v89, vcc_lo
	v_and_b32_e32 v95, 7, v95
	v_and_b32_e32 v98, 0x80000000, v98
	v_lshl_add_u32 v89, v89, 23, 0x3b800000
	v_cndmask_b32_e32 v78, v78, v95, vcc_lo
	v_lshlrev_b32_e32 v78, 20, v78
	v_or3_b32 v78, v98, v89, v78
.LBB4_6014:                             ;   in Loop: Header=BB4_5561 Depth=3
	s_or_b32 exec_lo, exec_lo, s23
	s_waitcnt vmcnt(3) lgkmcnt(3)
	v_cmp_gt_i16_sdwa s23, v97, v117 src0_sel:BYTE_0 src1_sel:DWORD
	s_mov_b32 s16, 0
	s_and_saveexec_b32 s73, s23
	s_xor_b32 s23, exec_lo, s73
	s_cbranch_execz .LBB4_6237
; %bb.6015:                             ;   in Loop: Header=BB4_5561 Depth=3
	v_cmp_eq_u16_sdwa s74, v97, v118 src0_sel:BYTE_0 src1_sel:DWORD
	s_mov_b32 s16, -1
	s_and_saveexec_b32 s73, s74
; %bb.6016:                             ;   in Loop: Header=BB4_5561 Depth=3
	s_xor_b32 s16, exec_lo, -1
; %bb.6017:                             ;   in Loop: Header=BB4_5561 Depth=3
	s_or_b32 exec_lo, exec_lo, s73
	s_and_b32 s16, s16, exec_lo
	s_or_saveexec_b32 s23, s23
	v_mov_b32_e32 v98, 0x7f800001
	s_xor_b32 exec_lo, exec_lo, s23
	s_cbranch_execnz .LBB4_6238
.LBB4_6018:                             ;   in Loop: Header=BB4_5561 Depth=3
	s_or_b32 exec_lo, exec_lo, s23
	s_and_saveexec_b32 s23, s16
	s_cbranch_execz .LBB4_6020
.LBB4_6019:                             ;   in Loop: Header=BB4_5561 Depth=3
	v_and_b32_e32 v98, 7, v97
	v_lshrrev_b16 v92, 3, v97
	v_ffbh_u32_e32 v89, v98
	v_and_b32_e32 v92, 15, v92
	v_min_u32_e32 v89, 32, v89
	v_cmp_eq_u32_e32 vcc_lo, 0, v92
	v_subrev_nc_u32_e32 v95, 28, v89
	v_sub_nc_u32_e32 v89, 29, v89
	v_lshlrev_b32_e32 v95, v95, v97
	v_lshlrev_b32_e32 v97, 24, v97
	v_cndmask_b32_e32 v89, v92, v89, vcc_lo
	v_and_b32_e32 v95, 7, v95
	v_and_b32_e32 v97, 0x80000000, v97
	v_lshl_add_u32 v89, v89, 23, 0x3b800000
	v_cndmask_b32_e32 v98, v98, v95, vcc_lo
	v_lshlrev_b32_e32 v98, 20, v98
	v_or3_b32 v98, v97, v89, v98
.LBB4_6020:                             ;   in Loop: Header=BB4_5561 Depth=3
	s_or_b32 exec_lo, exec_lo, s23
	v_max_f32_e32 v97, v98, v98
	v_max_f32_e32 v98, v78, v78
	v_min_f32_e32 v78, v98, v97
.LBB4_6021:                             ;   in Loop: Header=BB4_5561 Depth=3
	s_waitcnt vmcnt(3) lgkmcnt(3)
	v_and_b32_e32 v97, 0x7f800000, v78
	v_cmp_ne_u32_e32 vcc_lo, 0x7f800000, v97
	v_mov_b32_e32 v97, 0x80
	s_and_saveexec_b32 s23, vcc_lo
	s_cbranch_execz .LBB4_6029
; %bb.6022:                             ;   in Loop: Header=BB4_5561 Depth=3
	v_mov_b32_e32 v97, 0
	s_mov_b32 s73, exec_lo
	v_cmpx_ne_u32_e32 0, v78
	s_cbranch_execz .LBB4_6028
; %bb.6023:                             ;   in Loop: Header=BB4_5561 Depth=3
	v_bfe_u32 v97, v78, 23, 8
	v_and_b32_e32 v98, 0x7fffff, v78
	v_sub_nc_u32_e32 v89, 0x78, v97
	v_cmp_gt_u32_e32 vcc_lo, 0x79, v97
	v_or_b32_e32 v92, 0x800000, v98
	v_cndmask_b32_e32 v89, 0, v89, vcc_lo
	v_cmp_eq_u32_e32 vcc_lo, 0, v97
	v_add_nc_u32_e32 v97, 0xffffff89, v97
	v_cndmask_b32_e64 v89, v89, 0x77, vcc_lo
	v_cndmask_b32_e32 v98, v92, v98, vcc_lo
	v_cndmask_b32_e64 v97, v97, 0xffffff8a, vcc_lo
	v_lshl_add_u32 v92, 0x100000, v89, -1
	v_lshrrev_b32_e32 v95, v89, v98
	v_lshlrev_b32_e64 v106, v89, 0x80000
	v_add_nc_u32_e32 v89, v89, v97
	v_and_b32_e32 v98, v92, v98
	v_bfe_u32 v105, v95, 20, 1
	v_cmp_eq_u32_e64 s16, v98, v106
	v_add_nc_u32_e32 v92, -1, v105
	v_cndmask_b32_e64 v98, 0, v92, s16
	v_lshrrev_b32_e32 v92, 23, v95
	s_mov_b32 s16, exec_lo
	v_add_nc_u32_e32 v98, v98, v95
	v_xor_b32_e32 v92, 1, v92
	v_and_b32_e32 v97, 0xfffff, v98
	v_add_nc_u32_e32 v98, v97, v95
                                        ; implicit-def: $vgpr97
	v_cmpx_ne_u32_e64 v89, v92
	s_xor_b32 s16, exec_lo, s16
; %bb.6024:                             ;   in Loop: Header=BB4_5561 Depth=3
	v_cmp_lt_u32_e32 vcc_lo, 0xffffff, v98
	v_sub_nc_u32_e32 v97, v89, v92
	v_cndmask_b32_e64 v89, 0, 1, vcc_lo
	v_add_co_ci_u32_e64 v97, null, 0, v97, vcc_lo
	v_lshrrev_b32_e32 v98, v89, v98
; %bb.6025:                             ;   in Loop: Header=BB4_5561 Depth=3
	s_andn2_saveexec_b32 s16, s16
; %bb.6026:                             ;   in Loop: Header=BB4_5561 Depth=3
	v_bfe_u32 v97, v98, 23, 1
; %bb.6027:                             ;   in Loop: Header=BB4_5561 Depth=3
	s_or_b32 exec_lo, exec_lo, s16
	v_lshrrev_b32_e32 v98, 20, v98
	v_cmp_gt_i32_e32 vcc_lo, 16, v97
	v_min_i32_e32 v89, 15, v97
	v_and_b32_sdwa v78, v78, v118 dst_sel:DWORD dst_unused:UNUSED_PAD src0_sel:BYTE_3 src1_sel:DWORD
	v_cndmask_b32_e32 v98, 7, v98, vcc_lo
	v_lshlrev_b32_e32 v89, 3, v89
	v_and_b32_e32 v92, 7, v98
	v_or_b32_e32 v97, v97, v98
	v_or3_b32 v98, v89, v78, v92
	v_cmp_ne_u32_e32 vcc_lo, 0, v97
	v_cndmask_b32_e32 v97, 0, v98, vcc_lo
.LBB4_6028:                             ;   in Loop: Header=BB4_5561 Depth=3
	s_or_b32 exec_lo, exec_lo, s73
.LBB4_6029:                             ;   in Loop: Header=BB4_5561 Depth=3
	s_or_b32 exec_lo, exec_lo, s23
	v_cmp_gt_i16_sdwa s23, v87, v117 src0_sel:BYTE_0 src1_sel:DWORD
	s_andn2_b32 vcc_lo, exec_lo, s19
	s_mov_b32 s16, -1
                                        ; implicit-def: $vgpr98
	s_cbranch_vccnz .LBB4_6043
; %bb.6030:                             ;   in Loop: Header=BB4_5561 Depth=3
	s_mov_b32 s16, 0
	s_and_saveexec_b32 s73, s23
	s_xor_b32 s23, exec_lo, s73
	s_cbranch_execz .LBB4_6239
; %bb.6031:                             ;   in Loop: Header=BB4_5561 Depth=3
	v_cmp_eq_u16_sdwa s74, v87, v118 src0_sel:BYTE_0 src1_sel:DWORD
	s_mov_b32 s16, -1
	s_and_saveexec_b32 s73, s74
; %bb.6032:                             ;   in Loop: Header=BB4_5561 Depth=3
	s_xor_b32 s16, exec_lo, -1
; %bb.6033:                             ;   in Loop: Header=BB4_5561 Depth=3
	s_or_b32 exec_lo, exec_lo, s73
	s_and_b32 s16, s16, exec_lo
	s_or_saveexec_b32 s23, s23
	v_mov_b32_e32 v98, 0x7f800001
	s_xor_b32 exec_lo, exec_lo, s23
	s_cbranch_execnz .LBB4_6240
.LBB4_6034:                             ;   in Loop: Header=BB4_5561 Depth=3
	s_or_b32 exec_lo, exec_lo, s23
	s_and_saveexec_b32 s23, s16
	s_cbranch_execz .LBB4_6036
.LBB4_6035:                             ;   in Loop: Header=BB4_5561 Depth=3
	v_and_b32_e32 v98, 7, v87
	v_lshrrev_b16 v89, 3, v87
	v_lshlrev_b32_e32 v95, 24, v87
	v_ffbh_u32_e32 v78, v98
	v_and_b32_e32 v89, 15, v89
	v_min_u32_e32 v78, 32, v78
	v_cmp_eq_u32_e32 vcc_lo, 0, v89
	v_subrev_nc_u32_e32 v92, 28, v78
	v_sub_nc_u32_e32 v78, 29, v78
	v_lshlrev_b32_e32 v92, v92, v87
	v_cndmask_b32_e32 v78, v89, v78, vcc_lo
	v_and_b32_e32 v89, 0x80000000, v95
	v_and_b32_e32 v92, 7, v92
	v_lshl_add_u32 v78, v78, 23, 0x3b800000
	v_cndmask_b32_e32 v98, v98, v92, vcc_lo
	v_lshlrev_b32_e32 v98, 20, v98
	v_or3_b32 v98, v89, v78, v98
.LBB4_6036:                             ;   in Loop: Header=BB4_5561 Depth=3
	s_or_b32 exec_lo, exec_lo, s23
	s_waitcnt vmcnt(2) lgkmcnt(2)
	v_cmp_gt_i16_sdwa s23, v86, v117 src0_sel:BYTE_0 src1_sel:DWORD
	s_mov_b32 s16, 0
	s_and_saveexec_b32 s73, s23
	s_xor_b32 s23, exec_lo, s73
	s_cbranch_execz .LBB4_6241
; %bb.6037:                             ;   in Loop: Header=BB4_5561 Depth=3
	v_cmp_eq_u16_sdwa s74, v86, v118 src0_sel:BYTE_0 src1_sel:DWORD
	s_mov_b32 s16, -1
	s_and_saveexec_b32 s73, s74
; %bb.6038:                             ;   in Loop: Header=BB4_5561 Depth=3
	s_xor_b32 s16, exec_lo, -1
; %bb.6039:                             ;   in Loop: Header=BB4_5561 Depth=3
	s_or_b32 exec_lo, exec_lo, s73
	s_and_b32 s16, s16, exec_lo
	s_or_saveexec_b32 s23, s23
	v_mov_b32_e32 v78, 0x7f800001
	s_xor_b32 exec_lo, exec_lo, s23
	s_cbranch_execnz .LBB4_6242
.LBB4_6040:                             ;   in Loop: Header=BB4_5561 Depth=3
	s_or_b32 exec_lo, exec_lo, s23
	s_and_saveexec_b32 s23, s16
	s_cbranch_execz .LBB4_6042
.LBB4_6041:                             ;   in Loop: Header=BB4_5561 Depth=3
	v_and_b32_e32 v78, 7, v86
	v_lshrrev_b16 v92, 3, v86
	v_lshlrev_b32_e32 v105, 24, v86
	v_ffbh_u32_e32 v89, v78
	v_and_b32_e32 v92, 15, v92
	v_min_u32_e32 v89, 32, v89
	v_cmp_eq_u32_e32 vcc_lo, 0, v92
	v_subrev_nc_u32_e32 v95, 28, v89
	v_sub_nc_u32_e32 v89, 29, v89
	v_lshlrev_b32_e32 v95, v95, v86
	v_cndmask_b32_e32 v89, v92, v89, vcc_lo
	v_and_b32_e32 v92, 0x80000000, v105
	v_and_b32_e32 v95, 7, v95
	v_lshl_add_u32 v89, v89, 23, 0x3b800000
	v_cndmask_b32_e32 v78, v78, v95, vcc_lo
	v_lshlrev_b32_e32 v78, 20, v78
	v_or3_b32 v78, v92, v89, v78
.LBB4_6042:                             ;   in Loop: Header=BB4_5561 Depth=3
	s_or_b32 exec_lo, exec_lo, s23
	v_max_f32_e32 v78, v78, v78
	v_max_f32_e32 v98, v98, v98
	s_mov_b32 s16, 0
	v_max_f32_e32 v98, v98, v78
.LBB4_6043:                             ;   in Loop: Header=BB4_5561 Depth=3
	s_and_b32 vcc_lo, exec_lo, s16
	s_cbranch_vccz .LBB4_6057
; %bb.6044:                             ;   in Loop: Header=BB4_5561 Depth=3
	v_cmp_gt_i16_sdwa s23, v87, v117 src0_sel:BYTE_0 src1_sel:DWORD
	s_mov_b32 s16, 0
	s_and_saveexec_b32 s73, s23
	s_xor_b32 s23, exec_lo, s73
	s_cbranch_execz .LBB4_6243
; %bb.6045:                             ;   in Loop: Header=BB4_5561 Depth=3
	v_cmp_eq_u16_sdwa s74, v87, v118 src0_sel:BYTE_0 src1_sel:DWORD
	s_mov_b32 s16, -1
	s_and_saveexec_b32 s73, s74
; %bb.6046:                             ;   in Loop: Header=BB4_5561 Depth=3
	s_xor_b32 s16, exec_lo, -1
; %bb.6047:                             ;   in Loop: Header=BB4_5561 Depth=3
	s_or_b32 exec_lo, exec_lo, s73
	s_and_b32 s16, s16, exec_lo
	s_or_saveexec_b32 s23, s23
	v_mov_b32_e32 v98, 0x7f800001
	s_xor_b32 exec_lo, exec_lo, s23
	s_cbranch_execnz .LBB4_6244
.LBB4_6048:                             ;   in Loop: Header=BB4_5561 Depth=3
	s_or_b32 exec_lo, exec_lo, s23
	s_and_saveexec_b32 s23, s16
	s_cbranch_execz .LBB4_6050
.LBB4_6049:                             ;   in Loop: Header=BB4_5561 Depth=3
	v_and_b32_e32 v98, 7, v87
	v_lshrrev_b16 v89, 3, v87
	v_ffbh_u32_e32 v78, v98
	v_and_b32_e32 v89, 15, v89
	v_min_u32_e32 v78, 32, v78
	v_cmp_eq_u32_e32 vcc_lo, 0, v89
	v_subrev_nc_u32_e32 v92, 28, v78
	v_sub_nc_u32_e32 v78, 29, v78
	v_lshlrev_b32_e32 v92, v92, v87
	v_lshlrev_b32_e32 v87, 24, v87
	v_cndmask_b32_e32 v78, v89, v78, vcc_lo
	v_and_b32_e32 v92, 7, v92
	v_and_b32_e32 v87, 0x80000000, v87
	v_lshl_add_u32 v78, v78, 23, 0x3b800000
	v_cndmask_b32_e32 v98, v98, v92, vcc_lo
	v_lshlrev_b32_e32 v98, 20, v98
	v_or3_b32 v98, v87, v78, v98
.LBB4_6050:                             ;   in Loop: Header=BB4_5561 Depth=3
	s_or_b32 exec_lo, exec_lo, s23
	s_waitcnt vmcnt(2) lgkmcnt(2)
	v_cmp_gt_i16_sdwa s23, v86, v117 src0_sel:BYTE_0 src1_sel:DWORD
	s_mov_b32 s16, 0
	s_and_saveexec_b32 s73, s23
	s_xor_b32 s23, exec_lo, s73
	s_cbranch_execz .LBB4_6245
; %bb.6051:                             ;   in Loop: Header=BB4_5561 Depth=3
	v_cmp_eq_u16_sdwa s74, v86, v118 src0_sel:BYTE_0 src1_sel:DWORD
	s_mov_b32 s16, -1
	s_and_saveexec_b32 s73, s74
; %bb.6052:                             ;   in Loop: Header=BB4_5561 Depth=3
	s_xor_b32 s16, exec_lo, -1
; %bb.6053:                             ;   in Loop: Header=BB4_5561 Depth=3
	s_or_b32 exec_lo, exec_lo, s73
	s_and_b32 s16, s16, exec_lo
	s_or_saveexec_b32 s23, s23
	v_mov_b32_e32 v87, 0x7f800001
	s_xor_b32 exec_lo, exec_lo, s23
	s_cbranch_execnz .LBB4_6246
.LBB4_6054:                             ;   in Loop: Header=BB4_5561 Depth=3
	s_or_b32 exec_lo, exec_lo, s23
	s_and_saveexec_b32 s23, s16
	s_cbranch_execz .LBB4_6056
.LBB4_6055:                             ;   in Loop: Header=BB4_5561 Depth=3
	v_and_b32_e32 v87, 7, v86
	v_lshrrev_b16 v89, 3, v86
	v_ffbh_u32_e32 v78, v87
	v_and_b32_e32 v89, 15, v89
	v_min_u32_e32 v78, 32, v78
	v_cmp_eq_u32_e32 vcc_lo, 0, v89
	v_subrev_nc_u32_e32 v92, 28, v78
	v_sub_nc_u32_e32 v78, 29, v78
	v_lshlrev_b32_e32 v92, v92, v86
	v_lshlrev_b32_e32 v86, 24, v86
	v_cndmask_b32_e32 v78, v89, v78, vcc_lo
	v_and_b32_e32 v92, 7, v92
	v_and_b32_e32 v86, 0x80000000, v86
	v_lshl_add_u32 v78, v78, 23, 0x3b800000
	v_cndmask_b32_e32 v87, v87, v92, vcc_lo
	v_lshlrev_b32_e32 v87, 20, v87
	v_or3_b32 v87, v86, v78, v87
.LBB4_6056:                             ;   in Loop: Header=BB4_5561 Depth=3
	s_or_b32 exec_lo, exec_lo, s23
	v_max_f32_e32 v86, v87, v87
	v_max_f32_e32 v87, v98, v98
	v_min_f32_e32 v98, v87, v86
.LBB4_6057:                             ;   in Loop: Header=BB4_5561 Depth=3
	s_waitcnt vmcnt(2) lgkmcnt(2)
	v_and_b32_e32 v86, 0x7f800000, v98
	v_cmp_ne_u32_e32 vcc_lo, 0x7f800000, v86
	v_mov_b32_e32 v86, 0x80
	s_and_saveexec_b32 s23, vcc_lo
	s_cbranch_execz .LBB4_6065
; %bb.6058:                             ;   in Loop: Header=BB4_5561 Depth=3
	v_mov_b32_e32 v86, 0
	s_mov_b32 s73, exec_lo
	v_cmpx_ne_u32_e32 0, v98
	s_cbranch_execz .LBB4_6064
; %bb.6059:                             ;   in Loop: Header=BB4_5561 Depth=3
	v_bfe_u32 v86, v98, 23, 8
	v_and_b32_e32 v87, 0x7fffff, v98
	v_sub_nc_u32_e32 v78, 0x78, v86
	v_cmp_gt_u32_e32 vcc_lo, 0x79, v86
	v_or_b32_e32 v89, 0x800000, v87
	v_cndmask_b32_e32 v78, 0, v78, vcc_lo
	v_cmp_eq_u32_e32 vcc_lo, 0, v86
	v_add_nc_u32_e32 v86, 0xffffff89, v86
	v_cndmask_b32_e64 v78, v78, 0x77, vcc_lo
	v_cndmask_b32_e32 v87, v89, v87, vcc_lo
	v_cndmask_b32_e64 v86, v86, 0xffffff8a, vcc_lo
	v_lshl_add_u32 v89, 0x100000, v78, -1
	v_lshrrev_b32_e32 v92, v78, v87
	v_lshlrev_b32_e64 v105, v78, 0x80000
	v_add_nc_u32_e32 v78, v78, v86
	v_and_b32_e32 v87, v89, v87
	v_bfe_u32 v95, v92, 20, 1
	v_cmp_eq_u32_e64 s16, v87, v105
	v_add_nc_u32_e32 v89, -1, v95
	v_cndmask_b32_e64 v87, 0, v89, s16
	v_lshrrev_b32_e32 v89, 23, v92
	s_mov_b32 s16, exec_lo
	v_add_nc_u32_e32 v87, v87, v92
	v_xor_b32_e32 v89, 1, v89
	v_and_b32_e32 v86, 0xfffff, v87
	v_add_nc_u32_e32 v87, v86, v92
                                        ; implicit-def: $vgpr86
	v_cmpx_ne_u32_e64 v78, v89
	s_xor_b32 s16, exec_lo, s16
; %bb.6060:                             ;   in Loop: Header=BB4_5561 Depth=3
	v_cmp_lt_u32_e32 vcc_lo, 0xffffff, v87
	v_sub_nc_u32_e32 v86, v78, v89
	v_cndmask_b32_e64 v78, 0, 1, vcc_lo
	v_add_co_ci_u32_e64 v86, null, 0, v86, vcc_lo
	v_lshrrev_b32_e32 v87, v78, v87
; %bb.6061:                             ;   in Loop: Header=BB4_5561 Depth=3
	s_andn2_saveexec_b32 s16, s16
; %bb.6062:                             ;   in Loop: Header=BB4_5561 Depth=3
	v_bfe_u32 v86, v87, 23, 1
; %bb.6063:                             ;   in Loop: Header=BB4_5561 Depth=3
	s_or_b32 exec_lo, exec_lo, s16
	v_lshrrev_b32_e32 v87, 20, v87
	v_cmp_gt_i32_e32 vcc_lo, 16, v86
	v_min_i32_e32 v78, 15, v86
	v_and_b32_sdwa v98, v98, v118 dst_sel:DWORD dst_unused:UNUSED_PAD src0_sel:BYTE_3 src1_sel:DWORD
	v_cndmask_b32_e32 v87, 7, v87, vcc_lo
	v_lshlrev_b32_e32 v78, 3, v78
	v_and_b32_e32 v89, 7, v87
	v_or_b32_e32 v86, v86, v87
	v_or3_b32 v87, v78, v98, v89
	v_cmp_ne_u32_e32 vcc_lo, 0, v86
	v_cndmask_b32_e32 v86, 0, v87, vcc_lo
.LBB4_6064:                             ;   in Loop: Header=BB4_5561 Depth=3
	s_or_b32 exec_lo, exec_lo, s73
.LBB4_6065:                             ;   in Loop: Header=BB4_5561 Depth=3
	s_or_b32 exec_lo, exec_lo, s23
	v_cmp_gt_i16_sdwa s23, v84, v117 src0_sel:BYTE_0 src1_sel:DWORD
	s_andn2_b32 vcc_lo, exec_lo, s19
	s_mov_b32 s16, -1
                                        ; implicit-def: $vgpr87
	s_cbranch_vccnz .LBB4_6079
; %bb.6066:                             ;   in Loop: Header=BB4_5561 Depth=3
	s_mov_b32 s16, 0
	s_and_saveexec_b32 s73, s23
	s_xor_b32 s23, exec_lo, s73
	s_cbranch_execz .LBB4_6247
; %bb.6067:                             ;   in Loop: Header=BB4_5561 Depth=3
	v_cmp_eq_u16_sdwa s74, v84, v118 src0_sel:BYTE_0 src1_sel:DWORD
	s_mov_b32 s16, -1
	s_and_saveexec_b32 s73, s74
; %bb.6068:                             ;   in Loop: Header=BB4_5561 Depth=3
	s_xor_b32 s16, exec_lo, -1
; %bb.6069:                             ;   in Loop: Header=BB4_5561 Depth=3
	s_or_b32 exec_lo, exec_lo, s73
	s_and_b32 s16, s16, exec_lo
	s_or_saveexec_b32 s23, s23
	v_mov_b32_e32 v87, 0x7f800001
	s_xor_b32 exec_lo, exec_lo, s23
	s_cbranch_execnz .LBB4_6248
.LBB4_6070:                             ;   in Loop: Header=BB4_5561 Depth=3
	s_or_b32 exec_lo, exec_lo, s23
	s_and_saveexec_b32 s23, s16
	s_cbranch_execz .LBB4_6072
.LBB4_6071:                             ;   in Loop: Header=BB4_5561 Depth=3
	v_and_b32_e32 v87, 7, v84
	v_lshrrev_b16 v78, 3, v84
	v_lshlrev_b32_e32 v92, 24, v84
	v_ffbh_u32_e32 v98, v87
	v_and_b32_e32 v78, 15, v78
	v_min_u32_e32 v98, 32, v98
	v_cmp_eq_u32_e32 vcc_lo, 0, v78
	v_subrev_nc_u32_e32 v89, 28, v98
	v_sub_nc_u32_e32 v98, 29, v98
	v_lshlrev_b32_e32 v89, v89, v84
	v_cndmask_b32_e32 v98, v78, v98, vcc_lo
	v_and_b32_e32 v78, 0x80000000, v92
	v_and_b32_e32 v89, 7, v89
	v_lshl_add_u32 v98, v98, 23, 0x3b800000
	v_cndmask_b32_e32 v87, v87, v89, vcc_lo
	v_lshlrev_b32_e32 v87, 20, v87
	v_or3_b32 v87, v78, v98, v87
.LBB4_6072:                             ;   in Loop: Header=BB4_5561 Depth=3
	s_or_b32 exec_lo, exec_lo, s23
	s_waitcnt vmcnt(1) lgkmcnt(1)
	v_cmp_gt_i16_sdwa s23, v83, v117 src0_sel:BYTE_0 src1_sel:DWORD
	s_mov_b32 s16, 0
	s_and_saveexec_b32 s73, s23
	s_xor_b32 s23, exec_lo, s73
	s_cbranch_execz .LBB4_6249
; %bb.6073:                             ;   in Loop: Header=BB4_5561 Depth=3
	v_cmp_eq_u16_sdwa s74, v83, v118 src0_sel:BYTE_0 src1_sel:DWORD
	s_mov_b32 s16, -1
	s_and_saveexec_b32 s73, s74
; %bb.6074:                             ;   in Loop: Header=BB4_5561 Depth=3
	s_xor_b32 s16, exec_lo, -1
; %bb.6075:                             ;   in Loop: Header=BB4_5561 Depth=3
	s_or_b32 exec_lo, exec_lo, s73
	s_and_b32 s16, s16, exec_lo
	s_or_saveexec_b32 s23, s23
	v_mov_b32_e32 v98, 0x7f800001
	s_xor_b32 exec_lo, exec_lo, s23
	s_cbranch_execnz .LBB4_6250
.LBB4_6076:                             ;   in Loop: Header=BB4_5561 Depth=3
	s_or_b32 exec_lo, exec_lo, s23
	s_and_saveexec_b32 s23, s16
	s_cbranch_execz .LBB4_6078
.LBB4_6077:                             ;   in Loop: Header=BB4_5561 Depth=3
	v_and_b32_e32 v98, 7, v83
	v_lshrrev_b16 v89, 3, v83
	v_lshlrev_b32_e32 v95, 24, v83
	v_ffbh_u32_e32 v78, v98
	v_and_b32_e32 v89, 15, v89
	v_min_u32_e32 v78, 32, v78
	v_cmp_eq_u32_e32 vcc_lo, 0, v89
	v_subrev_nc_u32_e32 v92, 28, v78
	v_sub_nc_u32_e32 v78, 29, v78
	v_lshlrev_b32_e32 v92, v92, v83
	v_cndmask_b32_e32 v78, v89, v78, vcc_lo
	v_and_b32_e32 v89, 0x80000000, v95
	v_and_b32_e32 v92, 7, v92
	v_lshl_add_u32 v78, v78, 23, 0x3b800000
	v_cndmask_b32_e32 v98, v98, v92, vcc_lo
	v_lshlrev_b32_e32 v98, 20, v98
	v_or3_b32 v98, v89, v78, v98
.LBB4_6078:                             ;   in Loop: Header=BB4_5561 Depth=3
	s_or_b32 exec_lo, exec_lo, s23
	v_max_f32_e32 v98, v98, v98
	v_max_f32_e32 v87, v87, v87
	s_mov_b32 s16, 0
	v_max_f32_e32 v87, v87, v98
.LBB4_6079:                             ;   in Loop: Header=BB4_5561 Depth=3
	s_and_b32 vcc_lo, exec_lo, s16
	s_cbranch_vccz .LBB4_6093
; %bb.6080:                             ;   in Loop: Header=BB4_5561 Depth=3
	v_cmp_gt_i16_sdwa s23, v84, v117 src0_sel:BYTE_0 src1_sel:DWORD
	s_mov_b32 s16, 0
	s_and_saveexec_b32 s73, s23
	s_xor_b32 s23, exec_lo, s73
	s_cbranch_execz .LBB4_6251
; %bb.6081:                             ;   in Loop: Header=BB4_5561 Depth=3
	v_cmp_eq_u16_sdwa s74, v84, v118 src0_sel:BYTE_0 src1_sel:DWORD
	s_mov_b32 s16, -1
	s_and_saveexec_b32 s73, s74
; %bb.6082:                             ;   in Loop: Header=BB4_5561 Depth=3
	s_xor_b32 s16, exec_lo, -1
; %bb.6083:                             ;   in Loop: Header=BB4_5561 Depth=3
	s_or_b32 exec_lo, exec_lo, s73
	s_and_b32 s16, s16, exec_lo
	s_or_saveexec_b32 s23, s23
	v_mov_b32_e32 v87, 0x7f800001
	s_xor_b32 exec_lo, exec_lo, s23
	s_cbranch_execnz .LBB4_6252
.LBB4_6084:                             ;   in Loop: Header=BB4_5561 Depth=3
	s_or_b32 exec_lo, exec_lo, s23
	s_and_saveexec_b32 s23, s16
	s_cbranch_execz .LBB4_6086
.LBB4_6085:                             ;   in Loop: Header=BB4_5561 Depth=3
	v_and_b32_e32 v87, 7, v84
	v_lshrrev_b16 v78, 3, v84
	v_ffbh_u32_e32 v98, v87
	v_and_b32_e32 v78, 15, v78
	v_min_u32_e32 v98, 32, v98
	v_cmp_eq_u32_e32 vcc_lo, 0, v78
	v_subrev_nc_u32_e32 v89, 28, v98
	v_sub_nc_u32_e32 v98, 29, v98
	v_lshlrev_b32_e32 v89, v89, v84
	v_lshlrev_b32_e32 v84, 24, v84
	v_cndmask_b32_e32 v98, v78, v98, vcc_lo
	v_and_b32_e32 v89, 7, v89
	v_and_b32_e32 v84, 0x80000000, v84
	v_lshl_add_u32 v98, v98, 23, 0x3b800000
	v_cndmask_b32_e32 v87, v87, v89, vcc_lo
	v_lshlrev_b32_e32 v87, 20, v87
	v_or3_b32 v87, v84, v98, v87
.LBB4_6086:                             ;   in Loop: Header=BB4_5561 Depth=3
	s_or_b32 exec_lo, exec_lo, s23
	s_waitcnt vmcnt(1) lgkmcnt(1)
	v_cmp_gt_i16_sdwa s23, v83, v117 src0_sel:BYTE_0 src1_sel:DWORD
	s_mov_b32 s16, 0
	s_and_saveexec_b32 s73, s23
	s_xor_b32 s23, exec_lo, s73
	s_cbranch_execz .LBB4_6253
; %bb.6087:                             ;   in Loop: Header=BB4_5561 Depth=3
	v_cmp_eq_u16_sdwa s74, v83, v118 src0_sel:BYTE_0 src1_sel:DWORD
	s_mov_b32 s16, -1
	s_and_saveexec_b32 s73, s74
; %bb.6088:                             ;   in Loop: Header=BB4_5561 Depth=3
	s_xor_b32 s16, exec_lo, -1
; %bb.6089:                             ;   in Loop: Header=BB4_5561 Depth=3
	s_or_b32 exec_lo, exec_lo, s73
	s_and_b32 s16, s16, exec_lo
	s_or_saveexec_b32 s23, s23
	v_mov_b32_e32 v84, 0x7f800001
	s_xor_b32 exec_lo, exec_lo, s23
	s_cbranch_execnz .LBB4_6254
.LBB4_6090:                             ;   in Loop: Header=BB4_5561 Depth=3
	s_or_b32 exec_lo, exec_lo, s23
	s_and_saveexec_b32 s23, s16
	s_cbranch_execz .LBB4_6092
.LBB4_6091:                             ;   in Loop: Header=BB4_5561 Depth=3
	v_and_b32_e32 v84, 7, v83
	v_lshrrev_b16 v78, 3, v83
	v_ffbh_u32_e32 v98, v84
	v_and_b32_e32 v78, 15, v78
	v_min_u32_e32 v98, 32, v98
	v_cmp_eq_u32_e32 vcc_lo, 0, v78
	v_subrev_nc_u32_e32 v89, 28, v98
	v_sub_nc_u32_e32 v98, 29, v98
	v_lshlrev_b32_e32 v89, v89, v83
	v_lshlrev_b32_e32 v83, 24, v83
	v_cndmask_b32_e32 v98, v78, v98, vcc_lo
	v_and_b32_e32 v89, 7, v89
	v_and_b32_e32 v83, 0x80000000, v83
	v_lshl_add_u32 v98, v98, 23, 0x3b800000
	v_cndmask_b32_e32 v84, v84, v89, vcc_lo
	v_lshlrev_b32_e32 v84, 20, v84
	v_or3_b32 v84, v83, v98, v84
.LBB4_6092:                             ;   in Loop: Header=BB4_5561 Depth=3
	s_or_b32 exec_lo, exec_lo, s23
	v_max_f32_e32 v83, v84, v84
	v_max_f32_e32 v84, v87, v87
	v_min_f32_e32 v87, v84, v83
.LBB4_6093:                             ;   in Loop: Header=BB4_5561 Depth=3
	s_waitcnt vmcnt(1) lgkmcnt(1)
	v_and_b32_e32 v83, 0x7f800000, v87
	v_cmp_ne_u32_e32 vcc_lo, 0x7f800000, v83
	v_mov_b32_e32 v83, 0x80
	s_and_saveexec_b32 s23, vcc_lo
	s_cbranch_execz .LBB4_6101
; %bb.6094:                             ;   in Loop: Header=BB4_5561 Depth=3
	v_mov_b32_e32 v83, 0
	s_mov_b32 s73, exec_lo
	v_cmpx_ne_u32_e32 0, v87
	s_cbranch_execz .LBB4_6100
; %bb.6095:                             ;   in Loop: Header=BB4_5561 Depth=3
	v_bfe_u32 v83, v87, 23, 8
	v_and_b32_e32 v84, 0x7fffff, v87
	v_sub_nc_u32_e32 v98, 0x78, v83
	v_cmp_gt_u32_e32 vcc_lo, 0x79, v83
	v_or_b32_e32 v78, 0x800000, v84
	v_cndmask_b32_e32 v98, 0, v98, vcc_lo
	v_cmp_eq_u32_e32 vcc_lo, 0, v83
	v_add_nc_u32_e32 v83, 0xffffff89, v83
	v_cndmask_b32_e64 v98, v98, 0x77, vcc_lo
	v_cndmask_b32_e32 v84, v78, v84, vcc_lo
	v_cndmask_b32_e64 v83, v83, 0xffffff8a, vcc_lo
	v_lshl_add_u32 v78, 0x100000, v98, -1
	v_lshrrev_b32_e32 v89, v98, v84
	v_lshlrev_b32_e64 v95, v98, 0x80000
	v_add_nc_u32_e32 v98, v98, v83
	v_and_b32_e32 v84, v78, v84
	v_bfe_u32 v92, v89, 20, 1
	v_cmp_eq_u32_e64 s16, v84, v95
	v_add_nc_u32_e32 v78, -1, v92
	v_cndmask_b32_e64 v84, 0, v78, s16
	v_lshrrev_b32_e32 v78, 23, v89
	s_mov_b32 s16, exec_lo
	v_add_nc_u32_e32 v84, v84, v89
	v_xor_b32_e32 v78, 1, v78
	v_and_b32_e32 v83, 0xfffff, v84
	v_add_nc_u32_e32 v84, v83, v89
                                        ; implicit-def: $vgpr83
	v_cmpx_ne_u32_e64 v98, v78
	s_xor_b32 s16, exec_lo, s16
; %bb.6096:                             ;   in Loop: Header=BB4_5561 Depth=3
	v_cmp_lt_u32_e32 vcc_lo, 0xffffff, v84
	v_sub_nc_u32_e32 v83, v98, v78
	v_cndmask_b32_e64 v98, 0, 1, vcc_lo
	v_add_co_ci_u32_e64 v83, null, 0, v83, vcc_lo
	v_lshrrev_b32_e32 v84, v98, v84
; %bb.6097:                             ;   in Loop: Header=BB4_5561 Depth=3
	s_andn2_saveexec_b32 s16, s16
; %bb.6098:                             ;   in Loop: Header=BB4_5561 Depth=3
	v_bfe_u32 v83, v84, 23, 1
; %bb.6099:                             ;   in Loop: Header=BB4_5561 Depth=3
	s_or_b32 exec_lo, exec_lo, s16
	v_lshrrev_b32_e32 v84, 20, v84
	v_cmp_gt_i32_e32 vcc_lo, 16, v83
	v_min_i32_e32 v98, 15, v83
	v_and_b32_sdwa v87, v87, v118 dst_sel:DWORD dst_unused:UNUSED_PAD src0_sel:BYTE_3 src1_sel:DWORD
	v_cndmask_b32_e32 v84, 7, v84, vcc_lo
	v_lshlrev_b32_e32 v98, 3, v98
	v_and_b32_e32 v78, 7, v84
	v_or_b32_e32 v83, v83, v84
	v_or3_b32 v84, v98, v87, v78
	v_cmp_ne_u32_e32 vcc_lo, 0, v83
	v_cndmask_b32_e32 v83, 0, v84, vcc_lo
.LBB4_6100:                             ;   in Loop: Header=BB4_5561 Depth=3
	s_or_b32 exec_lo, exec_lo, s73
.LBB4_6101:                             ;   in Loop: Header=BB4_5561 Depth=3
	s_or_b32 exec_lo, exec_lo, s23
	v_cmp_gt_i16_sdwa s23, v23, v117 src0_sel:BYTE_0 src1_sel:DWORD
	s_andn2_b32 vcc_lo, exec_lo, s19
	s_mov_b32 s16, -1
                                        ; implicit-def: $vgpr84
	s_cbranch_vccnz .LBB4_6115
; %bb.6102:                             ;   in Loop: Header=BB4_5561 Depth=3
	s_mov_b32 s16, 0
	s_and_saveexec_b32 s73, s23
	s_xor_b32 s23, exec_lo, s73
	s_cbranch_execz .LBB4_6255
; %bb.6103:                             ;   in Loop: Header=BB4_5561 Depth=3
	v_cmp_eq_u16_sdwa s74, v23, v118 src0_sel:BYTE_0 src1_sel:DWORD
	s_mov_b32 s16, -1
	s_and_saveexec_b32 s73, s74
; %bb.6104:                             ;   in Loop: Header=BB4_5561 Depth=3
	s_xor_b32 s16, exec_lo, -1
; %bb.6105:                             ;   in Loop: Header=BB4_5561 Depth=3
	s_or_b32 exec_lo, exec_lo, s73
	s_and_b32 s16, s16, exec_lo
	s_or_saveexec_b32 s23, s23
	v_mov_b32_e32 v84, 0x7f800001
	s_xor_b32 exec_lo, exec_lo, s23
	s_cbranch_execnz .LBB4_6256
.LBB4_6106:                             ;   in Loop: Header=BB4_5561 Depth=3
	s_or_b32 exec_lo, exec_lo, s23
	s_and_saveexec_b32 s23, s16
	s_cbranch_execz .LBB4_6108
.LBB4_6107:                             ;   in Loop: Header=BB4_5561 Depth=3
	v_and_b32_e32 v84, 7, v23
	v_lshrrev_b16 v98, 3, v23
	v_lshlrev_b32_e32 v89, 24, v23
	v_ffbh_u32_e32 v87, v84
	v_and_b32_e32 v98, 15, v98
	v_min_u32_e32 v87, 32, v87
	v_cmp_eq_u32_e32 vcc_lo, 0, v98
	v_subrev_nc_u32_e32 v78, 28, v87
	v_sub_nc_u32_e32 v87, 29, v87
	v_lshlrev_b32_e32 v78, v78, v23
	v_cndmask_b32_e32 v87, v98, v87, vcc_lo
	v_and_b32_e32 v98, 0x80000000, v89
	v_and_b32_e32 v78, 7, v78
	v_lshl_add_u32 v87, v87, 23, 0x3b800000
	v_cndmask_b32_e32 v84, v84, v78, vcc_lo
	v_lshlrev_b32_e32 v84, 20, v84
	v_or3_b32 v84, v98, v87, v84
.LBB4_6108:                             ;   in Loop: Header=BB4_5561 Depth=3
	s_or_b32 exec_lo, exec_lo, s23
	s_waitcnt vmcnt(0) lgkmcnt(0)
	v_cmp_gt_i16_sdwa s23, v22, v117 src0_sel:BYTE_0 src1_sel:DWORD
	s_mov_b32 s16, 0
	s_and_saveexec_b32 s73, s23
	s_xor_b32 s23, exec_lo, s73
	s_cbranch_execz .LBB4_6257
; %bb.6109:                             ;   in Loop: Header=BB4_5561 Depth=3
	v_cmp_eq_u16_sdwa s74, v22, v118 src0_sel:BYTE_0 src1_sel:DWORD
	s_mov_b32 s16, -1
	s_and_saveexec_b32 s73, s74
; %bb.6110:                             ;   in Loop: Header=BB4_5561 Depth=3
	s_xor_b32 s16, exec_lo, -1
; %bb.6111:                             ;   in Loop: Header=BB4_5561 Depth=3
	s_or_b32 exec_lo, exec_lo, s73
	s_and_b32 s16, s16, exec_lo
	s_or_saveexec_b32 s23, s23
	v_mov_b32_e32 v87, 0x7f800001
	s_xor_b32 exec_lo, exec_lo, s23
	s_cbranch_execnz .LBB4_6258
.LBB4_6112:                             ;   in Loop: Header=BB4_5561 Depth=3
	s_or_b32 exec_lo, exec_lo, s23
	s_and_saveexec_b32 s23, s16
	s_cbranch_execz .LBB4_6114
.LBB4_6113:                             ;   in Loop: Header=BB4_5561 Depth=3
	v_and_b32_e32 v87, 7, v22
	v_lshrrev_b16 v78, 3, v22
	v_lshlrev_b32_e32 v92, 24, v22
	v_ffbh_u32_e32 v98, v87
	v_and_b32_e32 v78, 15, v78
	v_min_u32_e32 v98, 32, v98
	v_cmp_eq_u32_e32 vcc_lo, 0, v78
	v_subrev_nc_u32_e32 v89, 28, v98
	v_sub_nc_u32_e32 v98, 29, v98
	v_lshlrev_b32_e32 v89, v89, v22
	v_cndmask_b32_e32 v98, v78, v98, vcc_lo
	v_and_b32_e32 v78, 0x80000000, v92
	v_and_b32_e32 v89, 7, v89
	v_lshl_add_u32 v98, v98, 23, 0x3b800000
	v_cndmask_b32_e32 v87, v87, v89, vcc_lo
	v_lshlrev_b32_e32 v87, 20, v87
	v_or3_b32 v87, v78, v98, v87
.LBB4_6114:                             ;   in Loop: Header=BB4_5561 Depth=3
	s_or_b32 exec_lo, exec_lo, s23
	v_max_f32_e32 v87, v87, v87
	v_max_f32_e32 v84, v84, v84
	s_mov_b32 s16, 0
	v_max_f32_e32 v84, v84, v87
.LBB4_6115:                             ;   in Loop: Header=BB4_5561 Depth=3
	s_and_b32 vcc_lo, exec_lo, s16
	s_cbranch_vccz .LBB4_6129
; %bb.6116:                             ;   in Loop: Header=BB4_5561 Depth=3
	v_cmp_gt_i16_sdwa s23, v23, v117 src0_sel:BYTE_0 src1_sel:DWORD
	s_mov_b32 s16, 0
	s_and_saveexec_b32 s73, s23
	s_xor_b32 s23, exec_lo, s73
	s_cbranch_execz .LBB4_6259
; %bb.6117:                             ;   in Loop: Header=BB4_5561 Depth=3
	v_cmp_eq_u16_sdwa s74, v23, v118 src0_sel:BYTE_0 src1_sel:DWORD
	s_mov_b32 s16, -1
	s_and_saveexec_b32 s73, s74
; %bb.6118:                             ;   in Loop: Header=BB4_5561 Depth=3
	s_xor_b32 s16, exec_lo, -1
; %bb.6119:                             ;   in Loop: Header=BB4_5561 Depth=3
	s_or_b32 exec_lo, exec_lo, s73
	s_and_b32 s16, s16, exec_lo
	s_or_saveexec_b32 s23, s23
	v_mov_b32_e32 v84, 0x7f800001
	s_xor_b32 exec_lo, exec_lo, s23
	s_cbranch_execnz .LBB4_6260
.LBB4_6120:                             ;   in Loop: Header=BB4_5561 Depth=3
	s_or_b32 exec_lo, exec_lo, s23
	s_and_saveexec_b32 s23, s16
	s_cbranch_execz .LBB4_6122
.LBB4_6121:                             ;   in Loop: Header=BB4_5561 Depth=3
	v_and_b32_e32 v84, 7, v23
	v_lshrrev_b16 v98, 3, v23
	v_ffbh_u32_e32 v87, v84
	v_and_b32_e32 v98, 15, v98
	v_min_u32_e32 v87, 32, v87
	v_cmp_eq_u32_e32 vcc_lo, 0, v98
	v_subrev_nc_u32_e32 v78, 28, v87
	v_sub_nc_u32_e32 v87, 29, v87
	v_lshlrev_b32_e32 v78, v78, v23
	v_lshlrev_b32_e32 v23, 24, v23
	v_cndmask_b32_e32 v87, v98, v87, vcc_lo
	v_and_b32_e32 v78, 7, v78
	v_and_b32_e32 v23, 0x80000000, v23
	v_lshl_add_u32 v87, v87, 23, 0x3b800000
	v_cndmask_b32_e32 v84, v84, v78, vcc_lo
	v_lshlrev_b32_e32 v84, 20, v84
	v_or3_b32 v84, v23, v87, v84
.LBB4_6122:                             ;   in Loop: Header=BB4_5561 Depth=3
	s_or_b32 exec_lo, exec_lo, s23
	s_waitcnt vmcnt(0) lgkmcnt(0)
	v_cmp_gt_i16_sdwa s23, v22, v117 src0_sel:BYTE_0 src1_sel:DWORD
	s_mov_b32 s16, 0
	s_and_saveexec_b32 s73, s23
	s_xor_b32 s23, exec_lo, s73
	s_cbranch_execz .LBB4_6261
; %bb.6123:                             ;   in Loop: Header=BB4_5561 Depth=3
	v_cmp_eq_u16_sdwa s74, v22, v118 src0_sel:BYTE_0 src1_sel:DWORD
	s_mov_b32 s16, -1
	s_and_saveexec_b32 s73, s74
; %bb.6124:                             ;   in Loop: Header=BB4_5561 Depth=3
	s_xor_b32 s16, exec_lo, -1
; %bb.6125:                             ;   in Loop: Header=BB4_5561 Depth=3
	s_or_b32 exec_lo, exec_lo, s73
	s_and_b32 s16, s16, exec_lo
	s_or_saveexec_b32 s23, s23
	v_mov_b32_e32 v23, 0x7f800001
	s_xor_b32 exec_lo, exec_lo, s23
	s_cbranch_execnz .LBB4_6262
.LBB4_6126:                             ;   in Loop: Header=BB4_5561 Depth=3
	s_or_b32 exec_lo, exec_lo, s23
	s_and_saveexec_b32 s23, s16
	s_cbranch_execz .LBB4_6128
.LBB4_6127:                             ;   in Loop: Header=BB4_5561 Depth=3
	v_and_b32_e32 v23, 7, v22
	v_lshrrev_b16 v98, 3, v22
	v_ffbh_u32_e32 v87, v23
	v_and_b32_e32 v98, 15, v98
	v_min_u32_e32 v87, 32, v87
	v_cmp_eq_u32_e32 vcc_lo, 0, v98
	v_subrev_nc_u32_e32 v78, 28, v87
	v_sub_nc_u32_e32 v87, 29, v87
	v_lshlrev_b32_e32 v78, v78, v22
	v_lshlrev_b32_e32 v22, 24, v22
	v_cndmask_b32_e32 v87, v98, v87, vcc_lo
	v_and_b32_e32 v78, 7, v78
	v_and_b32_e32 v22, 0x80000000, v22
	v_lshl_add_u32 v87, v87, 23, 0x3b800000
	v_cndmask_b32_e32 v23, v23, v78, vcc_lo
	v_lshlrev_b32_e32 v23, 20, v23
	v_or3_b32 v23, v22, v87, v23
.LBB4_6128:                             ;   in Loop: Header=BB4_5561 Depth=3
	s_or_b32 exec_lo, exec_lo, s23
	v_max_f32_e32 v22, v23, v23
	v_max_f32_e32 v23, v84, v84
	v_min_f32_e32 v84, v23, v22
.LBB4_6129:                             ;   in Loop: Header=BB4_5561 Depth=3
	s_waitcnt vmcnt(0) lgkmcnt(0)
	v_and_b32_e32 v22, 0x7f800000, v84
	v_cmp_ne_u32_e32 vcc_lo, 0x7f800000, v22
	v_mov_b32_e32 v22, 0x80
	s_and_saveexec_b32 s23, vcc_lo
	s_cbranch_execz .LBB4_5560
; %bb.6130:                             ;   in Loop: Header=BB4_5561 Depth=3
	v_mov_b32_e32 v22, 0
	s_mov_b32 s73, exec_lo
	v_cmpx_ne_u32_e32 0, v84
	s_cbranch_execz .LBB4_5559
; %bb.6131:                             ;   in Loop: Header=BB4_5561 Depth=3
	v_bfe_u32 v22, v84, 23, 8
	v_and_b32_e32 v23, 0x7fffff, v84
	v_sub_nc_u32_e32 v87, 0x78, v22
	v_cmp_gt_u32_e32 vcc_lo, 0x79, v22
	v_or_b32_e32 v98, 0x800000, v23
	v_cndmask_b32_e32 v87, 0, v87, vcc_lo
	v_cmp_eq_u32_e32 vcc_lo, 0, v22
	v_add_nc_u32_e32 v22, 0xffffff89, v22
	v_cndmask_b32_e64 v87, v87, 0x77, vcc_lo
	v_cndmask_b32_e32 v23, v98, v23, vcc_lo
	v_cndmask_b32_e64 v22, v22, 0xffffff8a, vcc_lo
	v_lshl_add_u32 v98, 0x100000, v87, -1
	v_lshrrev_b32_e32 v78, v87, v23
	v_lshlrev_b32_e64 v92, v87, 0x80000
	v_add_nc_u32_e32 v87, v87, v22
	v_and_b32_e32 v23, v98, v23
	v_bfe_u32 v89, v78, 20, 1
	v_cmp_eq_u32_e64 s16, v23, v92
	v_add_nc_u32_e32 v98, -1, v89
	v_cndmask_b32_e64 v23, 0, v98, s16
	v_lshrrev_b32_e32 v98, 23, v78
	s_mov_b32 s16, exec_lo
	v_add_nc_u32_e32 v23, v23, v78
	v_xor_b32_e32 v98, 1, v98
	v_and_b32_e32 v22, 0xfffff, v23
	v_add_nc_u32_e32 v23, v22, v78
                                        ; implicit-def: $vgpr22
	v_cmpx_ne_u32_e64 v87, v98
	s_xor_b32 s16, exec_lo, s16
; %bb.6132:                             ;   in Loop: Header=BB4_5561 Depth=3
	v_cmp_lt_u32_e32 vcc_lo, 0xffffff, v23
	v_sub_nc_u32_e32 v22, v87, v98
	v_cndmask_b32_e64 v87, 0, 1, vcc_lo
	v_add_co_ci_u32_e64 v22, null, 0, v22, vcc_lo
	v_lshrrev_b32_e32 v23, v87, v23
; %bb.6133:                             ;   in Loop: Header=BB4_5561 Depth=3
	s_andn2_saveexec_b32 s16, s16
	s_cbranch_execz .LBB4_5558
; %bb.6134:                             ;   in Loop: Header=BB4_5561 Depth=3
	v_bfe_u32 v22, v23, 23, 1
	s_branch .LBB4_5558
.LBB4_6135:                             ;   in Loop: Header=BB4_5561 Depth=3
	s_or_saveexec_b32 s23, s23
	v_mov_b32_e32 v121, 0x7f800001
	s_xor_b32 exec_lo, exec_lo, s23
	s_cbranch_execz .LBB4_5566
.LBB4_6136:                             ;   in Loop: Header=BB4_5561 Depth=3
	v_cmp_ne_u16_sdwa s73, v120, v2 src0_sel:BYTE_0 src1_sel:DWORD
	v_mov_b32_e32 v121, 0
	s_andn2_b32 s16, s16, exec_lo
	s_and_b32 s73, s73, exec_lo
	s_or_b32 s16, s16, s73
	s_or_b32 exec_lo, exec_lo, s23
	s_and_saveexec_b32 s23, s16
	s_cbranch_execnz .LBB4_5567
	s_branch .LBB4_5568
.LBB4_6137:                             ;   in Loop: Header=BB4_5561 Depth=3
	s_or_saveexec_b32 s16, s16
	v_mov_b32_e32 v122, 0x7f800001
	s_xor_b32 exec_lo, exec_lo, s16
	s_cbranch_execz .LBB4_5572
.LBB4_6138:                             ;   in Loop: Header=BB4_5561 Depth=3
	v_cmp_ne_u16_sdwa s73, v82, v2 src0_sel:BYTE_0 src1_sel:DWORD
	v_mov_b32_e32 v122, 0
	s_andn2_b32 s23, s23, exec_lo
	s_and_b32 s73, s73, exec_lo
	s_or_b32 s23, s23, s73
	s_or_b32 exec_lo, exec_lo, s16
	s_and_saveexec_b32 s16, s23
	s_cbranch_execnz .LBB4_5573
	s_branch .LBB4_5574
.LBB4_6139:                             ;   in Loop: Header=BB4_5561 Depth=3
	s_or_saveexec_b32 s23, s23
	v_mov_b32_e32 v121, 0x7f800001
	s_xor_b32 exec_lo, exec_lo, s23
	s_cbranch_execz .LBB4_5580
.LBB4_6140:                             ;   in Loop: Header=BB4_5561 Depth=3
	v_cmp_ne_u16_sdwa s73, v120, v2 src0_sel:BYTE_0 src1_sel:DWORD
	v_mov_b32_e32 v121, 0
	s_andn2_b32 s16, s16, exec_lo
	s_and_b32 s73, s73, exec_lo
	s_or_b32 s16, s16, s73
	s_or_b32 exec_lo, exec_lo, s23
	s_and_saveexec_b32 s23, s16
	s_cbranch_execnz .LBB4_5581
	s_branch .LBB4_5582
.LBB4_6141:                             ;   in Loop: Header=BB4_5561 Depth=3
	s_or_saveexec_b32 s23, s23
	v_mov_b32_e32 v120, 0x7f800001
	s_xor_b32 exec_lo, exec_lo, s23
	s_cbranch_execz .LBB4_5586
.LBB4_6142:                             ;   in Loop: Header=BB4_5561 Depth=3
	v_cmp_ne_u16_sdwa s73, v82, v2 src0_sel:BYTE_0 src1_sel:DWORD
	v_mov_b32_e32 v120, 0
	s_andn2_b32 s16, s16, exec_lo
	s_and_b32 s73, s73, exec_lo
	s_or_b32 s16, s16, s73
	s_or_b32 exec_lo, exec_lo, s23
	s_and_saveexec_b32 s23, s16
	s_cbranch_execnz .LBB4_5587
	s_branch .LBB4_5588
.LBB4_6143:                             ;   in Loop: Header=BB4_5561 Depth=3
	s_or_saveexec_b32 s23, s23
	v_mov_b32_e32 v120, 0x7f800001
	s_xor_b32 exec_lo, exec_lo, s23
	s_cbranch_execz .LBB4_5602
.LBB4_6144:                             ;   in Loop: Header=BB4_5561 Depth=3
	v_cmp_ne_u16_sdwa s73, v111, v2 src0_sel:BYTE_0 src1_sel:DWORD
	v_mov_b32_e32 v120, 0
	s_andn2_b32 s16, s16, exec_lo
	s_and_b32 s73, s73, exec_lo
	s_or_b32 s16, s16, s73
	s_or_b32 exec_lo, exec_lo, s23
	s_and_saveexec_b32 s23, s16
	s_cbranch_execnz .LBB4_5603
	s_branch .LBB4_5604
.LBB4_6145:                             ;   in Loop: Header=BB4_5561 Depth=3
	s_or_saveexec_b32 s23, s23
	v_mov_b32_e32 v121, 0x7f800001
	s_xor_b32 exec_lo, exec_lo, s23
	s_cbranch_execz .LBB4_5608
.LBB4_6146:                             ;   in Loop: Header=BB4_5561 Depth=3
	v_cmp_ne_u16_sdwa s73, v85, v2 src0_sel:BYTE_0 src1_sel:DWORD
	v_mov_b32_e32 v121, 0
	s_andn2_b32 s16, s16, exec_lo
	s_and_b32 s73, s73, exec_lo
	s_or_b32 s16, s16, s73
	s_or_b32 exec_lo, exec_lo, s23
	s_and_saveexec_b32 s23, s16
	s_cbranch_execnz .LBB4_5609
	s_branch .LBB4_5610
.LBB4_6147:                             ;   in Loop: Header=BB4_5561 Depth=3
	s_or_saveexec_b32 s23, s23
	v_mov_b32_e32 v120, 0x7f800001
	s_xor_b32 exec_lo, exec_lo, s23
	s_cbranch_execz .LBB4_5616
.LBB4_6148:                             ;   in Loop: Header=BB4_5561 Depth=3
	v_cmp_ne_u16_sdwa s73, v111, v2 src0_sel:BYTE_0 src1_sel:DWORD
	v_mov_b32_e32 v120, 0
	s_andn2_b32 s16, s16, exec_lo
	s_and_b32 s73, s73, exec_lo
	s_or_b32 s16, s16, s73
	s_or_b32 exec_lo, exec_lo, s23
	s_and_saveexec_b32 s23, s16
	s_cbranch_execnz .LBB4_5617
	s_branch .LBB4_5618
.LBB4_6149:                             ;   in Loop: Header=BB4_5561 Depth=3
	s_or_saveexec_b32 s23, s23
	v_mov_b32_e32 v111, 0x7f800001
	s_xor_b32 exec_lo, exec_lo, s23
	s_cbranch_execz .LBB4_5622
.LBB4_6150:                             ;   in Loop: Header=BB4_5561 Depth=3
	v_cmp_ne_u16_sdwa s73, v85, v2 src0_sel:BYTE_0 src1_sel:DWORD
	v_mov_b32_e32 v111, 0
	s_andn2_b32 s16, s16, exec_lo
	s_and_b32 s73, s73, exec_lo
	s_or_b32 s16, s16, s73
	s_or_b32 exec_lo, exec_lo, s23
	s_and_saveexec_b32 s23, s16
	s_cbranch_execnz .LBB4_5623
	s_branch .LBB4_5624
.LBB4_6151:                             ;   in Loop: Header=BB4_5561 Depth=3
	s_or_saveexec_b32 s23, s23
	v_mov_b32_e32 v111, 0x7f800001
	s_xor_b32 exec_lo, exec_lo, s23
	s_cbranch_execz .LBB4_5638
.LBB4_6152:                             ;   in Loop: Header=BB4_5561 Depth=3
	v_cmp_ne_u16_sdwa s73, v110, v2 src0_sel:BYTE_0 src1_sel:DWORD
	v_mov_b32_e32 v111, 0
	s_andn2_b32 s16, s16, exec_lo
	s_and_b32 s73, s73, exec_lo
	s_or_b32 s16, s16, s73
	s_or_b32 exec_lo, exec_lo, s23
	s_and_saveexec_b32 s23, s16
	s_cbranch_execnz .LBB4_5639
	s_branch .LBB4_5640
.LBB4_6153:                             ;   in Loop: Header=BB4_5561 Depth=3
	s_or_saveexec_b32 s23, s23
	v_mov_b32_e32 v120, 0x7f800001
	s_xor_b32 exec_lo, exec_lo, s23
	s_cbranch_execz .LBB4_5644
.LBB4_6154:                             ;   in Loop: Header=BB4_5561 Depth=3
	v_cmp_ne_u16_sdwa s73, v96, v2 src0_sel:BYTE_0 src1_sel:DWORD
	v_mov_b32_e32 v120, 0
	s_andn2_b32 s16, s16, exec_lo
	s_and_b32 s73, s73, exec_lo
	s_or_b32 s16, s16, s73
	s_or_b32 exec_lo, exec_lo, s23
	s_and_saveexec_b32 s23, s16
	s_cbranch_execnz .LBB4_5645
	s_branch .LBB4_5646
.LBB4_6155:                             ;   in Loop: Header=BB4_5561 Depth=3
	s_or_saveexec_b32 s23, s23
	v_mov_b32_e32 v111, 0x7f800001
	s_xor_b32 exec_lo, exec_lo, s23
	s_cbranch_execz .LBB4_5652
.LBB4_6156:                             ;   in Loop: Header=BB4_5561 Depth=3
	v_cmp_ne_u16_sdwa s73, v110, v2 src0_sel:BYTE_0 src1_sel:DWORD
	v_mov_b32_e32 v111, 0
	s_andn2_b32 s16, s16, exec_lo
	s_and_b32 s73, s73, exec_lo
	s_or_b32 s16, s16, s73
	s_or_b32 exec_lo, exec_lo, s23
	s_and_saveexec_b32 s23, s16
	s_cbranch_execnz .LBB4_5653
	s_branch .LBB4_5654
.LBB4_6157:                             ;   in Loop: Header=BB4_5561 Depth=3
	s_or_saveexec_b32 s23, s23
	v_mov_b32_e32 v110, 0x7f800001
	s_xor_b32 exec_lo, exec_lo, s23
	s_cbranch_execz .LBB4_5658
.LBB4_6158:                             ;   in Loop: Header=BB4_5561 Depth=3
	v_cmp_ne_u16_sdwa s73, v96, v2 src0_sel:BYTE_0 src1_sel:DWORD
	v_mov_b32_e32 v110, 0
	s_andn2_b32 s16, s16, exec_lo
	s_and_b32 s73, s73, exec_lo
	s_or_b32 s16, s16, s73
	s_or_b32 exec_lo, exec_lo, s23
	s_and_saveexec_b32 s23, s16
	s_cbranch_execnz .LBB4_5659
	s_branch .LBB4_5660
.LBB4_6159:                             ;   in Loop: Header=BB4_5561 Depth=3
	s_or_saveexec_b32 s23, s23
	v_mov_b32_e32 v110, 0x7f800001
	s_xor_b32 exec_lo, exec_lo, s23
	s_cbranch_execz .LBB4_5674
.LBB4_6160:                             ;   in Loop: Header=BB4_5561 Depth=3
	v_cmp_ne_u16_sdwa s73, v109, v2 src0_sel:BYTE_0 src1_sel:DWORD
	v_mov_b32_e32 v110, 0
	s_andn2_b32 s16, s16, exec_lo
	s_and_b32 s73, s73, exec_lo
	s_or_b32 s16, s16, s73
	s_or_b32 exec_lo, exec_lo, s23
	s_and_saveexec_b32 s23, s16
	s_cbranch_execnz .LBB4_5675
	s_branch .LBB4_5676
.LBB4_6161:                             ;   in Loop: Header=BB4_5561 Depth=3
	s_or_saveexec_b32 s23, s23
	v_mov_b32_e32 v111, 0x7f800001
	s_xor_b32 exec_lo, exec_lo, s23
	s_cbranch_execz .LBB4_5680
.LBB4_6162:                             ;   in Loop: Header=BB4_5561 Depth=3
	v_cmp_ne_u16_sdwa s73, v99, v2 src0_sel:BYTE_0 src1_sel:DWORD
	v_mov_b32_e32 v111, 0
	s_andn2_b32 s16, s16, exec_lo
	s_and_b32 s73, s73, exec_lo
	s_or_b32 s16, s16, s73
	s_or_b32 exec_lo, exec_lo, s23
	s_and_saveexec_b32 s23, s16
	s_cbranch_execnz .LBB4_5681
	s_branch .LBB4_5682
.LBB4_6163:                             ;   in Loop: Header=BB4_5561 Depth=3
	s_or_saveexec_b32 s23, s23
	v_mov_b32_e32 v110, 0x7f800001
	s_xor_b32 exec_lo, exec_lo, s23
	s_cbranch_execz .LBB4_5688
.LBB4_6164:                             ;   in Loop: Header=BB4_5561 Depth=3
	v_cmp_ne_u16_sdwa s73, v109, v2 src0_sel:BYTE_0 src1_sel:DWORD
	v_mov_b32_e32 v110, 0
	s_andn2_b32 s16, s16, exec_lo
	s_and_b32 s73, s73, exec_lo
	s_or_b32 s16, s16, s73
	s_or_b32 exec_lo, exec_lo, s23
	s_and_saveexec_b32 s23, s16
	s_cbranch_execnz .LBB4_5689
	s_branch .LBB4_5690
.LBB4_6165:                             ;   in Loop: Header=BB4_5561 Depth=3
	s_or_saveexec_b32 s23, s23
	v_mov_b32_e32 v109, 0x7f800001
	s_xor_b32 exec_lo, exec_lo, s23
	s_cbranch_execz .LBB4_5694
.LBB4_6166:                             ;   in Loop: Header=BB4_5561 Depth=3
	v_cmp_ne_u16_sdwa s73, v99, v2 src0_sel:BYTE_0 src1_sel:DWORD
	v_mov_b32_e32 v109, 0
	s_andn2_b32 s16, s16, exec_lo
	s_and_b32 s73, s73, exec_lo
	s_or_b32 s16, s16, s73
	s_or_b32 exec_lo, exec_lo, s23
	s_and_saveexec_b32 s23, s16
	s_cbranch_execnz .LBB4_5695
	s_branch .LBB4_5696
.LBB4_6167:                             ;   in Loop: Header=BB4_5561 Depth=3
	s_or_saveexec_b32 s23, s23
	v_mov_b32_e32 v109, 0x7f800001
	s_xor_b32 exec_lo, exec_lo, s23
	s_cbranch_execz .LBB4_5710
.LBB4_6168:                             ;   in Loop: Header=BB4_5561 Depth=3
	v_cmp_ne_u16_sdwa s73, v108, v2 src0_sel:BYTE_0 src1_sel:DWORD
	v_mov_b32_e32 v109, 0
	s_andn2_b32 s16, s16, exec_lo
	s_and_b32 s73, s73, exec_lo
	s_or_b32 s16, s16, s73
	s_or_b32 exec_lo, exec_lo, s23
	s_and_saveexec_b32 s23, s16
	s_cbranch_execnz .LBB4_5711
	s_branch .LBB4_5712
.LBB4_6169:                             ;   in Loop: Header=BB4_5561 Depth=3
	s_or_saveexec_b32 s23, s23
	v_mov_b32_e32 v110, 0x7f800001
	s_xor_b32 exec_lo, exec_lo, s23
	s_cbranch_execz .LBB4_5716
.LBB4_6170:                             ;   in Loop: Header=BB4_5561 Depth=3
	v_cmp_ne_u16_sdwa s73, v79, v2 src0_sel:BYTE_0 src1_sel:DWORD
	v_mov_b32_e32 v110, 0
	s_andn2_b32 s16, s16, exec_lo
	s_and_b32 s73, s73, exec_lo
	s_or_b32 s16, s16, s73
	s_or_b32 exec_lo, exec_lo, s23
	s_and_saveexec_b32 s23, s16
	s_cbranch_execnz .LBB4_5717
	s_branch .LBB4_5718
.LBB4_6171:                             ;   in Loop: Header=BB4_5561 Depth=3
	s_or_saveexec_b32 s23, s23
	v_mov_b32_e32 v109, 0x7f800001
	s_xor_b32 exec_lo, exec_lo, s23
	s_cbranch_execz .LBB4_5724
.LBB4_6172:                             ;   in Loop: Header=BB4_5561 Depth=3
	v_cmp_ne_u16_sdwa s73, v108, v2 src0_sel:BYTE_0 src1_sel:DWORD
	v_mov_b32_e32 v109, 0
	s_andn2_b32 s16, s16, exec_lo
	s_and_b32 s73, s73, exec_lo
	s_or_b32 s16, s16, s73
	s_or_b32 exec_lo, exec_lo, s23
	s_and_saveexec_b32 s23, s16
	s_cbranch_execnz .LBB4_5725
	s_branch .LBB4_5726
.LBB4_6173:                             ;   in Loop: Header=BB4_5561 Depth=3
	s_or_saveexec_b32 s23, s23
	v_mov_b32_e32 v108, 0x7f800001
	s_xor_b32 exec_lo, exec_lo, s23
	s_cbranch_execz .LBB4_5730
.LBB4_6174:                             ;   in Loop: Header=BB4_5561 Depth=3
	v_cmp_ne_u16_sdwa s73, v79, v2 src0_sel:BYTE_0 src1_sel:DWORD
	v_mov_b32_e32 v108, 0
	s_andn2_b32 s16, s16, exec_lo
	s_and_b32 s73, s73, exec_lo
	s_or_b32 s16, s16, s73
	s_or_b32 exec_lo, exec_lo, s23
	s_and_saveexec_b32 s23, s16
	s_cbranch_execnz .LBB4_5731
	s_branch .LBB4_5732
.LBB4_6175:                             ;   in Loop: Header=BB4_5561 Depth=3
	s_or_saveexec_b32 s23, s23
	v_mov_b32_e32 v108, 0x7f800001
	s_xor_b32 exec_lo, exec_lo, s23
	s_cbranch_execz .LBB4_5746
.LBB4_6176:                             ;   in Loop: Header=BB4_5561 Depth=3
	v_cmp_ne_u16_sdwa s73, v107, v2 src0_sel:BYTE_0 src1_sel:DWORD
	v_mov_b32_e32 v108, 0
	s_andn2_b32 s16, s16, exec_lo
	s_and_b32 s73, s73, exec_lo
	s_or_b32 s16, s16, s73
	s_or_b32 exec_lo, exec_lo, s23
	s_and_saveexec_b32 s23, s16
	s_cbranch_execnz .LBB4_5747
	s_branch .LBB4_5748
.LBB4_6177:                             ;   in Loop: Header=BB4_5561 Depth=3
	s_or_saveexec_b32 s23, s23
	v_mov_b32_e32 v109, 0x7f800001
	s_xor_b32 exec_lo, exec_lo, s23
	s_cbranch_execz .LBB4_5752
.LBB4_6178:                             ;   in Loop: Header=BB4_5561 Depth=3
	v_cmp_ne_u16_sdwa s73, v90, v2 src0_sel:BYTE_0 src1_sel:DWORD
	v_mov_b32_e32 v109, 0
	s_andn2_b32 s16, s16, exec_lo
	s_and_b32 s73, s73, exec_lo
	s_or_b32 s16, s16, s73
	s_or_b32 exec_lo, exec_lo, s23
	s_and_saveexec_b32 s23, s16
	s_cbranch_execnz .LBB4_5753
	s_branch .LBB4_5754
.LBB4_6179:                             ;   in Loop: Header=BB4_5561 Depth=3
	s_or_saveexec_b32 s23, s23
	v_mov_b32_e32 v108, 0x7f800001
	s_xor_b32 exec_lo, exec_lo, s23
	s_cbranch_execz .LBB4_5760
.LBB4_6180:                             ;   in Loop: Header=BB4_5561 Depth=3
	v_cmp_ne_u16_sdwa s73, v107, v2 src0_sel:BYTE_0 src1_sel:DWORD
	v_mov_b32_e32 v108, 0
	s_andn2_b32 s16, s16, exec_lo
	s_and_b32 s73, s73, exec_lo
	s_or_b32 s16, s16, s73
	s_or_b32 exec_lo, exec_lo, s23
	s_and_saveexec_b32 s23, s16
	s_cbranch_execnz .LBB4_5761
	s_branch .LBB4_5762
.LBB4_6181:                             ;   in Loop: Header=BB4_5561 Depth=3
	s_or_saveexec_b32 s23, s23
	v_mov_b32_e32 v107, 0x7f800001
	s_xor_b32 exec_lo, exec_lo, s23
	s_cbranch_execz .LBB4_5766
.LBB4_6182:                             ;   in Loop: Header=BB4_5561 Depth=3
	v_cmp_ne_u16_sdwa s73, v90, v2 src0_sel:BYTE_0 src1_sel:DWORD
	v_mov_b32_e32 v107, 0
	s_andn2_b32 s16, s16, exec_lo
	s_and_b32 s73, s73, exec_lo
	s_or_b32 s16, s16, s73
	s_or_b32 exec_lo, exec_lo, s23
	s_and_saveexec_b32 s23, s16
	s_cbranch_execnz .LBB4_5767
	s_branch .LBB4_5768
.LBB4_6183:                             ;   in Loop: Header=BB4_5561 Depth=3
	s_or_saveexec_b32 s23, s23
	v_mov_b32_e32 v107, 0x7f800001
	s_xor_b32 exec_lo, exec_lo, s23
	s_cbranch_execz .LBB4_5782
.LBB4_6184:                             ;   in Loop: Header=BB4_5561 Depth=3
	v_cmp_ne_u16_sdwa s73, v106, v2 src0_sel:BYTE_0 src1_sel:DWORD
	v_mov_b32_e32 v107, 0
	s_andn2_b32 s16, s16, exec_lo
	s_and_b32 s73, s73, exec_lo
	s_or_b32 s16, s16, s73
	s_or_b32 exec_lo, exec_lo, s23
	s_and_saveexec_b32 s23, s16
	s_cbranch_execnz .LBB4_5783
	s_branch .LBB4_5784
.LBB4_6185:                             ;   in Loop: Header=BB4_5561 Depth=3
	s_or_saveexec_b32 s23, s23
	v_mov_b32_e32 v108, 0x7f800001
	s_xor_b32 exec_lo, exec_lo, s23
	s_cbranch_execz .LBB4_5788
.LBB4_6186:                             ;   in Loop: Header=BB4_5561 Depth=3
	v_cmp_ne_u16_sdwa s73, v93, v2 src0_sel:BYTE_0 src1_sel:DWORD
	v_mov_b32_e32 v108, 0
	s_andn2_b32 s16, s16, exec_lo
	s_and_b32 s73, s73, exec_lo
	s_or_b32 s16, s16, s73
	s_or_b32 exec_lo, exec_lo, s23
	s_and_saveexec_b32 s23, s16
	s_cbranch_execnz .LBB4_5789
	s_branch .LBB4_5790
.LBB4_6187:                             ;   in Loop: Header=BB4_5561 Depth=3
	s_or_saveexec_b32 s23, s23
	v_mov_b32_e32 v107, 0x7f800001
	s_xor_b32 exec_lo, exec_lo, s23
	s_cbranch_execz .LBB4_5796
.LBB4_6188:                             ;   in Loop: Header=BB4_5561 Depth=3
	v_cmp_ne_u16_sdwa s73, v106, v2 src0_sel:BYTE_0 src1_sel:DWORD
	v_mov_b32_e32 v107, 0
	s_andn2_b32 s16, s16, exec_lo
	s_and_b32 s73, s73, exec_lo
	s_or_b32 s16, s16, s73
	s_or_b32 exec_lo, exec_lo, s23
	s_and_saveexec_b32 s23, s16
	s_cbranch_execnz .LBB4_5797
	s_branch .LBB4_5798
.LBB4_6189:                             ;   in Loop: Header=BB4_5561 Depth=3
	s_or_saveexec_b32 s23, s23
	v_mov_b32_e32 v106, 0x7f800001
	s_xor_b32 exec_lo, exec_lo, s23
	s_cbranch_execz .LBB4_5802
.LBB4_6190:                             ;   in Loop: Header=BB4_5561 Depth=3
	v_cmp_ne_u16_sdwa s73, v93, v2 src0_sel:BYTE_0 src1_sel:DWORD
	v_mov_b32_e32 v106, 0
	s_andn2_b32 s16, s16, exec_lo
	s_and_b32 s73, s73, exec_lo
	s_or_b32 s16, s16, s73
	s_or_b32 exec_lo, exec_lo, s23
	s_and_saveexec_b32 s23, s16
	s_cbranch_execnz .LBB4_5803
	s_branch .LBB4_5804
.LBB4_6191:                             ;   in Loop: Header=BB4_5561 Depth=3
	s_or_saveexec_b32 s23, s23
	v_mov_b32_e32 v106, 0x7f800001
	s_xor_b32 exec_lo, exec_lo, s23
	s_cbranch_execz .LBB4_5818
.LBB4_6192:                             ;   in Loop: Header=BB4_5561 Depth=3
	v_cmp_ne_u16_sdwa s73, v105, v2 src0_sel:BYTE_0 src1_sel:DWORD
	v_mov_b32_e32 v106, 0
	s_andn2_b32 s16, s16, exec_lo
	s_and_b32 s73, s73, exec_lo
	s_or_b32 s16, s16, s73
	s_or_b32 exec_lo, exec_lo, s23
	s_and_saveexec_b32 s23, s16
	s_cbranch_execnz .LBB4_5819
	s_branch .LBB4_5820
.LBB4_6193:                             ;   in Loop: Header=BB4_5561 Depth=3
	s_or_saveexec_b32 s23, s23
	v_mov_b32_e32 v107, 0x7f800001
	s_xor_b32 exec_lo, exec_lo, s23
	s_cbranch_execz .LBB4_5824
.LBB4_6194:                             ;   in Loop: Header=BB4_5561 Depth=3
	v_cmp_ne_u16_sdwa s73, v104, v2 src0_sel:BYTE_0 src1_sel:DWORD
	v_mov_b32_e32 v107, 0
	s_andn2_b32 s16, s16, exec_lo
	s_and_b32 s73, s73, exec_lo
	s_or_b32 s16, s16, s73
	s_or_b32 exec_lo, exec_lo, s23
	s_and_saveexec_b32 s23, s16
	s_cbranch_execnz .LBB4_5825
	s_branch .LBB4_5826
.LBB4_6195:                             ;   in Loop: Header=BB4_5561 Depth=3
	s_or_saveexec_b32 s23, s23
	v_mov_b32_e32 v106, 0x7f800001
	s_xor_b32 exec_lo, exec_lo, s23
	s_cbranch_execz .LBB4_5832
.LBB4_6196:                             ;   in Loop: Header=BB4_5561 Depth=3
	v_cmp_ne_u16_sdwa s73, v105, v2 src0_sel:BYTE_0 src1_sel:DWORD
	v_mov_b32_e32 v106, 0
	s_andn2_b32 s16, s16, exec_lo
	s_and_b32 s73, s73, exec_lo
	s_or_b32 s16, s16, s73
	s_or_b32 exec_lo, exec_lo, s23
	s_and_saveexec_b32 s23, s16
	s_cbranch_execnz .LBB4_5833
	s_branch .LBB4_5834
.LBB4_6197:                             ;   in Loop: Header=BB4_5561 Depth=3
	s_or_saveexec_b32 s23, s23
	v_mov_b32_e32 v105, 0x7f800001
	s_xor_b32 exec_lo, exec_lo, s23
	s_cbranch_execz .LBB4_5838
.LBB4_6198:                             ;   in Loop: Header=BB4_5561 Depth=3
	v_cmp_ne_u16_sdwa s73, v104, v2 src0_sel:BYTE_0 src1_sel:DWORD
	v_mov_b32_e32 v105, 0
	s_andn2_b32 s16, s16, exec_lo
	s_and_b32 s73, s73, exec_lo
	s_or_b32 s16, s16, s73
	s_or_b32 exec_lo, exec_lo, s23
	s_and_saveexec_b32 s23, s16
	s_cbranch_execnz .LBB4_5839
	s_branch .LBB4_5840
.LBB4_6199:                             ;   in Loop: Header=BB4_5561 Depth=3
	s_or_saveexec_b32 s23, s23
	v_mov_b32_e32 v105, 0x7f800001
	s_xor_b32 exec_lo, exec_lo, s23
	s_cbranch_execz .LBB4_5854
.LBB4_6200:                             ;   in Loop: Header=BB4_5561 Depth=3
	v_cmp_ne_u16_sdwa s73, v95, v2 src0_sel:BYTE_0 src1_sel:DWORD
	v_mov_b32_e32 v105, 0
	s_andn2_b32 s16, s16, exec_lo
	s_and_b32 s73, s73, exec_lo
	s_or_b32 s16, s16, s73
	s_or_b32 exec_lo, exec_lo, s23
	s_and_saveexec_b32 s23, s16
	s_cbranch_execnz .LBB4_5855
	s_branch .LBB4_5856
.LBB4_6201:                             ;   in Loop: Header=BB4_5561 Depth=3
	s_or_saveexec_b32 s23, s23
	v_mov_b32_e32 v106, 0x7f800001
	s_xor_b32 exec_lo, exec_lo, s23
	s_cbranch_execz .LBB4_5860
.LBB4_6202:                             ;   in Loop: Header=BB4_5561 Depth=3
	v_cmp_ne_u16_sdwa s73, v94, v2 src0_sel:BYTE_0 src1_sel:DWORD
	v_mov_b32_e32 v106, 0
	s_andn2_b32 s16, s16, exec_lo
	s_and_b32 s73, s73, exec_lo
	s_or_b32 s16, s16, s73
	s_or_b32 exec_lo, exec_lo, s23
	s_and_saveexec_b32 s23, s16
	s_cbranch_execnz .LBB4_5861
	s_branch .LBB4_5862
.LBB4_6203:                             ;   in Loop: Header=BB4_5561 Depth=3
	s_or_saveexec_b32 s23, s23
	v_mov_b32_e32 v105, 0x7f800001
	s_xor_b32 exec_lo, exec_lo, s23
	s_cbranch_execz .LBB4_5868
.LBB4_6204:                             ;   in Loop: Header=BB4_5561 Depth=3
	v_cmp_ne_u16_sdwa s73, v95, v2 src0_sel:BYTE_0 src1_sel:DWORD
	v_mov_b32_e32 v105, 0
	s_andn2_b32 s16, s16, exec_lo
	s_and_b32 s73, s73, exec_lo
	s_or_b32 s16, s16, s73
	s_or_b32 exec_lo, exec_lo, s23
	s_and_saveexec_b32 s23, s16
	s_cbranch_execnz .LBB4_5869
	s_branch .LBB4_5870
.LBB4_6205:                             ;   in Loop: Header=BB4_5561 Depth=3
	s_or_saveexec_b32 s23, s23
	v_mov_b32_e32 v95, 0x7f800001
	s_xor_b32 exec_lo, exec_lo, s23
	s_cbranch_execz .LBB4_5874
.LBB4_6206:                             ;   in Loop: Header=BB4_5561 Depth=3
	v_cmp_ne_u16_sdwa s73, v94, v2 src0_sel:BYTE_0 src1_sel:DWORD
	v_mov_b32_e32 v95, 0
	s_andn2_b32 s16, s16, exec_lo
	s_and_b32 s73, s73, exec_lo
	s_or_b32 s16, s16, s73
	s_or_b32 exec_lo, exec_lo, s23
	s_and_saveexec_b32 s23, s16
	s_cbranch_execnz .LBB4_5875
	s_branch .LBB4_5876
.LBB4_6207:                             ;   in Loop: Header=BB4_5561 Depth=3
	s_or_saveexec_b32 s23, s23
	v_mov_b32_e32 v95, 0x7f800001
	s_xor_b32 exec_lo, exec_lo, s23
	s_cbranch_execz .LBB4_5890
.LBB4_6208:                             ;   in Loop: Header=BB4_5561 Depth=3
	v_cmp_ne_u16_sdwa s73, v92, v2 src0_sel:BYTE_0 src1_sel:DWORD
	v_mov_b32_e32 v95, 0
	s_andn2_b32 s16, s16, exec_lo
	s_and_b32 s73, s73, exec_lo
	s_or_b32 s16, s16, s73
	s_or_b32 exec_lo, exec_lo, s23
	s_and_saveexec_b32 s23, s16
	s_cbranch_execnz .LBB4_5891
	s_branch .LBB4_5892
.LBB4_6209:                             ;   in Loop: Header=BB4_5561 Depth=3
	s_or_saveexec_b32 s23, s23
	v_mov_b32_e32 v105, 0x7f800001
	s_xor_b32 exec_lo, exec_lo, s23
	s_cbranch_execz .LBB4_5896
.LBB4_6210:                             ;   in Loop: Header=BB4_5561 Depth=3
	v_cmp_ne_u16_sdwa s73, v91, v2 src0_sel:BYTE_0 src1_sel:DWORD
	v_mov_b32_e32 v105, 0
	s_andn2_b32 s16, s16, exec_lo
	s_and_b32 s73, s73, exec_lo
	s_or_b32 s16, s16, s73
	s_or_b32 exec_lo, exec_lo, s23
	s_and_saveexec_b32 s23, s16
	s_cbranch_execnz .LBB4_5897
	s_branch .LBB4_5898
.LBB4_6211:                             ;   in Loop: Header=BB4_5561 Depth=3
	s_or_saveexec_b32 s23, s23
	v_mov_b32_e32 v95, 0x7f800001
	s_xor_b32 exec_lo, exec_lo, s23
	s_cbranch_execz .LBB4_5904
.LBB4_6212:                             ;   in Loop: Header=BB4_5561 Depth=3
	v_cmp_ne_u16_sdwa s73, v92, v2 src0_sel:BYTE_0 src1_sel:DWORD
	v_mov_b32_e32 v95, 0
	s_andn2_b32 s16, s16, exec_lo
	s_and_b32 s73, s73, exec_lo
	s_or_b32 s16, s16, s73
	s_or_b32 exec_lo, exec_lo, s23
	s_and_saveexec_b32 s23, s16
	s_cbranch_execnz .LBB4_5905
	s_branch .LBB4_5906
.LBB4_6213:                             ;   in Loop: Header=BB4_5561 Depth=3
	s_or_saveexec_b32 s23, s23
	v_mov_b32_e32 v92, 0x7f800001
	s_xor_b32 exec_lo, exec_lo, s23
	s_cbranch_execz .LBB4_5910
.LBB4_6214:                             ;   in Loop: Header=BB4_5561 Depth=3
	v_cmp_ne_u16_sdwa s73, v91, v2 src0_sel:BYTE_0 src1_sel:DWORD
	v_mov_b32_e32 v92, 0
	s_andn2_b32 s16, s16, exec_lo
	s_and_b32 s73, s73, exec_lo
	s_or_b32 s16, s16, s73
	s_or_b32 exec_lo, exec_lo, s23
	s_and_saveexec_b32 s23, s16
	s_cbranch_execnz .LBB4_5911
	s_branch .LBB4_5912
.LBB4_6215:                             ;   in Loop: Header=BB4_5561 Depth=3
	s_or_saveexec_b32 s23, s23
	v_mov_b32_e32 v92, 0x7f800001
	s_xor_b32 exec_lo, exec_lo, s23
	s_cbranch_execz .LBB4_5926
.LBB4_6216:                             ;   in Loop: Header=BB4_5561 Depth=3
	v_cmp_ne_u16_sdwa s73, v89, v2 src0_sel:BYTE_0 src1_sel:DWORD
	v_mov_b32_e32 v92, 0
	s_andn2_b32 s16, s16, exec_lo
	s_and_b32 s73, s73, exec_lo
	s_or_b32 s16, s16, s73
	s_or_b32 exec_lo, exec_lo, s23
	s_and_saveexec_b32 s23, s16
	s_cbranch_execnz .LBB4_5927
	s_branch .LBB4_5928
.LBB4_6217:                             ;   in Loop: Header=BB4_5561 Depth=3
	s_or_saveexec_b32 s23, s23
	v_mov_b32_e32 v95, 0x7f800001
	s_xor_b32 exec_lo, exec_lo, s23
	s_cbranch_execz .LBB4_5932
.LBB4_6218:                             ;   in Loop: Header=BB4_5561 Depth=3
	v_cmp_ne_u16_sdwa s73, v88, v2 src0_sel:BYTE_0 src1_sel:DWORD
	v_mov_b32_e32 v95, 0
	s_andn2_b32 s16, s16, exec_lo
	s_and_b32 s73, s73, exec_lo
	s_or_b32 s16, s16, s73
	s_or_b32 exec_lo, exec_lo, s23
	s_and_saveexec_b32 s23, s16
	s_cbranch_execnz .LBB4_5933
	s_branch .LBB4_5934
.LBB4_6219:                             ;   in Loop: Header=BB4_5561 Depth=3
	s_or_saveexec_b32 s23, s23
	v_mov_b32_e32 v92, 0x7f800001
	s_xor_b32 exec_lo, exec_lo, s23
	s_cbranch_execz .LBB4_5940
.LBB4_6220:                             ;   in Loop: Header=BB4_5561 Depth=3
	v_cmp_ne_u16_sdwa s73, v89, v2 src0_sel:BYTE_0 src1_sel:DWORD
	v_mov_b32_e32 v92, 0
	s_andn2_b32 s16, s16, exec_lo
	s_and_b32 s73, s73, exec_lo
	s_or_b32 s16, s16, s73
	s_or_b32 exec_lo, exec_lo, s23
	s_and_saveexec_b32 s23, s16
	s_cbranch_execnz .LBB4_5941
	s_branch .LBB4_5942
.LBB4_6221:                             ;   in Loop: Header=BB4_5561 Depth=3
	s_or_saveexec_b32 s23, s23
	v_mov_b32_e32 v89, 0x7f800001
	s_xor_b32 exec_lo, exec_lo, s23
	s_cbranch_execz .LBB4_5946
.LBB4_6222:                             ;   in Loop: Header=BB4_5561 Depth=3
	v_cmp_ne_u16_sdwa s73, v88, v2 src0_sel:BYTE_0 src1_sel:DWORD
	v_mov_b32_e32 v89, 0
	s_andn2_b32 s16, s16, exec_lo
	s_and_b32 s73, s73, exec_lo
	s_or_b32 s16, s16, s73
	s_or_b32 exec_lo, exec_lo, s23
	s_and_saveexec_b32 s23, s16
	s_cbranch_execnz .LBB4_5947
	s_branch .LBB4_5948
.LBB4_6223:                             ;   in Loop: Header=BB4_5561 Depth=3
	s_or_saveexec_b32 s23, s23
	v_mov_b32_e32 v89, 0x7f800001
	s_xor_b32 exec_lo, exec_lo, s23
	s_cbranch_execz .LBB4_5962
.LBB4_6224:                             ;   in Loop: Header=BB4_5561 Depth=3
	v_cmp_ne_u16_sdwa s73, v78, v2 src0_sel:BYTE_0 src1_sel:DWORD
	v_mov_b32_e32 v89, 0
	s_andn2_b32 s16, s16, exec_lo
	s_and_b32 s73, s73, exec_lo
	s_or_b32 s16, s16, s73
	s_or_b32 exec_lo, exec_lo, s23
	s_and_saveexec_b32 s23, s16
	s_cbranch_execnz .LBB4_5963
	s_branch .LBB4_5964
.LBB4_6225:                             ;   in Loop: Header=BB4_5561 Depth=3
	s_or_saveexec_b32 s23, s23
	v_mov_b32_e32 v92, 0x7f800001
	s_xor_b32 exec_lo, exec_lo, s23
	s_cbranch_execz .LBB4_5968
.LBB4_6226:                             ;   in Loop: Header=BB4_5561 Depth=3
	v_cmp_ne_u16_sdwa s73, v77, v2 src0_sel:BYTE_0 src1_sel:DWORD
	v_mov_b32_e32 v92, 0
	s_andn2_b32 s16, s16, exec_lo
	s_and_b32 s73, s73, exec_lo
	s_or_b32 s16, s16, s73
	s_or_b32 exec_lo, exec_lo, s23
	s_and_saveexec_b32 s23, s16
	s_cbranch_execnz .LBB4_5969
	s_branch .LBB4_5970
.LBB4_6227:                             ;   in Loop: Header=BB4_5561 Depth=3
	s_or_saveexec_b32 s23, s23
	v_mov_b32_e32 v89, 0x7f800001
	s_xor_b32 exec_lo, exec_lo, s23
	s_cbranch_execz .LBB4_5976
.LBB4_6228:                             ;   in Loop: Header=BB4_5561 Depth=3
	v_cmp_ne_u16_sdwa s73, v78, v2 src0_sel:BYTE_0 src1_sel:DWORD
	v_mov_b32_e32 v89, 0
	s_andn2_b32 s16, s16, exec_lo
	s_and_b32 s73, s73, exec_lo
	s_or_b32 s16, s16, s73
	s_or_b32 exec_lo, exec_lo, s23
	s_and_saveexec_b32 s23, s16
	s_cbranch_execnz .LBB4_5977
	s_branch .LBB4_5978
.LBB4_6229:                             ;   in Loop: Header=BB4_5561 Depth=3
	s_or_saveexec_b32 s23, s23
	v_mov_b32_e32 v78, 0x7f800001
	s_xor_b32 exec_lo, exec_lo, s23
	s_cbranch_execz .LBB4_5982
.LBB4_6230:                             ;   in Loop: Header=BB4_5561 Depth=3
	v_cmp_ne_u16_sdwa s73, v77, v2 src0_sel:BYTE_0 src1_sel:DWORD
	v_mov_b32_e32 v78, 0
	s_andn2_b32 s16, s16, exec_lo
	s_and_b32 s73, s73, exec_lo
	s_or_b32 s16, s16, s73
	s_or_b32 exec_lo, exec_lo, s23
	s_and_saveexec_b32 s23, s16
	s_cbranch_execnz .LBB4_5983
	s_branch .LBB4_5984
.LBB4_6231:                             ;   in Loop: Header=BB4_5561 Depth=3
	s_or_saveexec_b32 s23, s23
	v_mov_b32_e32 v78, 0x7f800001
	s_xor_b32 exec_lo, exec_lo, s23
	s_cbranch_execz .LBB4_5998
.LBB4_6232:                             ;   in Loop: Header=BB4_5561 Depth=3
	v_cmp_ne_u16_sdwa s73, v98, v2 src0_sel:BYTE_0 src1_sel:DWORD
	v_mov_b32_e32 v78, 0
	s_andn2_b32 s16, s16, exec_lo
	s_and_b32 s73, s73, exec_lo
	s_or_b32 s16, s16, s73
	s_or_b32 exec_lo, exec_lo, s23
	s_and_saveexec_b32 s23, s16
	s_cbranch_execnz .LBB4_5999
	s_branch .LBB4_6000
.LBB4_6233:                             ;   in Loop: Header=BB4_5561 Depth=3
	s_or_saveexec_b32 s23, s23
	v_mov_b32_e32 v89, 0x7f800001
	s_xor_b32 exec_lo, exec_lo, s23
	s_cbranch_execz .LBB4_6004
.LBB4_6234:                             ;   in Loop: Header=BB4_5561 Depth=3
	v_cmp_ne_u16_sdwa s73, v97, v2 src0_sel:BYTE_0 src1_sel:DWORD
	v_mov_b32_e32 v89, 0
	s_andn2_b32 s16, s16, exec_lo
	s_and_b32 s73, s73, exec_lo
	s_or_b32 s16, s16, s73
	s_or_b32 exec_lo, exec_lo, s23
	s_and_saveexec_b32 s23, s16
	s_cbranch_execnz .LBB4_6005
	s_branch .LBB4_6006
.LBB4_6235:                             ;   in Loop: Header=BB4_5561 Depth=3
	s_or_saveexec_b32 s23, s23
	v_mov_b32_e32 v78, 0x7f800001
	s_xor_b32 exec_lo, exec_lo, s23
	s_cbranch_execz .LBB4_6012
.LBB4_6236:                             ;   in Loop: Header=BB4_5561 Depth=3
	v_cmp_ne_u16_sdwa s73, v98, v2 src0_sel:BYTE_0 src1_sel:DWORD
	v_mov_b32_e32 v78, 0
	s_andn2_b32 s16, s16, exec_lo
	s_and_b32 s73, s73, exec_lo
	s_or_b32 s16, s16, s73
	s_or_b32 exec_lo, exec_lo, s23
	s_and_saveexec_b32 s23, s16
	s_cbranch_execnz .LBB4_6013
	s_branch .LBB4_6014
.LBB4_6237:                             ;   in Loop: Header=BB4_5561 Depth=3
	s_or_saveexec_b32 s23, s23
	v_mov_b32_e32 v98, 0x7f800001
	s_xor_b32 exec_lo, exec_lo, s23
	s_cbranch_execz .LBB4_6018
.LBB4_6238:                             ;   in Loop: Header=BB4_5561 Depth=3
	v_cmp_ne_u16_sdwa s73, v97, v2 src0_sel:BYTE_0 src1_sel:DWORD
	v_mov_b32_e32 v98, 0
	s_andn2_b32 s16, s16, exec_lo
	s_and_b32 s73, s73, exec_lo
	s_or_b32 s16, s16, s73
	s_or_b32 exec_lo, exec_lo, s23
	s_and_saveexec_b32 s23, s16
	s_cbranch_execnz .LBB4_6019
	s_branch .LBB4_6020
.LBB4_6239:                             ;   in Loop: Header=BB4_5561 Depth=3
	s_or_saveexec_b32 s23, s23
	v_mov_b32_e32 v98, 0x7f800001
	s_xor_b32 exec_lo, exec_lo, s23
	s_cbranch_execz .LBB4_6034
.LBB4_6240:                             ;   in Loop: Header=BB4_5561 Depth=3
	v_cmp_ne_u16_sdwa s73, v87, v2 src0_sel:BYTE_0 src1_sel:DWORD
	v_mov_b32_e32 v98, 0
	s_andn2_b32 s16, s16, exec_lo
	s_and_b32 s73, s73, exec_lo
	s_or_b32 s16, s16, s73
	s_or_b32 exec_lo, exec_lo, s23
	s_and_saveexec_b32 s23, s16
	s_cbranch_execnz .LBB4_6035
	s_branch .LBB4_6036
.LBB4_6241:                             ;   in Loop: Header=BB4_5561 Depth=3
	s_or_saveexec_b32 s23, s23
	v_mov_b32_e32 v78, 0x7f800001
	s_xor_b32 exec_lo, exec_lo, s23
	s_cbranch_execz .LBB4_6040
.LBB4_6242:                             ;   in Loop: Header=BB4_5561 Depth=3
	v_cmp_ne_u16_sdwa s73, v86, v2 src0_sel:BYTE_0 src1_sel:DWORD
	v_mov_b32_e32 v78, 0
	s_andn2_b32 s16, s16, exec_lo
	s_and_b32 s73, s73, exec_lo
	s_or_b32 s16, s16, s73
	s_or_b32 exec_lo, exec_lo, s23
	s_and_saveexec_b32 s23, s16
	s_cbranch_execnz .LBB4_6041
	s_branch .LBB4_6042
.LBB4_6243:                             ;   in Loop: Header=BB4_5561 Depth=3
	s_or_saveexec_b32 s23, s23
	v_mov_b32_e32 v98, 0x7f800001
	s_xor_b32 exec_lo, exec_lo, s23
	s_cbranch_execz .LBB4_6048
.LBB4_6244:                             ;   in Loop: Header=BB4_5561 Depth=3
	v_cmp_ne_u16_sdwa s73, v87, v2 src0_sel:BYTE_0 src1_sel:DWORD
	v_mov_b32_e32 v98, 0
	s_andn2_b32 s16, s16, exec_lo
	s_and_b32 s73, s73, exec_lo
	s_or_b32 s16, s16, s73
	s_or_b32 exec_lo, exec_lo, s23
	s_and_saveexec_b32 s23, s16
	s_cbranch_execnz .LBB4_6049
	s_branch .LBB4_6050
.LBB4_6245:                             ;   in Loop: Header=BB4_5561 Depth=3
	s_or_saveexec_b32 s23, s23
	v_mov_b32_e32 v87, 0x7f800001
	s_xor_b32 exec_lo, exec_lo, s23
	s_cbranch_execz .LBB4_6054
.LBB4_6246:                             ;   in Loop: Header=BB4_5561 Depth=3
	v_cmp_ne_u16_sdwa s73, v86, v2 src0_sel:BYTE_0 src1_sel:DWORD
	v_mov_b32_e32 v87, 0
	s_andn2_b32 s16, s16, exec_lo
	s_and_b32 s73, s73, exec_lo
	s_or_b32 s16, s16, s73
	s_or_b32 exec_lo, exec_lo, s23
	s_and_saveexec_b32 s23, s16
	s_cbranch_execnz .LBB4_6055
	s_branch .LBB4_6056
.LBB4_6247:                             ;   in Loop: Header=BB4_5561 Depth=3
	s_or_saveexec_b32 s23, s23
	v_mov_b32_e32 v87, 0x7f800001
	s_xor_b32 exec_lo, exec_lo, s23
	s_cbranch_execz .LBB4_6070
.LBB4_6248:                             ;   in Loop: Header=BB4_5561 Depth=3
	v_cmp_ne_u16_sdwa s73, v84, v2 src0_sel:BYTE_0 src1_sel:DWORD
	v_mov_b32_e32 v87, 0
	s_andn2_b32 s16, s16, exec_lo
	s_and_b32 s73, s73, exec_lo
	s_or_b32 s16, s16, s73
	s_or_b32 exec_lo, exec_lo, s23
	s_and_saveexec_b32 s23, s16
	s_cbranch_execnz .LBB4_6071
	s_branch .LBB4_6072
.LBB4_6249:                             ;   in Loop: Header=BB4_5561 Depth=3
	s_or_saveexec_b32 s23, s23
	v_mov_b32_e32 v98, 0x7f800001
	s_xor_b32 exec_lo, exec_lo, s23
	s_cbranch_execz .LBB4_6076
.LBB4_6250:                             ;   in Loop: Header=BB4_5561 Depth=3
	v_cmp_ne_u16_sdwa s73, v83, v2 src0_sel:BYTE_0 src1_sel:DWORD
	v_mov_b32_e32 v98, 0
	s_andn2_b32 s16, s16, exec_lo
	s_and_b32 s73, s73, exec_lo
	s_or_b32 s16, s16, s73
	s_or_b32 exec_lo, exec_lo, s23
	s_and_saveexec_b32 s23, s16
	s_cbranch_execnz .LBB4_6077
	s_branch .LBB4_6078
.LBB4_6251:                             ;   in Loop: Header=BB4_5561 Depth=3
	s_or_saveexec_b32 s23, s23
	v_mov_b32_e32 v87, 0x7f800001
	s_xor_b32 exec_lo, exec_lo, s23
	s_cbranch_execz .LBB4_6084
.LBB4_6252:                             ;   in Loop: Header=BB4_5561 Depth=3
	v_cmp_ne_u16_sdwa s73, v84, v2 src0_sel:BYTE_0 src1_sel:DWORD
	v_mov_b32_e32 v87, 0
	s_andn2_b32 s16, s16, exec_lo
	s_and_b32 s73, s73, exec_lo
	s_or_b32 s16, s16, s73
	s_or_b32 exec_lo, exec_lo, s23
	s_and_saveexec_b32 s23, s16
	s_cbranch_execnz .LBB4_6085
	s_branch .LBB4_6086
.LBB4_6253:                             ;   in Loop: Header=BB4_5561 Depth=3
	s_or_saveexec_b32 s23, s23
	v_mov_b32_e32 v84, 0x7f800001
	s_xor_b32 exec_lo, exec_lo, s23
	s_cbranch_execz .LBB4_6090
.LBB4_6254:                             ;   in Loop: Header=BB4_5561 Depth=3
	v_cmp_ne_u16_sdwa s73, v83, v2 src0_sel:BYTE_0 src1_sel:DWORD
	v_mov_b32_e32 v84, 0
	s_andn2_b32 s16, s16, exec_lo
	s_and_b32 s73, s73, exec_lo
	s_or_b32 s16, s16, s73
	s_or_b32 exec_lo, exec_lo, s23
	s_and_saveexec_b32 s23, s16
	s_cbranch_execnz .LBB4_6091
	s_branch .LBB4_6092
.LBB4_6255:                             ;   in Loop: Header=BB4_5561 Depth=3
	s_or_saveexec_b32 s23, s23
	v_mov_b32_e32 v84, 0x7f800001
	s_xor_b32 exec_lo, exec_lo, s23
	s_cbranch_execz .LBB4_6106
.LBB4_6256:                             ;   in Loop: Header=BB4_5561 Depth=3
	v_cmp_ne_u16_sdwa s73, v23, v2 src0_sel:BYTE_0 src1_sel:DWORD
	v_mov_b32_e32 v84, 0
	s_andn2_b32 s16, s16, exec_lo
	s_and_b32 s73, s73, exec_lo
	s_or_b32 s16, s16, s73
	s_or_b32 exec_lo, exec_lo, s23
	s_and_saveexec_b32 s23, s16
	s_cbranch_execnz .LBB4_6107
	s_branch .LBB4_6108
.LBB4_6257:                             ;   in Loop: Header=BB4_5561 Depth=3
	s_or_saveexec_b32 s23, s23
	v_mov_b32_e32 v87, 0x7f800001
	s_xor_b32 exec_lo, exec_lo, s23
	s_cbranch_execz .LBB4_6112
.LBB4_6258:                             ;   in Loop: Header=BB4_5561 Depth=3
	v_cmp_ne_u16_sdwa s73, v22, v2 src0_sel:BYTE_0 src1_sel:DWORD
	v_mov_b32_e32 v87, 0
	s_andn2_b32 s16, s16, exec_lo
	s_and_b32 s73, s73, exec_lo
	s_or_b32 s16, s16, s73
	s_or_b32 exec_lo, exec_lo, s23
	s_and_saveexec_b32 s23, s16
	s_cbranch_execnz .LBB4_6113
	s_branch .LBB4_6114
.LBB4_6259:                             ;   in Loop: Header=BB4_5561 Depth=3
	s_or_saveexec_b32 s23, s23
	v_mov_b32_e32 v84, 0x7f800001
	s_xor_b32 exec_lo, exec_lo, s23
	s_cbranch_execz .LBB4_6120
.LBB4_6260:                             ;   in Loop: Header=BB4_5561 Depth=3
	v_cmp_ne_u16_sdwa s73, v23, v2 src0_sel:BYTE_0 src1_sel:DWORD
	v_mov_b32_e32 v84, 0
	s_andn2_b32 s16, s16, exec_lo
	s_and_b32 s73, s73, exec_lo
	s_or_b32 s16, s16, s73
	s_or_b32 exec_lo, exec_lo, s23
	s_and_saveexec_b32 s23, s16
	s_cbranch_execnz .LBB4_6121
	s_branch .LBB4_6122
.LBB4_6261:                             ;   in Loop: Header=BB4_5561 Depth=3
	s_or_saveexec_b32 s23, s23
	v_mov_b32_e32 v23, 0x7f800001
	s_xor_b32 exec_lo, exec_lo, s23
	s_cbranch_execz .LBB4_6126
.LBB4_6262:                             ;   in Loop: Header=BB4_5561 Depth=3
	v_cmp_ne_u16_sdwa s73, v22, v2 src0_sel:BYTE_0 src1_sel:DWORD
	v_mov_b32_e32 v23, 0
	s_andn2_b32 s16, s16, exec_lo
	s_and_b32 s73, s73, exec_lo
	s_or_b32 s16, s16, s73
	s_or_b32 exec_lo, exec_lo, s23
	s_and_saveexec_b32 s23, s16
	s_cbranch_execnz .LBB4_6127
	s_branch .LBB4_6128
.LBB4_6263:                             ;   in Loop: Header=BB4_3351 Depth=2
	s_or_b32 exec_lo, exec_lo, s18
.LBB4_6264:                             ;   in Loop: Header=BB4_3351 Depth=2
	s_or_b32 exec_lo, exec_lo, s17
	v_lshlrev_b32_e32 v8, 9, v21
	v_cmp_ne_u32_e32 vcc_lo, v17, v8
	s_and_b32 exec_lo, exec_lo, vcc_lo
	s_cbranch_execz .LBB4_6314
; %bb.6265:                             ;   in Loop: Header=BB4_3351 Depth=2
	v_lshlrev_b32_e32 v9, 5, v19
	v_lshlrev_b32_e32 v10, 5, v20
	v_sub_nc_u32_e32 v9, v18, v9
	v_sub_nc_u32_e32 v9, v9, v10
	v_add_nc_u32_e32 v8, v8, v9
	v_sub_nc_u32_e32 v17, v17, v8
	v_cmp_lt_i32_e32 vcc_lo, 0, v17
	s_and_b32 exec_lo, exec_lo, vcc_lo
	s_cbranch_execz .LBB4_6314
; %bb.6266:                             ;   in Loop: Header=BB4_3351 Depth=2
	s_trap 2
	ds_read_b128 v[9:12], v0
	v_add_nc_u32_e32 v13, v8, v16
	s_bitcmp1_b32 s72, 0
	s_mov_b32 s23, 0
	s_cselect_b32 s73, -1, 0
	v_ashrrev_i32_e32 v14, 31, v13
	s_waitcnt lgkmcnt(0)
	v_add_co_u32 v8, vcc_lo, v9, v13
	v_add_co_ci_u32_e64 v9, null, v10, v14, vcc_lo
	v_add_co_u32 v10, vcc_lo, v11, v13
	v_add_co_ci_u32_e64 v11, null, v12, v14, vcc_lo
	v_mov_b32_e32 v13, v9
	v_mov_b32_e32 v12, v8
	;; [unrolled: 1-line block ×4, first 2 shown]
.LBB4_6267:                             ;   Parent Loop BB4_47 Depth=1
                                        ;     Parent Loop BB4_3351 Depth=2
                                        ; =>    This Loop Header: Depth=3
                                        ;         Child Loop BB4_6304 Depth 4
	flat_load_ubyte v18, v[14:15] slc
	flat_load_ubyte v19, v[12:13] slc
	s_mov_b32 s16, -1
	s_waitcnt vmcnt(1) lgkmcnt(1)
	v_and_b32_e32 v16, 7, v18
	v_bfe_u32 v22, v18, 3, 4
	v_lshlrev_b32_e32 v23, 24, v18
	s_waitcnt vmcnt(0) lgkmcnt(0)
	v_cmp_gt_i16_sdwa s17, v19, v117 src0_sel:BYTE_0 src1_sel:DWORD
	v_ffbh_u32_e32 v20, v16
	v_cmp_eq_u32_e32 vcc_lo, 0, v22
	v_min_u32_e32 v20, 32, v20
	v_subrev_nc_u32_e32 v21, 28, v20
	v_sub_nc_u32_e32 v20, 29, v20
	v_lshlrev_b32_e32 v21, v21, v18
	v_cndmask_b32_e32 v20, v22, v20, vcc_lo
	v_and_b32_e32 v21, 7, v21
	v_lshl_add_u32 v20, v20, 23, 0x3b800000
	v_cndmask_b32_e32 v16, v16, v21, vcc_lo
	v_and_b32_e32 v21, 0x80000000, v23
	s_and_b32 vcc_lo, exec_lo, s73
	v_lshlrev_b32_e32 v16, 20, v16
	v_or3_b32 v16, v21, v20, v16
                                        ; implicit-def: $vgpr20
	s_cbranch_vccz .LBB4_6281
; %bb.6268:                             ;   in Loop: Header=BB4_6267 Depth=3
	s_mov_b32 s16, 0
	s_and_saveexec_b32 s18, s17
	s_xor_b32 s17, exec_lo, s18
	s_cbranch_execz .LBB4_6306
; %bb.6269:                             ;   in Loop: Header=BB4_6267 Depth=3
	v_cmp_eq_u16_sdwa s19, v19, v118 src0_sel:BYTE_0 src1_sel:DWORD
	s_mov_b32 s16, -1
	s_and_saveexec_b32 s18, s19
; %bb.6270:                             ;   in Loop: Header=BB4_6267 Depth=3
	s_xor_b32 s16, exec_lo, -1
; %bb.6271:                             ;   in Loop: Header=BB4_6267 Depth=3
	s_or_b32 exec_lo, exec_lo, s18
	s_and_b32 s16, s16, exec_lo
	s_or_saveexec_b32 s17, s17
	v_mov_b32_e32 v20, 0x7f800001
	s_xor_b32 exec_lo, exec_lo, s17
	s_cbranch_execnz .LBB4_6307
.LBB4_6272:                             ;   in Loop: Header=BB4_6267 Depth=3
	s_or_b32 exec_lo, exec_lo, s17
	s_and_saveexec_b32 s17, s16
	s_cbranch_execz .LBB4_6274
.LBB4_6273:                             ;   in Loop: Header=BB4_6267 Depth=3
	v_and_b32_e32 v20, 7, v19
	v_lshrrev_b16 v22, 3, v19
	v_lshlrev_b32_e32 v82, 24, v19
	v_ffbh_u32_e32 v21, v20
	v_and_b32_e32 v22, 15, v22
	v_min_u32_e32 v21, 32, v21
	v_cmp_eq_u32_e32 vcc_lo, 0, v22
	v_subrev_nc_u32_e32 v23, 28, v21
	v_sub_nc_u32_e32 v21, 29, v21
	v_lshlrev_b32_e32 v23, v23, v19
	v_cndmask_b32_e32 v21, v22, v21, vcc_lo
	v_and_b32_e32 v22, 0x80000000, v82
	v_and_b32_e32 v23, 7, v23
	v_lshl_add_u32 v21, v21, 23, 0x3b800000
	v_cndmask_b32_e32 v20, v20, v23, vcc_lo
	v_lshlrev_b32_e32 v20, 20, v20
	v_or3_b32 v20, v22, v21, v20
.LBB4_6274:                             ;   in Loop: Header=BB4_6267 Depth=3
	s_or_b32 exec_lo, exec_lo, s17
	v_cmp_gt_i16_sdwa s17, v18, v117 src0_sel:BYTE_0 src1_sel:DWORD
	s_mov_b32 s16, 0
	s_and_saveexec_b32 s18, s17
	s_xor_b32 s17, exec_lo, s18
	s_cbranch_execz .LBB4_6308
; %bb.6275:                             ;   in Loop: Header=BB4_6267 Depth=3
	v_cmp_eq_u16_sdwa s19, v18, v118 src0_sel:BYTE_0 src1_sel:DWORD
	s_mov_b32 s16, -1
	s_and_saveexec_b32 s18, s19
; %bb.6276:                             ;   in Loop: Header=BB4_6267 Depth=3
	s_xor_b32 s16, exec_lo, -1
; %bb.6277:                             ;   in Loop: Header=BB4_6267 Depth=3
	s_or_b32 exec_lo, exec_lo, s18
	s_and_b32 s16, s16, exec_lo
	s_or_saveexec_b32 s17, s17
	v_mov_b32_e32 v21, 0x7f800001
	s_xor_b32 exec_lo, exec_lo, s17
	s_cbranch_execnz .LBB4_6309
.LBB4_6278:                             ;   in Loop: Header=BB4_6267 Depth=3
	s_or_b32 exec_lo, exec_lo, s17
	s_and_saveexec_b32 s17, s16
.LBB4_6279:                             ;   in Loop: Header=BB4_6267 Depth=3
	v_mov_b32_e32 v21, v16
.LBB4_6280:                             ;   in Loop: Header=BB4_6267 Depth=3
	s_or_b32 exec_lo, exec_lo, s17
	v_max_f32_e32 v21, v21, v21
	v_max_f32_e32 v20, v20, v20
	s_mov_b32 s16, 0
	v_max_f32_e32 v20, v20, v21
.LBB4_6281:                             ;   in Loop: Header=BB4_6267 Depth=3
	s_and_b32 vcc_lo, exec_lo, s16
	s_cbranch_vccz .LBB4_6295
; %bb.6282:                             ;   in Loop: Header=BB4_6267 Depth=3
	v_cmp_gt_i16_sdwa s17, v19, v117 src0_sel:BYTE_0 src1_sel:DWORD
	s_mov_b32 s16, 0
	s_and_saveexec_b32 s18, s17
	s_xor_b32 s17, exec_lo, s18
	s_cbranch_execz .LBB4_6310
; %bb.6283:                             ;   in Loop: Header=BB4_6267 Depth=3
	v_cmp_eq_u16_sdwa s19, v19, v118 src0_sel:BYTE_0 src1_sel:DWORD
	s_mov_b32 s16, -1
	s_and_saveexec_b32 s18, s19
; %bb.6284:                             ;   in Loop: Header=BB4_6267 Depth=3
	s_xor_b32 s16, exec_lo, -1
; %bb.6285:                             ;   in Loop: Header=BB4_6267 Depth=3
	s_or_b32 exec_lo, exec_lo, s18
	s_and_b32 s16, s16, exec_lo
	s_or_saveexec_b32 s17, s17
	v_mov_b32_e32 v20, 0x7f800001
	s_xor_b32 exec_lo, exec_lo, s17
	s_cbranch_execnz .LBB4_6311
.LBB4_6286:                             ;   in Loop: Header=BB4_6267 Depth=3
	s_or_b32 exec_lo, exec_lo, s17
	s_and_saveexec_b32 s17, s16
	s_cbranch_execz .LBB4_6288
.LBB4_6287:                             ;   in Loop: Header=BB4_6267 Depth=3
	v_and_b32_e32 v20, 7, v19
	v_lshrrev_b16 v22, 3, v19
	v_ffbh_u32_e32 v21, v20
	v_and_b32_e32 v22, 15, v22
	v_min_u32_e32 v21, 32, v21
	v_cmp_eq_u32_e32 vcc_lo, 0, v22
	v_subrev_nc_u32_e32 v23, 28, v21
	v_sub_nc_u32_e32 v21, 29, v21
	v_lshlrev_b32_e32 v23, v23, v19
	v_lshlrev_b32_e32 v19, 24, v19
	v_cndmask_b32_e32 v21, v22, v21, vcc_lo
	v_and_b32_e32 v23, 7, v23
	v_and_b32_e32 v19, 0x80000000, v19
	v_lshl_add_u32 v21, v21, 23, 0x3b800000
	v_cndmask_b32_e32 v20, v20, v23, vcc_lo
	v_lshlrev_b32_e32 v20, 20, v20
	v_or3_b32 v20, v19, v21, v20
.LBB4_6288:                             ;   in Loop: Header=BB4_6267 Depth=3
	s_or_b32 exec_lo, exec_lo, s17
	v_cmp_gt_i16_sdwa s17, v18, v117 src0_sel:BYTE_0 src1_sel:DWORD
	s_mov_b32 s16, 0
	s_and_saveexec_b32 s18, s17
	s_xor_b32 s17, exec_lo, s18
	s_cbranch_execz .LBB4_6312
; %bb.6289:                             ;   in Loop: Header=BB4_6267 Depth=3
	v_cmp_eq_u16_sdwa s19, v18, v118 src0_sel:BYTE_0 src1_sel:DWORD
	s_mov_b32 s16, -1
	s_and_saveexec_b32 s18, s19
; %bb.6290:                             ;   in Loop: Header=BB4_6267 Depth=3
	s_xor_b32 s16, exec_lo, -1
; %bb.6291:                             ;   in Loop: Header=BB4_6267 Depth=3
	s_or_b32 exec_lo, exec_lo, s18
	s_and_b32 s16, s16, exec_lo
                                        ; implicit-def: $vgpr18
	s_or_saveexec_b32 s17, s17
	v_mov_b32_e32 v19, 0x7f800001
	s_xor_b32 exec_lo, exec_lo, s17
	s_cbranch_execnz .LBB4_6313
.LBB4_6292:                             ;   in Loop: Header=BB4_6267 Depth=3
	s_or_b32 exec_lo, exec_lo, s17
	s_and_saveexec_b32 s17, s16
.LBB4_6293:                             ;   in Loop: Header=BB4_6267 Depth=3
	v_mov_b32_e32 v19, v16
.LBB4_6294:                             ;   in Loop: Header=BB4_6267 Depth=3
	s_or_b32 exec_lo, exec_lo, s17
	v_max_f32_e32 v16, v19, v19
	v_max_f32_e32 v18, v20, v20
	v_min_f32_e32 v20, v18, v16
.LBB4_6295:                             ;   in Loop: Header=BB4_6267 Depth=3
	v_and_b32_e32 v16, 0x7f800000, v20
	v_cmp_ne_u32_e32 vcc_lo, 0x7f800000, v16
	v_mov_b32_e32 v16, 0x80
	s_and_saveexec_b32 s17, vcc_lo
	s_cbranch_execz .LBB4_6303
; %bb.6296:                             ;   in Loop: Header=BB4_6267 Depth=3
	v_mov_b32_e32 v16, 0
	s_mov_b32 s18, exec_lo
	v_cmpx_ne_u32_e32 0, v20
	s_cbranch_execz .LBB4_6302
; %bb.6297:                             ;   in Loop: Header=BB4_6267 Depth=3
	v_bfe_u32 v16, v20, 23, 8
	v_and_b32_e32 v18, 0x7fffff, v20
	v_sub_nc_u32_e32 v19, 0x78, v16
	v_cmp_gt_u32_e32 vcc_lo, 0x79, v16
	v_or_b32_e32 v21, 0x800000, v18
	v_cndmask_b32_e32 v19, 0, v19, vcc_lo
	v_cmp_eq_u32_e32 vcc_lo, 0, v16
	v_add_nc_u32_e32 v16, 0xffffff89, v16
	v_cndmask_b32_e64 v19, v19, 0x77, vcc_lo
	v_cndmask_b32_e32 v18, v21, v18, vcc_lo
	v_cndmask_b32_e64 v16, v16, 0xffffff8a, vcc_lo
	v_lshl_add_u32 v21, 0x100000, v19, -1
	v_lshrrev_b32_e32 v22, v19, v18
	v_lshlrev_b32_e64 v82, v19, 0x80000
	v_add_nc_u32_e32 v19, v19, v16
	v_and_b32_e32 v18, v21, v18
	v_bfe_u32 v23, v22, 20, 1
	v_cmp_eq_u32_e64 s16, v18, v82
	v_add_nc_u32_e32 v21, -1, v23
	v_cndmask_b32_e64 v18, 0, v21, s16
	v_lshrrev_b32_e32 v21, 23, v22
	s_mov_b32 s16, exec_lo
	v_add_nc_u32_e32 v18, v18, v22
	v_xor_b32_e32 v21, 1, v21
	v_and_b32_e32 v16, 0xfffff, v18
	v_add_nc_u32_e32 v18, v16, v22
                                        ; implicit-def: $vgpr16
	v_cmpx_ne_u32_e64 v19, v21
	s_xor_b32 s16, exec_lo, s16
; %bb.6298:                             ;   in Loop: Header=BB4_6267 Depth=3
	v_cmp_lt_u32_e32 vcc_lo, 0xffffff, v18
	v_sub_nc_u32_e32 v16, v19, v21
	v_cndmask_b32_e64 v19, 0, 1, vcc_lo
	v_add_co_ci_u32_e64 v16, null, 0, v16, vcc_lo
	v_lshrrev_b32_e32 v18, v19, v18
; %bb.6299:                             ;   in Loop: Header=BB4_6267 Depth=3
	s_andn2_saveexec_b32 s16, s16
; %bb.6300:                             ;   in Loop: Header=BB4_6267 Depth=3
	v_bfe_u32 v16, v18, 23, 1
; %bb.6301:                             ;   in Loop: Header=BB4_6267 Depth=3
	s_or_b32 exec_lo, exec_lo, s16
	v_lshrrev_b32_e32 v18, 20, v18
	v_cmp_gt_i32_e32 vcc_lo, 16, v16
	v_min_i32_e32 v19, 15, v16
	v_and_b32_sdwa v20, v20, v118 dst_sel:DWORD dst_unused:UNUSED_PAD src0_sel:BYTE_3 src1_sel:DWORD
	v_cndmask_b32_e32 v18, 7, v18, vcc_lo
	v_lshlrev_b32_e32 v19, 3, v19
	v_and_b32_e32 v21, 7, v18
	v_or_b32_e32 v16, v16, v18
	v_or3_b32 v18, v19, v20, v21
	v_cmp_ne_u32_e32 vcc_lo, 0, v16
	v_cndmask_b32_e32 v16, 0, v18, vcc_lo
.LBB4_6302:                             ;   in Loop: Header=BB4_6267 Depth=3
	s_or_b32 exec_lo, exec_lo, s18
.LBB4_6303:                             ;   in Loop: Header=BB4_6267 Depth=3
	s_or_b32 exec_lo, exec_lo, s17
	s_mov_b64 s[18:19], 0
	s_mov_b32 s74, -1
	.p2align	6
.LBB4_6304:                             ;   Parent Loop BB4_47 Depth=1
                                        ;     Parent Loop BB4_3351 Depth=2
                                        ;       Parent Loop BB4_6267 Depth=3
                                        ; =>      This Inner Loop Header: Depth=4
	s_cmp_eq_u32 s18, 1
	s_cselect_b32 vcc_lo, -1, 0
	s_cmp_eq_u32 s18, 0
	v_cndmask_b32_e32 v18, v8, v10, vcc_lo
	v_cndmask_b32_e32 v19, v9, v11, vcc_lo
	s_mov_b64 s[18:19], 1
	v_add_co_u32 v20, s16, v18, 32
	v_add_co_ci_u32_e64 v21, null, 0, v19, s16
	s_cselect_b32 s16, -1, 0
	v_cndmask_b32_e32 v10, v10, v20, vcc_lo
	v_cndmask_b32_e64 v8, v8, v20, s16
	v_cndmask_b32_e32 v11, v11, v21, vcc_lo
	v_cndmask_b32_e64 v9, v9, v21, s16
	s_and_b32 s17, exec_lo, s74
	s_mov_b32 s74, 0
	s_mov_b32 vcc_lo, s17
	flat_store_byte v[18:19], v16 glc slc
	s_cbranch_vccnz .LBB4_6304
; %bb.6305:                             ;   in Loop: Header=BB4_6267 Depth=3
	v_add_co_u32 v12, vcc_lo, v12, v60
	v_sub_nc_u32_e32 v17, v17, v114
	v_add_co_ci_u32_e64 v13, null, v13, v61, vcc_lo
	v_add_co_u32 v14, vcc_lo, v14, v60
	v_add_co_ci_u32_e64 v15, null, v15, v61, vcc_lo
	v_add_co_u32 v8, vcc_lo, v8, v46
	v_add_co_ci_u32_e64 v9, null, v9, v57, vcc_lo
	v_cmp_gt_i32_e32 vcc_lo, 1, v17
	v_add_co_u32 v10, s16, v10, v46
	v_add_co_ci_u32_e64 v11, null, v11, v57, s16
	s_or_b32 s23, vcc_lo, s23
	s_andn2_b32 exec_lo, exec_lo, s23
	s_cbranch_execnz .LBB4_6267
	s_branch .LBB4_6314
.LBB4_6306:                             ;   in Loop: Header=BB4_6267 Depth=3
	s_or_saveexec_b32 s17, s17
	v_mov_b32_e32 v20, 0x7f800001
	s_xor_b32 exec_lo, exec_lo, s17
	s_cbranch_execz .LBB4_6272
.LBB4_6307:                             ;   in Loop: Header=BB4_6267 Depth=3
	v_cmp_ne_u16_sdwa s18, v19, v2 src0_sel:BYTE_0 src1_sel:DWORD
	v_mov_b32_e32 v20, 0
	s_andn2_b32 s16, s16, exec_lo
	s_and_b32 s18, s18, exec_lo
	s_or_b32 s16, s16, s18
	s_or_b32 exec_lo, exec_lo, s17
	s_and_saveexec_b32 s17, s16
	s_cbranch_execnz .LBB4_6273
	s_branch .LBB4_6274
.LBB4_6308:                             ;   in Loop: Header=BB4_6267 Depth=3
	s_or_saveexec_b32 s17, s17
	v_mov_b32_e32 v21, 0x7f800001
	s_xor_b32 exec_lo, exec_lo, s17
	s_cbranch_execz .LBB4_6278
.LBB4_6309:                             ;   in Loop: Header=BB4_6267 Depth=3
	v_cmp_ne_u16_sdwa s18, v18, v2 src0_sel:BYTE_0 src1_sel:DWORD
	v_mov_b32_e32 v21, 0
	s_andn2_b32 s16, s16, exec_lo
	s_and_b32 s18, s18, exec_lo
	s_or_b32 s16, s16, s18
	s_or_b32 exec_lo, exec_lo, s17
	s_and_saveexec_b32 s17, s16
	s_cbranch_execnz .LBB4_6279
	s_branch .LBB4_6280
.LBB4_6310:                             ;   in Loop: Header=BB4_6267 Depth=3
	s_or_saveexec_b32 s17, s17
	v_mov_b32_e32 v20, 0x7f800001
	s_xor_b32 exec_lo, exec_lo, s17
	s_cbranch_execz .LBB4_6286
.LBB4_6311:                             ;   in Loop: Header=BB4_6267 Depth=3
	v_cmp_ne_u16_sdwa s18, v19, v2 src0_sel:BYTE_0 src1_sel:DWORD
	v_mov_b32_e32 v20, 0
	s_andn2_b32 s16, s16, exec_lo
	s_and_b32 s18, s18, exec_lo
	s_or_b32 s16, s16, s18
	s_or_b32 exec_lo, exec_lo, s17
	s_and_saveexec_b32 s17, s16
	s_cbranch_execnz .LBB4_6287
	s_branch .LBB4_6288
.LBB4_6312:                             ;   in Loop: Header=BB4_6267 Depth=3
	s_or_saveexec_b32 s17, s17
	v_mov_b32_e32 v19, 0x7f800001
	s_xor_b32 exec_lo, exec_lo, s17
	s_cbranch_execz .LBB4_6292
.LBB4_6313:                             ;   in Loop: Header=BB4_6267 Depth=3
	v_cmp_ne_u16_sdwa s18, v18, v2 src0_sel:BYTE_0 src1_sel:DWORD
	v_mov_b32_e32 v19, 0
	s_andn2_b32 s16, s16, exec_lo
	s_and_b32 s18, s18, exec_lo
	s_or_b32 s16, s16, s18
	s_or_b32 exec_lo, exec_lo, s17
	s_and_saveexec_b32 s17, s16
	s_cbranch_execnz .LBB4_6293
	s_branch .LBB4_6294
.LBB4_6314:                             ;   in Loop: Header=BB4_3351 Depth=2
	s_or_b32 exec_lo, exec_lo, s22
	s_mov_b32 s16, 0
.LBB4_6315:                             ;   in Loop: Header=BB4_3351 Depth=2
	s_and_b32 vcc_lo, exec_lo, s16
	s_cbranch_vccz .LBB4_9202
; %bb.6316:                             ;   in Loop: Header=BB4_3351 Depth=2
	s_mov_b32 s16, -1
	s_and_saveexec_b32 s17, s14
	s_cbranch_execz .LBB4_6318
; %bb.6317:                             ;   in Loop: Header=BB4_3351 Depth=2
	ds_read_b32 v8, v0 offset:720
	s_waitcnt lgkmcnt(0)
	v_and_b32_e32 v8, 15, v8
	v_cmp_eq_u32_e32 vcc_lo, 0, v8
	s_orn2_b32 s16, vcc_lo, exec_lo
.LBB4_6318:                             ;   in Loop: Header=BB4_3351 Depth=2
	s_or_b32 exec_lo, exec_lo, s17
	s_and_saveexec_b32 s17, s12
	s_cbranch_execz .LBB4_6320
; %bb.6319:                             ;   in Loop: Header=BB4_3351 Depth=2
	ds_read_b32 v8, v0 offset:784
	s_waitcnt lgkmcnt(0)
	v_and_b32_e32 v8, 15, v8
	v_cmp_eq_u32_e32 vcc_lo, 0, v8
	s_and_b32 s18, s16, vcc_lo
	s_andn2_b32 s16, s16, exec_lo
	s_and_b32 s18, s18, exec_lo
	s_or_b32 s16, s16, s18
.LBB4_6320:                             ;   in Loop: Header=BB4_3351 Depth=2
	s_or_b32 exec_lo, exec_lo, s17
	s_xor_b32 s16, s16, -1
	v_mov_b32_e32 v14, 0
	v_cndmask_b32_e64 v8, 0, 1, s16
	v_mov_b32_e32 v15, v76
	v_mov_b32_e32 v16, v0
	s_mov_b32 s16, -1
	v_cmp_ne_u32_e32 vcc_lo, 0, v8
	s_cbranch_vccz .LBB4_6322
; %bb.6321:                             ;   in Loop: Header=BB4_3351 Depth=2
	s_and_saveexec_b32 s17, s16
	s_cbranch_execnz .LBB4_8445
	s_branch .LBB4_9201
.LBB4_6322:                             ;   in Loop: Header=BB4_3351 Depth=2
	v_ashrrev_i32_e32 v8, 31, v76
	s_mov_b32 s17, exec_lo
	v_lshrrev_b32_e32 v8, 22, v8
	v_add_nc_u32_e32 v8, v76, v8
	v_ashrrev_i32_e32 v97, 10, v8
	v_sub_nc_u32_e32 v96, v97, v113
	v_cmpx_lt_i32_e32 0, v96
	s_cbranch_execz .LBB4_7734
; %bb.6323:                             ;   in Loop: Header=BB4_3351 Depth=2
	s_trap 2
	ds_read_b64 v[8:9], v0
	v_add_co_u32 v82, vcc_lo, v69, v47
	v_add_co_ci_u32_e64 v83, null, 0, v70, vcc_lo
	s_bitcmp1_b32 s72, 0
	s_mov_b32 s18, 0
	s_cselect_b32 s19, -1, 0
	s_waitcnt lgkmcnt(0)
	v_add_co_u32 v84, vcc_lo, v8, v47
	v_add_co_ci_u32_e64 v85, null, 0, v9, vcc_lo
	v_add_co_u32 v86, vcc_lo, v80, v47
	v_add_co_ci_u32_e64 v87, null, 0, v81, vcc_lo
	s_branch .LBB4_6327
.LBB4_6324:                             ;   in Loop: Header=BB4_6327 Depth=3
	s_or_b32 exec_lo, exec_lo, s16
	v_lshrrev_b32_e32 v15, 20, v15
	v_min_i32_e32 v109, 15, v11
	v_cmp_gt_i32_e32 vcc_lo, 16, v11
	v_and_b32_sdwa v108, v108, v118 dst_sel:DWORD dst_unused:UNUSED_PAD src0_sel:BYTE_3 src1_sel:DWORD
	v_lshlrev_b32_e32 v109, 3, v109
	v_cndmask_b32_e32 v15, 7, v15, vcc_lo
	v_and_b32_e32 v109, 0xf8, v109
	v_and_b32_e32 v110, 7, v15
	v_or_b32_e32 v11, v11, v15
	v_or3_b32 v108, v108, v109, v110
	v_cmp_ne_u32_e32 vcc_lo, 0, v11
	v_lshlrev_b32_e32 v15, 8, v108
	v_cndmask_b32_e32 v11, 0, v15, vcc_lo
.LBB4_6325:                             ;   in Loop: Header=BB4_6327 Depth=3
	s_or_b32 exec_lo, exec_lo, s23
.LBB4_6326:                             ;   in Loop: Header=BB4_6327 Depth=3
	s_or_b32 exec_lo, exec_lo, s22
	v_or_b32_sdwa v15, v17, v79 dst_sel:WORD_1 dst_unused:UNUSED_PAD src0_sel:DWORD src1_sel:DWORD
	v_or_b32_sdwa v17, v16, v77 dst_sel:WORD_1 dst_unused:UNUSED_PAD src0_sel:DWORD src1_sel:DWORD
	;; [unrolled: 1-line block ×5, first 2 shown]
	v_or3_b32 v16, v78, v20, v15
	v_or3_b32 v15, v99, v98, v17
	;; [unrolled: 1-line block ×3, first 2 shown]
	v_or_b32_sdwa v18, v19, v91 dst_sel:WORD_1 dst_unused:UNUSED_PAD src0_sel:DWORD src1_sel:DWORD
	v_or_b32_sdwa v10, v10, v105 dst_sel:WORD_1 dst_unused:UNUSED_PAD src0_sel:DWORD src1_sel:DWORD
	;; [unrolled: 1-line block ×3, first 2 shown]
	v_sub_nc_u32_e32 v96, v96, v103
	v_or3_b32 v9, v94, v12, v9
	v_or3_b32 v18, v90, v22, v18
	;; [unrolled: 1-line block ×5, first 2 shown]
	v_add_co_u32 v82, vcc_lo, v82, v45
	v_add_co_ci_u32_e64 v83, null, 0, v83, vcc_lo
	v_add_co_u32 v84, vcc_lo, v84, v45
	global_store_dwordx4 v[86:87], v[15:18], off glc slc
	global_store_dwordx4 v[86:87], v[8:11], off offset:512 glc slc
	v_add_co_ci_u32_e64 v85, null, 0, v85, vcc_lo
	v_cmp_gt_i32_e32 vcc_lo, 1, v96
	v_add_co_u32 v86, s16, v86, v45
	v_add_co_ci_u32_e64 v87, null, 0, v87, s16
	s_or_b32 s18, vcc_lo, s18
	s_andn2_b32 exec_lo, exec_lo, s18
	s_cbranch_execz .LBB4_7733
.LBB4_6327:                             ;   Parent Loop BB4_47 Depth=1
                                        ;     Parent Loop BB4_3351 Depth=2
                                        ; =>    This Inner Loop Header: Depth=3
	s_clause 0x1
	global_load_dwordx4 v[20:23], v[82:83], off slc
	global_load_dwordx4 v[12:15], v[82:83], off offset:512 slc
	s_clause 0x1
	global_load_dwordx4 v[16:19], v[84:85], off slc
	global_load_dwordx4 v[8:11], v[84:85], off offset:512 slc
	s_and_b32 vcc_lo, exec_lo, s19
	s_mov_b32 s16, -1
                                        ; implicit-def: $vgpr99
	s_waitcnt vmcnt(3)
	v_cmp_gt_i16_sdwa s22, v20, v117 src0_sel:BYTE_0 src1_sel:DWORD
	s_cbranch_vccz .LBB4_6341
; %bb.6328:                             ;   in Loop: Header=BB4_6327 Depth=3
	s_mov_b32 s16, 0
	s_and_saveexec_b32 s23, s22
	s_xor_b32 s22, exec_lo, s23
	s_cbranch_execz .LBB4_7477
; %bb.6329:                             ;   in Loop: Header=BB4_6327 Depth=3
	v_cmp_eq_u16_sdwa s73, v20, v118 src0_sel:BYTE_0 src1_sel:DWORD
	s_mov_b32 s16, -1
	s_and_saveexec_b32 s23, s73
; %bb.6330:                             ;   in Loop: Header=BB4_6327 Depth=3
	s_xor_b32 s16, exec_lo, -1
; %bb.6331:                             ;   in Loop: Header=BB4_6327 Depth=3
	s_or_b32 exec_lo, exec_lo, s23
	s_and_b32 s16, s16, exec_lo
	s_or_saveexec_b32 s22, s22
	v_mov_b32_e32 v98, 0x7f800001
	s_xor_b32 exec_lo, exec_lo, s22
	s_cbranch_execnz .LBB4_7478
.LBB4_6332:                             ;   in Loop: Header=BB4_6327 Depth=3
	s_or_b32 exec_lo, exec_lo, s22
	s_and_saveexec_b32 s22, s16
	s_cbranch_execz .LBB4_6334
.LBB4_6333:                             ;   in Loop: Header=BB4_6327 Depth=3
	v_and_b32_e32 v98, 7, v20
	v_bfe_u32 v78, v20, 3, 4
	v_lshlrev_b32_e32 v79, 24, v20
	v_ffbh_u32_e32 v99, v98
	v_cmp_eq_u32_e32 vcc_lo, 0, v78
	v_min_u32_e32 v99, 32, v99
	v_subrev_nc_u32_e32 v77, 28, v99
	v_sub_nc_u32_e32 v99, 29, v99
	v_lshlrev_b32_e32 v77, v77, v20
	v_cndmask_b32_e32 v99, v78, v99, vcc_lo
	v_and_b32_e32 v77, 7, v77
	v_lshl_add_u32 v99, v99, 23, 0x3b800000
	v_cndmask_b32_e32 v98, v98, v77, vcc_lo
	v_and_b32_e32 v77, 0x80000000, v79
	v_lshlrev_b32_e32 v98, 20, v98
	v_or3_b32 v98, v77, v99, v98
.LBB4_6334:                             ;   in Loop: Header=BB4_6327 Depth=3
	s_or_b32 exec_lo, exec_lo, s22
	s_waitcnt vmcnt(1)
	v_cmp_gt_i16_sdwa s22, v16, v117 src0_sel:BYTE_0 src1_sel:DWORD
	s_mov_b32 s16, 0
	s_and_saveexec_b32 s23, s22
	s_xor_b32 s22, exec_lo, s23
	s_cbranch_execz .LBB4_7479
; %bb.6335:                             ;   in Loop: Header=BB4_6327 Depth=3
	v_cmp_eq_u16_sdwa s73, v16, v118 src0_sel:BYTE_0 src1_sel:DWORD
	s_mov_b32 s16, -1
	s_and_saveexec_b32 s23, s73
; %bb.6336:                             ;   in Loop: Header=BB4_6327 Depth=3
	s_xor_b32 s16, exec_lo, -1
; %bb.6337:                             ;   in Loop: Header=BB4_6327 Depth=3
	s_or_b32 exec_lo, exec_lo, s23
	s_and_b32 s16, s16, exec_lo
	s_or_saveexec_b32 s22, s22
	v_mov_b32_e32 v99, 0x7f800001
	s_xor_b32 exec_lo, exec_lo, s22
	s_cbranch_execnz .LBB4_7480
.LBB4_6338:                             ;   in Loop: Header=BB4_6327 Depth=3
	s_or_b32 exec_lo, exec_lo, s22
	s_and_saveexec_b32 s22, s16
	s_cbranch_execz .LBB4_6340
.LBB4_6339:                             ;   in Loop: Header=BB4_6327 Depth=3
	v_and_b32_e32 v99, 7, v16
	v_bfe_u32 v79, v16, 3, 4
	v_lshlrev_b32_e32 v88, 24, v16
	v_ffbh_u32_e32 v77, v99
	v_cmp_eq_u32_e32 vcc_lo, 0, v79
	v_min_u32_e32 v77, 32, v77
	v_subrev_nc_u32_e32 v78, 28, v77
	v_sub_nc_u32_e32 v77, 29, v77
	v_lshlrev_b32_e32 v78, v78, v16
	v_cndmask_b32_e32 v77, v79, v77, vcc_lo
	v_and_b32_e32 v78, 7, v78
	v_lshl_add_u32 v77, v77, 23, 0x3b800000
	v_cndmask_b32_e32 v99, v99, v78, vcc_lo
	v_and_b32_e32 v78, 0x80000000, v88
	v_lshlrev_b32_e32 v99, 20, v99
	v_or3_b32 v99, v78, v77, v99
.LBB4_6340:                             ;   in Loop: Header=BB4_6327 Depth=3
	s_or_b32 exec_lo, exec_lo, s22
	v_max_f32_e32 v99, v99, v99
	v_max_f32_e32 v98, v98, v98
	s_mov_b32 s16, 0
	v_max_f32_e32 v99, v98, v99
.LBB4_6341:                             ;   in Loop: Header=BB4_6327 Depth=3
	s_and_b32 vcc_lo, exec_lo, s16
	s_cbranch_vccz .LBB4_6355
; %bb.6342:                             ;   in Loop: Header=BB4_6327 Depth=3
	v_cmp_gt_i16_sdwa s22, v20, v117 src0_sel:BYTE_0 src1_sel:DWORD
	s_mov_b32 s16, 0
	s_and_saveexec_b32 s23, s22
	s_xor_b32 s22, exec_lo, s23
	s_cbranch_execz .LBB4_7481
; %bb.6343:                             ;   in Loop: Header=BB4_6327 Depth=3
	v_cmp_eq_u16_sdwa s73, v20, v118 src0_sel:BYTE_0 src1_sel:DWORD
	s_mov_b32 s16, -1
	s_and_saveexec_b32 s23, s73
; %bb.6344:                             ;   in Loop: Header=BB4_6327 Depth=3
	s_xor_b32 s16, exec_lo, -1
; %bb.6345:                             ;   in Loop: Header=BB4_6327 Depth=3
	s_or_b32 exec_lo, exec_lo, s23
	s_and_b32 s16, s16, exec_lo
	s_or_saveexec_b32 s22, s22
	v_mov_b32_e32 v98, 0x7f800001
	s_xor_b32 exec_lo, exec_lo, s22
	s_cbranch_execnz .LBB4_7482
.LBB4_6346:                             ;   in Loop: Header=BB4_6327 Depth=3
	s_or_b32 exec_lo, exec_lo, s22
	s_and_saveexec_b32 s22, s16
	s_cbranch_execz .LBB4_6348
.LBB4_6347:                             ;   in Loop: Header=BB4_6327 Depth=3
	v_and_b32_e32 v98, 7, v20
	v_bfe_u32 v78, v20, 3, 4
	v_lshlrev_b32_e32 v79, 24, v20
	v_ffbh_u32_e32 v99, v98
	v_cmp_eq_u32_e32 vcc_lo, 0, v78
	v_min_u32_e32 v99, 32, v99
	v_subrev_nc_u32_e32 v77, 28, v99
	v_sub_nc_u32_e32 v99, 29, v99
	v_lshlrev_b32_e32 v77, v77, v20
	v_cndmask_b32_e32 v99, v78, v99, vcc_lo
	v_and_b32_e32 v77, 7, v77
	v_lshl_add_u32 v99, v99, 23, 0x3b800000
	v_cndmask_b32_e32 v98, v98, v77, vcc_lo
	v_and_b32_e32 v77, 0x80000000, v79
	v_lshlrev_b32_e32 v98, 20, v98
	v_or3_b32 v98, v77, v99, v98
.LBB4_6348:                             ;   in Loop: Header=BB4_6327 Depth=3
	s_or_b32 exec_lo, exec_lo, s22
	s_waitcnt vmcnt(1)
	v_cmp_gt_i16_sdwa s22, v16, v117 src0_sel:BYTE_0 src1_sel:DWORD
	s_mov_b32 s16, 0
	s_and_saveexec_b32 s23, s22
	s_xor_b32 s22, exec_lo, s23
	s_cbranch_execz .LBB4_7483
; %bb.6349:                             ;   in Loop: Header=BB4_6327 Depth=3
	v_cmp_eq_u16_sdwa s73, v16, v118 src0_sel:BYTE_0 src1_sel:DWORD
	s_mov_b32 s16, -1
	s_and_saveexec_b32 s23, s73
; %bb.6350:                             ;   in Loop: Header=BB4_6327 Depth=3
	s_xor_b32 s16, exec_lo, -1
; %bb.6351:                             ;   in Loop: Header=BB4_6327 Depth=3
	s_or_b32 exec_lo, exec_lo, s23
	s_and_b32 s16, s16, exec_lo
	s_or_saveexec_b32 s22, s22
	v_mov_b32_e32 v99, 0x7f800001
	s_xor_b32 exec_lo, exec_lo, s22
	s_cbranch_execnz .LBB4_7484
.LBB4_6352:                             ;   in Loop: Header=BB4_6327 Depth=3
	s_or_b32 exec_lo, exec_lo, s22
	s_and_saveexec_b32 s22, s16
	s_cbranch_execz .LBB4_6354
.LBB4_6353:                             ;   in Loop: Header=BB4_6327 Depth=3
	v_and_b32_e32 v99, 7, v16
	v_bfe_u32 v79, v16, 3, 4
	v_lshlrev_b32_e32 v88, 24, v16
	v_ffbh_u32_e32 v77, v99
	v_cmp_eq_u32_e32 vcc_lo, 0, v79
	v_min_u32_e32 v77, 32, v77
	v_subrev_nc_u32_e32 v78, 28, v77
	v_sub_nc_u32_e32 v77, 29, v77
	v_lshlrev_b32_e32 v78, v78, v16
	v_cndmask_b32_e32 v77, v79, v77, vcc_lo
	v_and_b32_e32 v78, 7, v78
	v_lshl_add_u32 v77, v77, 23, 0x3b800000
	v_cndmask_b32_e32 v99, v99, v78, vcc_lo
	v_and_b32_e32 v78, 0x80000000, v88
	v_lshlrev_b32_e32 v99, 20, v99
	v_or3_b32 v99, v78, v77, v99
.LBB4_6354:                             ;   in Loop: Header=BB4_6327 Depth=3
	s_or_b32 exec_lo, exec_lo, s22
	v_max_f32_e32 v99, v99, v99
	v_max_f32_e32 v98, v98, v98
	v_min_f32_e32 v99, v98, v99
.LBB4_6355:                             ;   in Loop: Header=BB4_6327 Depth=3
	v_and_b32_e32 v98, 0x7f800000, v99
	v_cmp_ne_u32_e32 vcc_lo, 0x7f800000, v98
	v_mov_b32_e32 v98, 0x80
	s_and_saveexec_b32 s22, vcc_lo
	s_cbranch_execz .LBB4_6363
; %bb.6356:                             ;   in Loop: Header=BB4_6327 Depth=3
	v_mov_b32_e32 v98, 0
	s_mov_b32 s23, exec_lo
	v_cmpx_ne_u32_e32 0, v99
	s_cbranch_execz .LBB4_6362
; %bb.6357:                             ;   in Loop: Header=BB4_6327 Depth=3
	v_bfe_u32 v98, v99, 23, 8
	v_and_b32_e32 v77, 0x7fffff, v99
	v_sub_nc_u32_e32 v78, 0x78, v98
	v_cmp_gt_u32_e32 vcc_lo, 0x79, v98
	v_or_b32_e32 v79, 0x800000, v77
	v_cndmask_b32_e32 v78, 0, v78, vcc_lo
	v_cmp_eq_u32_e32 vcc_lo, 0, v98
	v_add_nc_u32_e32 v98, 0xffffff89, v98
	v_cndmask_b32_e64 v78, v78, 0x77, vcc_lo
	v_cndmask_b32_e32 v77, v79, v77, vcc_lo
	v_cndmask_b32_e64 v98, v98, 0xffffff8a, vcc_lo
	v_lshl_add_u32 v79, 0x100000, v78, -1
	v_lshrrev_b32_e32 v88, v78, v77
	v_lshlrev_b32_e64 v90, v78, 0x80000
	v_add_nc_u32_e32 v78, v78, v98
	v_and_b32_e32 v77, v79, v77
	v_bfe_u32 v89, v88, 20, 1
	v_cmp_eq_u32_e64 s16, v77, v90
	v_add_nc_u32_e32 v79, -1, v89
	v_cndmask_b32_e64 v77, 0, v79, s16
	v_lshrrev_b32_e32 v79, 23, v88
	s_mov_b32 s16, exec_lo
	v_add_nc_u32_e32 v77, v77, v88
	v_xor_b32_e32 v79, 1, v79
	v_and_b32_e32 v98, 0xfffff, v77
	v_add_nc_u32_e32 v77, v98, v88
                                        ; implicit-def: $vgpr98
	v_cmpx_ne_u32_e64 v78, v79
	s_xor_b32 s16, exec_lo, s16
; %bb.6358:                             ;   in Loop: Header=BB4_6327 Depth=3
	v_cmp_lt_u32_e32 vcc_lo, 0xffffff, v77
	v_sub_nc_u32_e32 v98, v78, v79
	v_cndmask_b32_e64 v78, 0, 1, vcc_lo
	v_add_co_ci_u32_e64 v98, null, 0, v98, vcc_lo
	v_lshrrev_b32_e32 v77, v78, v77
; %bb.6359:                             ;   in Loop: Header=BB4_6327 Depth=3
	s_andn2_saveexec_b32 s16, s16
; %bb.6360:                             ;   in Loop: Header=BB4_6327 Depth=3
	v_bfe_u32 v98, v77, 23, 1
; %bb.6361:                             ;   in Loop: Header=BB4_6327 Depth=3
	s_or_b32 exec_lo, exec_lo, s16
	v_lshrrev_b32_e32 v77, 20, v77
	v_min_i32_e32 v78, 15, v98
	v_cmp_gt_i32_e32 vcc_lo, 16, v98
	v_and_b32_sdwa v99, v99, v118 dst_sel:DWORD dst_unused:UNUSED_PAD src0_sel:BYTE_3 src1_sel:DWORD
	v_lshlrev_b32_e32 v78, 3, v78
	v_cndmask_b32_e32 v77, 7, v77, vcc_lo
	v_and_b32_e32 v78, 0xf8, v78
	v_and_b32_e32 v79, 7, v77
	v_or_b32_e32 v98, v98, v77
	v_or3_b32 v99, v78, v99, v79
	v_cmp_ne_u32_e32 vcc_lo, 0, v98
	v_cndmask_b32_e32 v98, 0, v99, vcc_lo
.LBB4_6362:                             ;   in Loop: Header=BB4_6327 Depth=3
	s_or_b32 exec_lo, exec_lo, s23
.LBB4_6363:                             ;   in Loop: Header=BB4_6327 Depth=3
	s_or_b32 exec_lo, exec_lo, s22
	v_cmp_gt_i16_sdwa s22, v20, v117 src0_sel:BYTE_1 src1_sel:DWORD
	s_and_b32 vcc_lo, exec_lo, s19
	s_mov_b32 s16, -1
                                        ; implicit-def: $vgpr77
	s_cbranch_vccz .LBB4_6377
; %bb.6364:                             ;   in Loop: Header=BB4_6327 Depth=3
	s_mov_b32 s16, 0
	s_and_saveexec_b32 s23, s22
	s_xor_b32 s22, exec_lo, s23
	s_cbranch_execz .LBB4_7485
; %bb.6365:                             ;   in Loop: Header=BB4_6327 Depth=3
	v_cmp_eq_u16_sdwa s73, v20, v118 src0_sel:BYTE_1 src1_sel:DWORD
	s_mov_b32 s16, -1
	s_and_saveexec_b32 s23, s73
; %bb.6366:                             ;   in Loop: Header=BB4_6327 Depth=3
	s_xor_b32 s16, exec_lo, -1
; %bb.6367:                             ;   in Loop: Header=BB4_6327 Depth=3
	s_or_b32 exec_lo, exec_lo, s23
	s_and_b32 s16, s16, exec_lo
	s_or_saveexec_b32 s22, s22
	v_mov_b32_e32 v99, 0x7f800001
	s_xor_b32 exec_lo, exec_lo, s22
	s_cbranch_execnz .LBB4_7486
.LBB4_6368:                             ;   in Loop: Header=BB4_6327 Depth=3
	s_or_b32 exec_lo, exec_lo, s22
	s_and_saveexec_b32 s22, s16
	s_cbranch_execz .LBB4_6370
.LBB4_6369:                             ;   in Loop: Header=BB4_6327 Depth=3
	v_and_b32_sdwa v99, v119, v20 dst_sel:DWORD dst_unused:UNUSED_PAD src0_sel:DWORD src1_sel:BYTE_1
	v_and_b32_e32 v77, 7, v99
	v_bfe_u32 v88, v99, 3, 4
	v_ffbh_u32_e32 v78, v77
	v_cmp_eq_u32_e32 vcc_lo, 0, v88
	v_min_u32_e32 v78, 32, v78
	v_subrev_nc_u32_e32 v79, 28, v78
	v_sub_nc_u32_e32 v78, 29, v78
	v_lshlrev_b32_e32 v99, v79, v99
	v_lshlrev_b32_e32 v79, 16, v20
	v_cndmask_b32_e32 v78, v88, v78, vcc_lo
	v_and_b32_e32 v99, 7, v99
	v_lshl_add_u32 v78, v78, 23, 0x3b800000
	v_cndmask_b32_e32 v99, v77, v99, vcc_lo
	v_and_b32_e32 v77, 0x80000000, v79
	v_lshlrev_b32_e32 v99, 20, v99
	v_or3_b32 v99, v77, v78, v99
.LBB4_6370:                             ;   in Loop: Header=BB4_6327 Depth=3
	s_or_b32 exec_lo, exec_lo, s22
	s_waitcnt vmcnt(1)
	v_cmp_gt_i16_sdwa s22, v16, v117 src0_sel:BYTE_1 src1_sel:DWORD
	s_mov_b32 s16, 0
	s_and_saveexec_b32 s23, s22
	s_xor_b32 s22, exec_lo, s23
	s_cbranch_execz .LBB4_7487
; %bb.6371:                             ;   in Loop: Header=BB4_6327 Depth=3
	v_cmp_eq_u16_sdwa s73, v16, v118 src0_sel:BYTE_1 src1_sel:DWORD
	s_mov_b32 s16, -1
	s_and_saveexec_b32 s23, s73
; %bb.6372:                             ;   in Loop: Header=BB4_6327 Depth=3
	s_xor_b32 s16, exec_lo, -1
; %bb.6373:                             ;   in Loop: Header=BB4_6327 Depth=3
	s_or_b32 exec_lo, exec_lo, s23
	s_and_b32 s16, s16, exec_lo
	s_or_saveexec_b32 s22, s22
	v_mov_b32_e32 v77, 0x7f800001
	s_xor_b32 exec_lo, exec_lo, s22
	s_cbranch_execnz .LBB4_7488
.LBB4_6374:                             ;   in Loop: Header=BB4_6327 Depth=3
	s_or_b32 exec_lo, exec_lo, s22
	s_and_saveexec_b32 s22, s16
	s_cbranch_execz .LBB4_6376
.LBB4_6375:                             ;   in Loop: Header=BB4_6327 Depth=3
	v_and_b32_sdwa v77, v119, v16 dst_sel:DWORD dst_unused:UNUSED_PAD src0_sel:DWORD src1_sel:BYTE_1
	v_and_b32_e32 v78, 7, v77
	v_bfe_u32 v89, v77, 3, 4
	v_ffbh_u32_e32 v79, v78
	v_cmp_eq_u32_e32 vcc_lo, 0, v89
	v_min_u32_e32 v79, 32, v79
	v_subrev_nc_u32_e32 v88, 28, v79
	v_sub_nc_u32_e32 v79, 29, v79
	v_lshlrev_b32_e32 v77, v88, v77
	v_lshlrev_b32_e32 v88, 16, v16
	v_cndmask_b32_e32 v79, v89, v79, vcc_lo
	v_and_b32_e32 v77, 7, v77
	v_lshl_add_u32 v79, v79, 23, 0x3b800000
	v_cndmask_b32_e32 v77, v78, v77, vcc_lo
	v_and_b32_e32 v78, 0x80000000, v88
	v_lshlrev_b32_e32 v77, 20, v77
	v_or3_b32 v77, v78, v79, v77
.LBB4_6376:                             ;   in Loop: Header=BB4_6327 Depth=3
	s_or_b32 exec_lo, exec_lo, s22
	v_max_f32_e32 v77, v77, v77
	v_max_f32_e32 v99, v99, v99
	s_mov_b32 s16, 0
	v_max_f32_e32 v77, v99, v77
.LBB4_6377:                             ;   in Loop: Header=BB4_6327 Depth=3
	s_and_b32 vcc_lo, exec_lo, s16
	s_cbranch_vccz .LBB4_6391
; %bb.6378:                             ;   in Loop: Header=BB4_6327 Depth=3
	v_cmp_gt_i16_sdwa s22, v20, v117 src0_sel:BYTE_1 src1_sel:DWORD
	s_mov_b32 s16, 0
	s_and_saveexec_b32 s23, s22
	s_xor_b32 s22, exec_lo, s23
	s_cbranch_execz .LBB4_7489
; %bb.6379:                             ;   in Loop: Header=BB4_6327 Depth=3
	v_cmp_eq_u16_sdwa s73, v20, v118 src0_sel:BYTE_1 src1_sel:DWORD
	s_mov_b32 s16, -1
	s_and_saveexec_b32 s23, s73
; %bb.6380:                             ;   in Loop: Header=BB4_6327 Depth=3
	s_xor_b32 s16, exec_lo, -1
; %bb.6381:                             ;   in Loop: Header=BB4_6327 Depth=3
	s_or_b32 exec_lo, exec_lo, s23
	s_and_b32 s16, s16, exec_lo
	s_or_saveexec_b32 s22, s22
	v_mov_b32_e32 v99, 0x7f800001
	s_xor_b32 exec_lo, exec_lo, s22
	s_cbranch_execnz .LBB4_7490
.LBB4_6382:                             ;   in Loop: Header=BB4_6327 Depth=3
	s_or_b32 exec_lo, exec_lo, s22
	s_and_saveexec_b32 s22, s16
	s_cbranch_execz .LBB4_6384
.LBB4_6383:                             ;   in Loop: Header=BB4_6327 Depth=3
	v_and_b32_sdwa v99, v119, v20 dst_sel:DWORD dst_unused:UNUSED_PAD src0_sel:DWORD src1_sel:BYTE_1
	v_and_b32_e32 v77, 7, v99
	v_bfe_u32 v88, v99, 3, 4
	v_ffbh_u32_e32 v78, v77
	v_cmp_eq_u32_e32 vcc_lo, 0, v88
	v_min_u32_e32 v78, 32, v78
	v_subrev_nc_u32_e32 v79, 28, v78
	v_sub_nc_u32_e32 v78, 29, v78
	v_lshlrev_b32_e32 v99, v79, v99
	v_lshlrev_b32_e32 v79, 16, v20
	v_cndmask_b32_e32 v78, v88, v78, vcc_lo
	v_and_b32_e32 v99, 7, v99
	v_lshl_add_u32 v78, v78, 23, 0x3b800000
	v_cndmask_b32_e32 v99, v77, v99, vcc_lo
	v_and_b32_e32 v77, 0x80000000, v79
	v_lshlrev_b32_e32 v99, 20, v99
	v_or3_b32 v99, v77, v78, v99
.LBB4_6384:                             ;   in Loop: Header=BB4_6327 Depth=3
	s_or_b32 exec_lo, exec_lo, s22
	s_waitcnt vmcnt(1)
	v_cmp_gt_i16_sdwa s22, v16, v117 src0_sel:BYTE_1 src1_sel:DWORD
	s_mov_b32 s16, 0
	s_and_saveexec_b32 s23, s22
	s_xor_b32 s22, exec_lo, s23
	s_cbranch_execz .LBB4_7491
; %bb.6385:                             ;   in Loop: Header=BB4_6327 Depth=3
	v_cmp_eq_u16_sdwa s73, v16, v118 src0_sel:BYTE_1 src1_sel:DWORD
	s_mov_b32 s16, -1
	s_and_saveexec_b32 s23, s73
; %bb.6386:                             ;   in Loop: Header=BB4_6327 Depth=3
	s_xor_b32 s16, exec_lo, -1
; %bb.6387:                             ;   in Loop: Header=BB4_6327 Depth=3
	s_or_b32 exec_lo, exec_lo, s23
	s_and_b32 s16, s16, exec_lo
	s_or_saveexec_b32 s22, s22
	v_mov_b32_e32 v77, 0x7f800001
	s_xor_b32 exec_lo, exec_lo, s22
	s_cbranch_execnz .LBB4_7492
.LBB4_6388:                             ;   in Loop: Header=BB4_6327 Depth=3
	s_or_b32 exec_lo, exec_lo, s22
	s_and_saveexec_b32 s22, s16
	s_cbranch_execz .LBB4_6390
.LBB4_6389:                             ;   in Loop: Header=BB4_6327 Depth=3
	v_and_b32_sdwa v77, v119, v16 dst_sel:DWORD dst_unused:UNUSED_PAD src0_sel:DWORD src1_sel:BYTE_1
	v_and_b32_e32 v78, 7, v77
	v_bfe_u32 v89, v77, 3, 4
	v_ffbh_u32_e32 v79, v78
	v_cmp_eq_u32_e32 vcc_lo, 0, v89
	v_min_u32_e32 v79, 32, v79
	v_subrev_nc_u32_e32 v88, 28, v79
	v_sub_nc_u32_e32 v79, 29, v79
	v_lshlrev_b32_e32 v77, v88, v77
	v_lshlrev_b32_e32 v88, 16, v16
	v_cndmask_b32_e32 v79, v89, v79, vcc_lo
	v_and_b32_e32 v77, 7, v77
	v_lshl_add_u32 v79, v79, 23, 0x3b800000
	v_cndmask_b32_e32 v77, v78, v77, vcc_lo
	v_and_b32_e32 v78, 0x80000000, v88
	v_lshlrev_b32_e32 v77, 20, v77
	v_or3_b32 v77, v78, v79, v77
.LBB4_6390:                             ;   in Loop: Header=BB4_6327 Depth=3
	s_or_b32 exec_lo, exec_lo, s22
	v_max_f32_e32 v77, v77, v77
	v_max_f32_e32 v99, v99, v99
	v_min_f32_e32 v77, v99, v77
.LBB4_6391:                             ;   in Loop: Header=BB4_6327 Depth=3
	v_and_b32_e32 v99, 0x7f800000, v77
	v_cmp_ne_u32_e32 vcc_lo, 0x7f800000, v99
	v_mov_b32_e32 v99, 0x8000
	s_and_saveexec_b32 s22, vcc_lo
	s_cbranch_execz .LBB4_6399
; %bb.6392:                             ;   in Loop: Header=BB4_6327 Depth=3
	v_mov_b32_e32 v99, 0
	s_mov_b32 s23, exec_lo
	v_cmpx_ne_u32_e32 0, v77
	s_cbranch_execz .LBB4_6398
; %bb.6393:                             ;   in Loop: Header=BB4_6327 Depth=3
	v_bfe_u32 v99, v77, 23, 8
	v_and_b32_e32 v78, 0x7fffff, v77
	v_sub_nc_u32_e32 v79, 0x78, v99
	v_cmp_gt_u32_e32 vcc_lo, 0x79, v99
	v_or_b32_e32 v88, 0x800000, v78
	v_cndmask_b32_e32 v79, 0, v79, vcc_lo
	v_cmp_eq_u32_e32 vcc_lo, 0, v99
	v_add_nc_u32_e32 v99, 0xffffff89, v99
	v_cndmask_b32_e64 v79, v79, 0x77, vcc_lo
	v_cndmask_b32_e32 v78, v88, v78, vcc_lo
	v_cndmask_b32_e64 v99, v99, 0xffffff8a, vcc_lo
	v_lshl_add_u32 v88, 0x100000, v79, -1
	v_lshrrev_b32_e32 v89, v79, v78
	v_lshlrev_b32_e64 v91, v79, 0x80000
	v_add_nc_u32_e32 v79, v79, v99
	v_and_b32_e32 v78, v88, v78
	v_bfe_u32 v90, v89, 20, 1
	v_cmp_eq_u32_e64 s16, v78, v91
	v_add_nc_u32_e32 v88, -1, v90
	v_cndmask_b32_e64 v78, 0, v88, s16
	v_lshrrev_b32_e32 v88, 23, v89
	s_mov_b32 s16, exec_lo
	v_add_nc_u32_e32 v78, v78, v89
	v_xor_b32_e32 v88, 1, v88
	v_and_b32_e32 v99, 0xfffff, v78
	v_add_nc_u32_e32 v78, v99, v89
                                        ; implicit-def: $vgpr99
	v_cmpx_ne_u32_e64 v79, v88
	s_xor_b32 s16, exec_lo, s16
; %bb.6394:                             ;   in Loop: Header=BB4_6327 Depth=3
	v_cmp_lt_u32_e32 vcc_lo, 0xffffff, v78
	v_sub_nc_u32_e32 v99, v79, v88
	v_cndmask_b32_e64 v79, 0, 1, vcc_lo
	v_add_co_ci_u32_e64 v99, null, 0, v99, vcc_lo
	v_lshrrev_b32_e32 v78, v79, v78
; %bb.6395:                             ;   in Loop: Header=BB4_6327 Depth=3
	s_andn2_saveexec_b32 s16, s16
; %bb.6396:                             ;   in Loop: Header=BB4_6327 Depth=3
	v_bfe_u32 v99, v78, 23, 1
; %bb.6397:                             ;   in Loop: Header=BB4_6327 Depth=3
	s_or_b32 exec_lo, exec_lo, s16
	v_lshrrev_b32_e32 v78, 20, v78
	v_min_i32_e32 v79, 15, v99
	v_cmp_gt_i32_e32 vcc_lo, 16, v99
	v_and_b32_sdwa v77, v77, v118 dst_sel:DWORD dst_unused:UNUSED_PAD src0_sel:BYTE_3 src1_sel:DWORD
	v_lshlrev_b32_e32 v79, 3, v79
	v_cndmask_b32_e32 v78, 7, v78, vcc_lo
	v_and_b32_e32 v79, 0xf8, v79
	v_and_b32_e32 v88, 7, v78
	v_or_b32_e32 v99, v99, v78
	v_or3_b32 v77, v77, v79, v88
	v_cmp_ne_u32_e32 vcc_lo, 0, v99
	v_lshlrev_b32_e32 v77, 8, v77
	v_cndmask_b32_e32 v99, 0, v77, vcc_lo
.LBB4_6398:                             ;   in Loop: Header=BB4_6327 Depth=3
	s_or_b32 exec_lo, exec_lo, s23
.LBB4_6399:                             ;   in Loop: Header=BB4_6327 Depth=3
	s_or_b32 exec_lo, exec_lo, s22
	v_and_b32_sdwa v77, v20, v40 dst_sel:DWORD dst_unused:UNUSED_PAD src0_sel:WORD_1 src1_sel:DWORD
	s_and_b32 vcc_lo, exec_lo, s19
	s_mov_b32 s22, -1
                                        ; implicit-def: $vgpr78
	v_cmp_lt_i16_e64 s16, 0x7f, v77
	s_cbranch_vccz .LBB4_6413
; %bb.6400:                             ;   in Loop: Header=BB4_6327 Depth=3
	s_mov_b32 s22, 0
	s_and_saveexec_b32 s23, s16
	s_xor_b32 s16, exec_lo, s23
	s_cbranch_execz .LBB4_7493
; %bb.6401:                             ;   in Loop: Header=BB4_6327 Depth=3
	s_mov_b32 s22, -1
	s_mov_b32 s23, exec_lo
	v_cmpx_eq_u16_e32 0x80, v77
; %bb.6402:                             ;   in Loop: Header=BB4_6327 Depth=3
	s_xor_b32 s22, exec_lo, -1
; %bb.6403:                             ;   in Loop: Header=BB4_6327 Depth=3
	s_or_b32 exec_lo, exec_lo, s23
	s_and_b32 s22, s22, exec_lo
	s_or_saveexec_b32 s16, s16
	v_mov_b32_e32 v78, 0x7f800001
	s_xor_b32 exec_lo, exec_lo, s16
	s_cbranch_execnz .LBB4_7494
.LBB4_6404:                             ;   in Loop: Header=BB4_6327 Depth=3
	s_or_b32 exec_lo, exec_lo, s16
	s_and_saveexec_b32 s16, s22
	s_cbranch_execz .LBB4_6406
.LBB4_6405:                             ;   in Loop: Header=BB4_6327 Depth=3
	v_bfe_u32 v78, v20, 16, 3
	v_bfe_u32 v89, v20, 19, 4
	v_lshlrev_b32_sdwa v90, v41, v20 dst_sel:DWORD dst_unused:UNUSED_PAD src0_sel:DWORD src1_sel:WORD_1
	v_ffbh_u32_e32 v79, v78
	v_cmp_eq_u32_e32 vcc_lo, 0, v89
	v_min_u32_e32 v79, 32, v79
	v_subrev_nc_u32_e32 v88, 28, v79
	v_sub_nc_u32_e32 v79, 29, v79
	v_lshlrev_b32_sdwa v88, v88, v20 dst_sel:DWORD dst_unused:UNUSED_PAD src0_sel:DWORD src1_sel:WORD_1
	v_cndmask_b32_e32 v79, v89, v79, vcc_lo
	v_and_b32_e32 v88, 7, v88
	v_lshl_add_u32 v79, v79, 23, 0x3b800000
	v_cndmask_b32_e32 v78, v78, v88, vcc_lo
	v_and_b32_e32 v88, 0x80000000, v90
	v_lshlrev_b32_e32 v78, 20, v78
	v_or3_b32 v78, v88, v79, v78
.LBB4_6406:                             ;   in Loop: Header=BB4_6327 Depth=3
	s_or_b32 exec_lo, exec_lo, s16
	s_waitcnt vmcnt(1)
	v_and_b32_sdwa v88, v16, v40 dst_sel:DWORD dst_unused:UNUSED_PAD src0_sel:WORD_1 src1_sel:DWORD
	s_mov_b32 s16, 0
	s_mov_b32 s22, exec_lo
	v_cmpx_lt_i16_e32 0x7f, v88
	s_xor_b32 s22, exec_lo, s22
	s_cbranch_execz .LBB4_7495
; %bb.6407:                             ;   in Loop: Header=BB4_6327 Depth=3
	s_mov_b32 s16, -1
	s_mov_b32 s23, exec_lo
	v_cmpx_eq_u16_e32 0x80, v88
; %bb.6408:                             ;   in Loop: Header=BB4_6327 Depth=3
	s_xor_b32 s16, exec_lo, -1
; %bb.6409:                             ;   in Loop: Header=BB4_6327 Depth=3
	s_or_b32 exec_lo, exec_lo, s23
	s_and_b32 s16, s16, exec_lo
                                        ; implicit-def: $vgpr88
	s_or_saveexec_b32 s22, s22
	v_mov_b32_e32 v79, 0x7f800001
	s_xor_b32 exec_lo, exec_lo, s22
	s_cbranch_execnz .LBB4_7496
.LBB4_6410:                             ;   in Loop: Header=BB4_6327 Depth=3
	s_or_b32 exec_lo, exec_lo, s22
	s_and_saveexec_b32 s22, s16
	s_cbranch_execz .LBB4_6412
.LBB4_6411:                             ;   in Loop: Header=BB4_6327 Depth=3
	v_bfe_u32 v79, v16, 16, 3
	v_bfe_u32 v90, v16, 19, 4
	v_lshlrev_b32_sdwa v91, v41, v16 dst_sel:DWORD dst_unused:UNUSED_PAD src0_sel:DWORD src1_sel:WORD_1
	v_ffbh_u32_e32 v88, v79
	v_cmp_eq_u32_e32 vcc_lo, 0, v90
	v_min_u32_e32 v88, 32, v88
	v_subrev_nc_u32_e32 v89, 28, v88
	v_sub_nc_u32_e32 v88, 29, v88
	v_lshlrev_b32_sdwa v89, v89, v16 dst_sel:DWORD dst_unused:UNUSED_PAD src0_sel:DWORD src1_sel:WORD_1
	v_cndmask_b32_e32 v88, v90, v88, vcc_lo
	v_and_b32_e32 v89, 7, v89
	v_lshl_add_u32 v88, v88, 23, 0x3b800000
	v_cndmask_b32_e32 v79, v79, v89, vcc_lo
	v_and_b32_e32 v89, 0x80000000, v91
	v_lshlrev_b32_e32 v79, 20, v79
	v_or3_b32 v79, v89, v88, v79
.LBB4_6412:                             ;   in Loop: Header=BB4_6327 Depth=3
	s_or_b32 exec_lo, exec_lo, s22
	v_max_f32_e32 v79, v79, v79
	v_max_f32_e32 v78, v78, v78
	s_mov_b32 s22, 0
	v_max_f32_e32 v78, v78, v79
.LBB4_6413:                             ;   in Loop: Header=BB4_6327 Depth=3
	s_and_b32 vcc_lo, exec_lo, s22
	s_cbranch_vccz .LBB4_6427
; %bb.6414:                             ;   in Loop: Header=BB4_6327 Depth=3
	s_mov_b32 s16, 0
	s_mov_b32 s22, exec_lo
	v_cmpx_lt_i16_e32 0x7f, v77
	s_xor_b32 s22, exec_lo, s22
	s_cbranch_execz .LBB4_7497
; %bb.6415:                             ;   in Loop: Header=BB4_6327 Depth=3
	s_mov_b32 s16, -1
	s_mov_b32 s23, exec_lo
	v_cmpx_eq_u16_e32 0x80, v77
; %bb.6416:                             ;   in Loop: Header=BB4_6327 Depth=3
	s_xor_b32 s16, exec_lo, -1
; %bb.6417:                             ;   in Loop: Header=BB4_6327 Depth=3
	s_or_b32 exec_lo, exec_lo, s23
	s_and_b32 s16, s16, exec_lo
                                        ; implicit-def: $vgpr77
	s_or_saveexec_b32 s22, s22
	v_mov_b32_e32 v78, 0x7f800001
	s_xor_b32 exec_lo, exec_lo, s22
	s_cbranch_execnz .LBB4_7498
.LBB4_6418:                             ;   in Loop: Header=BB4_6327 Depth=3
	s_or_b32 exec_lo, exec_lo, s22
	s_and_saveexec_b32 s22, s16
	s_cbranch_execz .LBB4_6420
.LBB4_6419:                             ;   in Loop: Header=BB4_6327 Depth=3
	v_bfe_u32 v77, v20, 16, 3
	v_bfe_u32 v88, v20, 19, 4
	v_lshlrev_b32_sdwa v89, v41, v20 dst_sel:DWORD dst_unused:UNUSED_PAD src0_sel:DWORD src1_sel:WORD_1
	v_ffbh_u32_e32 v78, v77
	v_cmp_eq_u32_e32 vcc_lo, 0, v88
	v_min_u32_e32 v78, 32, v78
	v_subrev_nc_u32_e32 v79, 28, v78
	v_sub_nc_u32_e32 v78, 29, v78
	v_lshlrev_b32_sdwa v79, v79, v20 dst_sel:DWORD dst_unused:UNUSED_PAD src0_sel:DWORD src1_sel:WORD_1
	v_cndmask_b32_e32 v78, v88, v78, vcc_lo
	v_and_b32_e32 v79, 7, v79
	v_lshl_add_u32 v78, v78, 23, 0x3b800000
	v_cndmask_b32_e32 v77, v77, v79, vcc_lo
	v_and_b32_e32 v79, 0x80000000, v89
	v_lshlrev_b32_e32 v77, 20, v77
	v_or3_b32 v78, v79, v78, v77
.LBB4_6420:                             ;   in Loop: Header=BB4_6327 Depth=3
	s_or_b32 exec_lo, exec_lo, s22
	s_waitcnt vmcnt(1)
	v_and_b32_sdwa v79, v16, v40 dst_sel:DWORD dst_unused:UNUSED_PAD src0_sel:WORD_1 src1_sel:DWORD
	s_mov_b32 s16, 0
	s_mov_b32 s22, exec_lo
	v_cmpx_lt_i16_e32 0x7f, v79
	s_xor_b32 s22, exec_lo, s22
	s_cbranch_execz .LBB4_7499
; %bb.6421:                             ;   in Loop: Header=BB4_6327 Depth=3
	s_mov_b32 s16, -1
	s_mov_b32 s23, exec_lo
	v_cmpx_eq_u16_e32 0x80, v79
; %bb.6422:                             ;   in Loop: Header=BB4_6327 Depth=3
	s_xor_b32 s16, exec_lo, -1
; %bb.6423:                             ;   in Loop: Header=BB4_6327 Depth=3
	s_or_b32 exec_lo, exec_lo, s23
	s_and_b32 s16, s16, exec_lo
                                        ; implicit-def: $vgpr79
	s_or_saveexec_b32 s22, s22
	v_mov_b32_e32 v77, 0x7f800001
	s_xor_b32 exec_lo, exec_lo, s22
	s_cbranch_execnz .LBB4_7500
.LBB4_6424:                             ;   in Loop: Header=BB4_6327 Depth=3
	s_or_b32 exec_lo, exec_lo, s22
	s_and_saveexec_b32 s22, s16
	s_cbranch_execz .LBB4_6426
.LBB4_6425:                             ;   in Loop: Header=BB4_6327 Depth=3
	v_bfe_u32 v77, v16, 16, 3
	v_bfe_u32 v89, v16, 19, 4
	v_lshlrev_b32_sdwa v90, v41, v16 dst_sel:DWORD dst_unused:UNUSED_PAD src0_sel:DWORD src1_sel:WORD_1
	v_ffbh_u32_e32 v79, v77
	v_cmp_eq_u32_e32 vcc_lo, 0, v89
	v_min_u32_e32 v79, 32, v79
	v_subrev_nc_u32_e32 v88, 28, v79
	v_sub_nc_u32_e32 v79, 29, v79
	v_lshlrev_b32_sdwa v88, v88, v16 dst_sel:DWORD dst_unused:UNUSED_PAD src0_sel:DWORD src1_sel:WORD_1
	v_cndmask_b32_e32 v79, v89, v79, vcc_lo
	v_and_b32_e32 v88, 7, v88
	v_lshl_add_u32 v79, v79, 23, 0x3b800000
	v_cndmask_b32_e32 v77, v77, v88, vcc_lo
	v_and_b32_e32 v88, 0x80000000, v90
	v_lshlrev_b32_e32 v77, 20, v77
	v_or3_b32 v77, v88, v79, v77
.LBB4_6426:                             ;   in Loop: Header=BB4_6327 Depth=3
	s_or_b32 exec_lo, exec_lo, s22
	v_max_f32_e32 v77, v77, v77
	v_max_f32_e32 v78, v78, v78
	v_min_f32_e32 v78, v78, v77
.LBB4_6427:                             ;   in Loop: Header=BB4_6327 Depth=3
	v_and_b32_e32 v77, 0x7f800000, v78
	v_cmp_ne_u32_e32 vcc_lo, 0x7f800000, v77
	v_mov_b32_e32 v77, 0x80
	s_and_saveexec_b32 s22, vcc_lo
	s_cbranch_execz .LBB4_6435
; %bb.6428:                             ;   in Loop: Header=BB4_6327 Depth=3
	v_mov_b32_e32 v77, 0
	s_mov_b32 s23, exec_lo
	v_cmpx_ne_u32_e32 0, v78
	s_cbranch_execz .LBB4_6434
; %bb.6429:                             ;   in Loop: Header=BB4_6327 Depth=3
	v_bfe_u32 v77, v78, 23, 8
	v_and_b32_e32 v79, 0x7fffff, v78
	v_sub_nc_u32_e32 v88, 0x78, v77
	v_cmp_gt_u32_e32 vcc_lo, 0x79, v77
	v_or_b32_e32 v89, 0x800000, v79
	v_cndmask_b32_e32 v88, 0, v88, vcc_lo
	v_cmp_eq_u32_e32 vcc_lo, 0, v77
	v_add_nc_u32_e32 v77, 0xffffff89, v77
	v_cndmask_b32_e64 v88, v88, 0x77, vcc_lo
	v_cndmask_b32_e32 v79, v89, v79, vcc_lo
	v_cndmask_b32_e64 v77, v77, 0xffffff8a, vcc_lo
	v_lshl_add_u32 v89, 0x100000, v88, -1
	v_lshrrev_b32_e32 v90, v88, v79
	v_lshlrev_b32_e64 v92, v88, 0x80000
	v_add_nc_u32_e32 v88, v88, v77
	v_and_b32_e32 v79, v89, v79
	v_bfe_u32 v91, v90, 20, 1
	v_cmp_eq_u32_e64 s16, v79, v92
	v_add_nc_u32_e32 v89, -1, v91
	v_cndmask_b32_e64 v79, 0, v89, s16
	v_lshrrev_b32_e32 v89, 23, v90
	s_mov_b32 s16, exec_lo
	v_add_nc_u32_e32 v79, v79, v90
	v_xor_b32_e32 v89, 1, v89
	v_and_b32_e32 v77, 0xfffff, v79
	v_add_nc_u32_e32 v79, v77, v90
                                        ; implicit-def: $vgpr77
	v_cmpx_ne_u32_e64 v88, v89
	s_xor_b32 s16, exec_lo, s16
; %bb.6430:                             ;   in Loop: Header=BB4_6327 Depth=3
	v_cmp_lt_u32_e32 vcc_lo, 0xffffff, v79
	v_sub_nc_u32_e32 v77, v88, v89
	v_cndmask_b32_e64 v88, 0, 1, vcc_lo
	v_add_co_ci_u32_e64 v77, null, 0, v77, vcc_lo
	v_lshrrev_b32_e32 v79, v88, v79
; %bb.6431:                             ;   in Loop: Header=BB4_6327 Depth=3
	s_andn2_saveexec_b32 s16, s16
; %bb.6432:                             ;   in Loop: Header=BB4_6327 Depth=3
	v_bfe_u32 v77, v79, 23, 1
; %bb.6433:                             ;   in Loop: Header=BB4_6327 Depth=3
	s_or_b32 exec_lo, exec_lo, s16
	v_lshrrev_b32_e32 v79, 20, v79
	v_min_i32_e32 v88, 15, v77
	v_cmp_gt_i32_e32 vcc_lo, 16, v77
	v_and_b32_sdwa v78, v78, v118 dst_sel:DWORD dst_unused:UNUSED_PAD src0_sel:BYTE_3 src1_sel:DWORD
	v_lshlrev_b32_e32 v88, 3, v88
	v_cndmask_b32_e32 v79, 7, v79, vcc_lo
	v_and_b32_e32 v88, 0xf8, v88
	v_and_b32_e32 v89, 7, v79
	v_or_b32_e32 v77, v77, v79
	v_or3_b32 v78, v88, v78, v89
	v_cmp_ne_u32_e32 vcc_lo, 0, v77
	v_cndmask_b32_e32 v77, 0, v78, vcc_lo
.LBB4_6434:                             ;   in Loop: Header=BB4_6327 Depth=3
	s_or_b32 exec_lo, exec_lo, s23
.LBB4_6435:                             ;   in Loop: Header=BB4_6327 Depth=3
	s_or_b32 exec_lo, exec_lo, s22
	v_cmp_gt_i16_sdwa s22, v20, v117 src0_sel:BYTE_3 src1_sel:DWORD
	s_and_b32 vcc_lo, exec_lo, s19
	s_mov_b32 s16, -1
                                        ; implicit-def: $vgpr78
	s_cbranch_vccz .LBB4_6449
; %bb.6436:                             ;   in Loop: Header=BB4_6327 Depth=3
	s_mov_b32 s16, 0
	s_and_saveexec_b32 s23, s22
	s_xor_b32 s22, exec_lo, s23
	s_cbranch_execz .LBB4_7501
; %bb.6437:                             ;   in Loop: Header=BB4_6327 Depth=3
	v_cmp_eq_u16_sdwa s73, v20, v118 src0_sel:BYTE_3 src1_sel:DWORD
	s_mov_b32 s16, -1
	s_and_saveexec_b32 s23, s73
; %bb.6438:                             ;   in Loop: Header=BB4_6327 Depth=3
	s_xor_b32 s16, exec_lo, -1
; %bb.6439:                             ;   in Loop: Header=BB4_6327 Depth=3
	s_or_b32 exec_lo, exec_lo, s23
	s_and_b32 s16, s16, exec_lo
	s_or_saveexec_b32 s22, s22
	v_mov_b32_e32 v78, 0x7f800001
	s_xor_b32 exec_lo, exec_lo, s22
	s_cbranch_execnz .LBB4_7502
.LBB4_6440:                             ;   in Loop: Header=BB4_6327 Depth=3
	s_or_b32 exec_lo, exec_lo, s22
	s_and_saveexec_b32 s22, s16
	s_cbranch_execz .LBB4_6442
.LBB4_6441:                             ;   in Loop: Header=BB4_6327 Depth=3
	v_bfe_u32 v78, v20, 24, 3
	v_bfe_u32 v89, v20, 27, 4
	v_ffbh_u32_e32 v79, v78
	v_cmp_eq_u32_e32 vcc_lo, 0, v89
	v_min_u32_e32 v79, 32, v79
	v_subrev_nc_u32_e32 v88, 28, v79
	v_sub_nc_u32_e32 v79, 29, v79
	v_lshlrev_b32_sdwa v88, v88, v20 dst_sel:DWORD dst_unused:UNUSED_PAD src0_sel:DWORD src1_sel:BYTE_3
	v_cndmask_b32_e32 v79, v89, v79, vcc_lo
	v_and_b32_e32 v88, 7, v88
	v_lshl_add_u32 v79, v79, 23, 0x3b800000
	v_cndmask_b32_e32 v78, v78, v88, vcc_lo
	v_and_b32_e32 v88, 0x80000000, v20
	v_lshlrev_b32_e32 v78, 20, v78
	v_or3_b32 v78, v88, v79, v78
.LBB4_6442:                             ;   in Loop: Header=BB4_6327 Depth=3
	s_or_b32 exec_lo, exec_lo, s22
	s_waitcnt vmcnt(1)
	v_cmp_gt_i16_sdwa s22, v16, v117 src0_sel:BYTE_3 src1_sel:DWORD
	s_mov_b32 s16, 0
	s_and_saveexec_b32 s23, s22
	s_xor_b32 s22, exec_lo, s23
	s_cbranch_execz .LBB4_7503
; %bb.6443:                             ;   in Loop: Header=BB4_6327 Depth=3
	v_cmp_eq_u16_sdwa s73, v16, v118 src0_sel:BYTE_3 src1_sel:DWORD
	s_mov_b32 s16, -1
	s_and_saveexec_b32 s23, s73
; %bb.6444:                             ;   in Loop: Header=BB4_6327 Depth=3
	s_xor_b32 s16, exec_lo, -1
; %bb.6445:                             ;   in Loop: Header=BB4_6327 Depth=3
	s_or_b32 exec_lo, exec_lo, s23
	s_and_b32 s16, s16, exec_lo
	s_or_saveexec_b32 s22, s22
	v_mov_b32_e32 v79, 0x7f800001
	s_xor_b32 exec_lo, exec_lo, s22
	s_cbranch_execnz .LBB4_7504
.LBB4_6446:                             ;   in Loop: Header=BB4_6327 Depth=3
	s_or_b32 exec_lo, exec_lo, s22
	s_and_saveexec_b32 s22, s16
	s_cbranch_execz .LBB4_6448
.LBB4_6447:                             ;   in Loop: Header=BB4_6327 Depth=3
	v_bfe_u32 v79, v16, 24, 3
	v_bfe_u32 v90, v16, 27, 4
	v_ffbh_u32_e32 v88, v79
	v_cmp_eq_u32_e32 vcc_lo, 0, v90
	v_min_u32_e32 v88, 32, v88
	v_subrev_nc_u32_e32 v89, 28, v88
	v_sub_nc_u32_e32 v88, 29, v88
	v_lshlrev_b32_sdwa v89, v89, v16 dst_sel:DWORD dst_unused:UNUSED_PAD src0_sel:DWORD src1_sel:BYTE_3
	v_cndmask_b32_e32 v88, v90, v88, vcc_lo
	v_and_b32_e32 v89, 7, v89
	v_lshl_add_u32 v88, v88, 23, 0x3b800000
	v_cndmask_b32_e32 v79, v79, v89, vcc_lo
	v_and_b32_e32 v89, 0x80000000, v16
	v_lshlrev_b32_e32 v79, 20, v79
	v_or3_b32 v79, v89, v88, v79
.LBB4_6448:                             ;   in Loop: Header=BB4_6327 Depth=3
	s_or_b32 exec_lo, exec_lo, s22
	v_max_f32_e32 v79, v79, v79
	v_max_f32_e32 v78, v78, v78
	s_mov_b32 s16, 0
	v_max_f32_e32 v78, v78, v79
.LBB4_6449:                             ;   in Loop: Header=BB4_6327 Depth=3
	s_and_b32 vcc_lo, exec_lo, s16
	s_cbranch_vccz .LBB4_6463
; %bb.6450:                             ;   in Loop: Header=BB4_6327 Depth=3
	v_cmp_gt_i16_sdwa s22, v20, v117 src0_sel:BYTE_3 src1_sel:DWORD
	s_mov_b32 s16, 0
	s_and_saveexec_b32 s23, s22
	s_xor_b32 s22, exec_lo, s23
	s_cbranch_execz .LBB4_7505
; %bb.6451:                             ;   in Loop: Header=BB4_6327 Depth=3
	v_cmp_eq_u16_sdwa s73, v20, v118 src0_sel:BYTE_3 src1_sel:DWORD
	s_mov_b32 s16, -1
	s_and_saveexec_b32 s23, s73
; %bb.6452:                             ;   in Loop: Header=BB4_6327 Depth=3
	s_xor_b32 s16, exec_lo, -1
; %bb.6453:                             ;   in Loop: Header=BB4_6327 Depth=3
	s_or_b32 exec_lo, exec_lo, s23
	s_and_b32 s16, s16, exec_lo
	s_or_saveexec_b32 s22, s22
	v_mov_b32_e32 v78, 0x7f800001
	s_xor_b32 exec_lo, exec_lo, s22
	s_cbranch_execnz .LBB4_7506
.LBB4_6454:                             ;   in Loop: Header=BB4_6327 Depth=3
	s_or_b32 exec_lo, exec_lo, s22
	s_and_saveexec_b32 s22, s16
	s_cbranch_execz .LBB4_6456
.LBB4_6455:                             ;   in Loop: Header=BB4_6327 Depth=3
	v_bfe_u32 v78, v20, 24, 3
	v_bfe_u32 v89, v20, 27, 4
	v_ffbh_u32_e32 v79, v78
	v_cmp_eq_u32_e32 vcc_lo, 0, v89
	v_min_u32_e32 v79, 32, v79
	v_subrev_nc_u32_e32 v88, 28, v79
	v_sub_nc_u32_e32 v79, 29, v79
	v_lshlrev_b32_sdwa v88, v88, v20 dst_sel:DWORD dst_unused:UNUSED_PAD src0_sel:DWORD src1_sel:BYTE_3
	v_cndmask_b32_e32 v79, v89, v79, vcc_lo
	v_and_b32_e32 v20, 0x80000000, v20
	v_and_b32_e32 v88, 7, v88
	v_lshl_add_u32 v79, v79, 23, 0x3b800000
	v_cndmask_b32_e32 v78, v78, v88, vcc_lo
	v_lshlrev_b32_e32 v78, 20, v78
	v_or3_b32 v78, v20, v79, v78
.LBB4_6456:                             ;   in Loop: Header=BB4_6327 Depth=3
	s_or_b32 exec_lo, exec_lo, s22
	s_waitcnt vmcnt(1)
	v_cmp_gt_i16_sdwa s22, v16, v117 src0_sel:BYTE_3 src1_sel:DWORD
	s_mov_b32 s16, 0
	s_and_saveexec_b32 s23, s22
	s_xor_b32 s22, exec_lo, s23
	s_cbranch_execz .LBB4_7507
; %bb.6457:                             ;   in Loop: Header=BB4_6327 Depth=3
	v_cmp_eq_u16_sdwa s73, v16, v118 src0_sel:BYTE_3 src1_sel:DWORD
	s_mov_b32 s16, -1
	s_and_saveexec_b32 s23, s73
; %bb.6458:                             ;   in Loop: Header=BB4_6327 Depth=3
	s_xor_b32 s16, exec_lo, -1
; %bb.6459:                             ;   in Loop: Header=BB4_6327 Depth=3
	s_or_b32 exec_lo, exec_lo, s23
	s_and_b32 s16, s16, exec_lo
	s_or_saveexec_b32 s22, s22
	v_mov_b32_e32 v20, 0x7f800001
	s_xor_b32 exec_lo, exec_lo, s22
	s_cbranch_execnz .LBB4_7508
.LBB4_6460:                             ;   in Loop: Header=BB4_6327 Depth=3
	s_or_b32 exec_lo, exec_lo, s22
	s_and_saveexec_b32 s22, s16
	s_cbranch_execz .LBB4_6462
.LBB4_6461:                             ;   in Loop: Header=BB4_6327 Depth=3
	v_bfe_u32 v20, v16, 24, 3
	v_bfe_u32 v89, v16, 27, 4
	v_ffbh_u32_e32 v79, v20
	v_cmp_eq_u32_e32 vcc_lo, 0, v89
	v_min_u32_e32 v79, 32, v79
	v_subrev_nc_u32_e32 v88, 28, v79
	v_sub_nc_u32_e32 v79, 29, v79
	v_lshlrev_b32_sdwa v88, v88, v16 dst_sel:DWORD dst_unused:UNUSED_PAD src0_sel:DWORD src1_sel:BYTE_3
	v_cndmask_b32_e32 v79, v89, v79, vcc_lo
	v_and_b32_e32 v16, 0x80000000, v16
	v_and_b32_e32 v88, 7, v88
	v_lshl_add_u32 v79, v79, 23, 0x3b800000
	v_cndmask_b32_e32 v20, v20, v88, vcc_lo
	v_lshlrev_b32_e32 v20, 20, v20
	v_or3_b32 v20, v16, v79, v20
.LBB4_6462:                             ;   in Loop: Header=BB4_6327 Depth=3
	s_or_b32 exec_lo, exec_lo, s22
	v_max_f32_e32 v16, v20, v20
	v_max_f32_e32 v20, v78, v78
	v_min_f32_e32 v78, v20, v16
.LBB4_6463:                             ;   in Loop: Header=BB4_6327 Depth=3
	s_waitcnt vmcnt(1)
	v_and_b32_e32 v16, 0x7f800000, v78
	v_cmp_ne_u32_e32 vcc_lo, 0x7f800000, v16
	v_mov_b32_e32 v16, 0x8000
	s_and_saveexec_b32 s22, vcc_lo
	s_cbranch_execz .LBB4_6471
; %bb.6464:                             ;   in Loop: Header=BB4_6327 Depth=3
	v_mov_b32_e32 v16, 0
	s_mov_b32 s23, exec_lo
	v_cmpx_ne_u32_e32 0, v78
	s_cbranch_execz .LBB4_6470
; %bb.6465:                             ;   in Loop: Header=BB4_6327 Depth=3
	v_bfe_u32 v16, v78, 23, 8
	v_and_b32_e32 v20, 0x7fffff, v78
	v_sub_nc_u32_e32 v79, 0x78, v16
	v_cmp_gt_u32_e32 vcc_lo, 0x79, v16
	v_or_b32_e32 v88, 0x800000, v20
	v_cndmask_b32_e32 v79, 0, v79, vcc_lo
	v_cmp_eq_u32_e32 vcc_lo, 0, v16
	v_add_nc_u32_e32 v16, 0xffffff89, v16
	v_cndmask_b32_e64 v79, v79, 0x77, vcc_lo
	v_cndmask_b32_e32 v20, v88, v20, vcc_lo
	v_cndmask_b32_e64 v16, v16, 0xffffff8a, vcc_lo
	v_lshl_add_u32 v88, 0x100000, v79, -1
	v_lshrrev_b32_e32 v89, v79, v20
	v_lshlrev_b32_e64 v91, v79, 0x80000
	v_add_nc_u32_e32 v79, v79, v16
	v_and_b32_e32 v20, v88, v20
	v_bfe_u32 v90, v89, 20, 1
	v_cmp_eq_u32_e64 s16, v20, v91
	v_add_nc_u32_e32 v88, -1, v90
	v_cndmask_b32_e64 v20, 0, v88, s16
	v_lshrrev_b32_e32 v88, 23, v89
	s_mov_b32 s16, exec_lo
	v_add_nc_u32_e32 v20, v20, v89
	v_xor_b32_e32 v88, 1, v88
	v_and_b32_e32 v16, 0xfffff, v20
	v_add_nc_u32_e32 v20, v16, v89
                                        ; implicit-def: $vgpr16
	v_cmpx_ne_u32_e64 v79, v88
	s_xor_b32 s16, exec_lo, s16
; %bb.6466:                             ;   in Loop: Header=BB4_6327 Depth=3
	v_cmp_lt_u32_e32 vcc_lo, 0xffffff, v20
	v_sub_nc_u32_e32 v16, v79, v88
	v_cndmask_b32_e64 v79, 0, 1, vcc_lo
	v_add_co_ci_u32_e64 v16, null, 0, v16, vcc_lo
	v_lshrrev_b32_e32 v20, v79, v20
; %bb.6467:                             ;   in Loop: Header=BB4_6327 Depth=3
	s_andn2_saveexec_b32 s16, s16
; %bb.6468:                             ;   in Loop: Header=BB4_6327 Depth=3
	v_bfe_u32 v16, v20, 23, 1
; %bb.6469:                             ;   in Loop: Header=BB4_6327 Depth=3
	s_or_b32 exec_lo, exec_lo, s16
	v_lshrrev_b32_e32 v20, 20, v20
	v_min_i32_e32 v79, 15, v16
	v_cmp_gt_i32_e32 vcc_lo, 16, v16
	v_and_b32_sdwa v78, v78, v118 dst_sel:DWORD dst_unused:UNUSED_PAD src0_sel:BYTE_3 src1_sel:DWORD
	v_lshlrev_b32_e32 v79, 3, v79
	v_cndmask_b32_e32 v20, 7, v20, vcc_lo
	v_and_b32_e32 v79, 0xf8, v79
	v_and_b32_e32 v88, 7, v20
	v_or_b32_e32 v16, v16, v20
	v_or3_b32 v78, v78, v79, v88
	v_cmp_ne_u32_e32 vcc_lo, 0, v16
	v_lshlrev_b32_e32 v20, 8, v78
	v_cndmask_b32_e32 v16, 0, v20, vcc_lo
.LBB4_6470:                             ;   in Loop: Header=BB4_6327 Depth=3
	s_or_b32 exec_lo, exec_lo, s23
.LBB4_6471:                             ;   in Loop: Header=BB4_6327 Depth=3
	s_or_b32 exec_lo, exec_lo, s22
	v_cmp_gt_i16_sdwa s22, v21, v117 src0_sel:BYTE_0 src1_sel:DWORD
	s_and_b32 vcc_lo, exec_lo, s19
	s_mov_b32 s16, -1
                                        ; implicit-def: $vgpr78
	s_cbranch_vccz .LBB4_6485
; %bb.6472:                             ;   in Loop: Header=BB4_6327 Depth=3
	s_mov_b32 s16, 0
	s_and_saveexec_b32 s23, s22
	s_xor_b32 s22, exec_lo, s23
	s_cbranch_execz .LBB4_7509
; %bb.6473:                             ;   in Loop: Header=BB4_6327 Depth=3
	v_cmp_eq_u16_sdwa s73, v21, v118 src0_sel:BYTE_0 src1_sel:DWORD
	s_mov_b32 s16, -1
	s_and_saveexec_b32 s23, s73
; %bb.6474:                             ;   in Loop: Header=BB4_6327 Depth=3
	s_xor_b32 s16, exec_lo, -1
; %bb.6475:                             ;   in Loop: Header=BB4_6327 Depth=3
	s_or_b32 exec_lo, exec_lo, s23
	s_and_b32 s16, s16, exec_lo
	s_or_saveexec_b32 s22, s22
	v_mov_b32_e32 v20, 0x7f800001
	s_xor_b32 exec_lo, exec_lo, s22
	s_cbranch_execnz .LBB4_7510
.LBB4_6476:                             ;   in Loop: Header=BB4_6327 Depth=3
	s_or_b32 exec_lo, exec_lo, s22
	s_and_saveexec_b32 s22, s16
	s_cbranch_execz .LBB4_6478
.LBB4_6477:                             ;   in Loop: Header=BB4_6327 Depth=3
	v_and_b32_e32 v20, 7, v21
	v_bfe_u32 v88, v21, 3, 4
	v_lshlrev_b32_e32 v89, 24, v21
	v_ffbh_u32_e32 v78, v20
	v_cmp_eq_u32_e32 vcc_lo, 0, v88
	v_min_u32_e32 v78, 32, v78
	v_subrev_nc_u32_e32 v79, 28, v78
	v_sub_nc_u32_e32 v78, 29, v78
	v_lshlrev_b32_e32 v79, v79, v21
	v_cndmask_b32_e32 v78, v88, v78, vcc_lo
	v_and_b32_e32 v79, 7, v79
	v_lshl_add_u32 v78, v78, 23, 0x3b800000
	v_cndmask_b32_e32 v20, v20, v79, vcc_lo
	v_and_b32_e32 v79, 0x80000000, v89
	v_lshlrev_b32_e32 v20, 20, v20
	v_or3_b32 v20, v79, v78, v20
.LBB4_6478:                             ;   in Loop: Header=BB4_6327 Depth=3
	s_or_b32 exec_lo, exec_lo, s22
	v_cmp_gt_i16_sdwa s22, v17, v117 src0_sel:BYTE_0 src1_sel:DWORD
	s_mov_b32 s16, 0
	s_and_saveexec_b32 s23, s22
	s_xor_b32 s22, exec_lo, s23
	s_cbranch_execz .LBB4_7511
; %bb.6479:                             ;   in Loop: Header=BB4_6327 Depth=3
	v_cmp_eq_u16_sdwa s73, v17, v118 src0_sel:BYTE_0 src1_sel:DWORD
	s_mov_b32 s16, -1
	s_and_saveexec_b32 s23, s73
; %bb.6480:                             ;   in Loop: Header=BB4_6327 Depth=3
	s_xor_b32 s16, exec_lo, -1
; %bb.6481:                             ;   in Loop: Header=BB4_6327 Depth=3
	s_or_b32 exec_lo, exec_lo, s23
	s_and_b32 s16, s16, exec_lo
	s_or_saveexec_b32 s22, s22
	v_mov_b32_e32 v78, 0x7f800001
	s_xor_b32 exec_lo, exec_lo, s22
	s_cbranch_execnz .LBB4_7512
.LBB4_6482:                             ;   in Loop: Header=BB4_6327 Depth=3
	s_or_b32 exec_lo, exec_lo, s22
	s_and_saveexec_b32 s22, s16
	s_cbranch_execz .LBB4_6484
.LBB4_6483:                             ;   in Loop: Header=BB4_6327 Depth=3
	v_and_b32_e32 v78, 7, v17
	v_bfe_u32 v89, v17, 3, 4
	v_lshlrev_b32_e32 v90, 24, v17
	v_ffbh_u32_e32 v79, v78
	v_cmp_eq_u32_e32 vcc_lo, 0, v89
	v_min_u32_e32 v79, 32, v79
	v_subrev_nc_u32_e32 v88, 28, v79
	v_sub_nc_u32_e32 v79, 29, v79
	v_lshlrev_b32_e32 v88, v88, v17
	v_cndmask_b32_e32 v79, v89, v79, vcc_lo
	v_and_b32_e32 v88, 7, v88
	v_lshl_add_u32 v79, v79, 23, 0x3b800000
	v_cndmask_b32_e32 v78, v78, v88, vcc_lo
	v_and_b32_e32 v88, 0x80000000, v90
	v_lshlrev_b32_e32 v78, 20, v78
	v_or3_b32 v78, v88, v79, v78
.LBB4_6484:                             ;   in Loop: Header=BB4_6327 Depth=3
	s_or_b32 exec_lo, exec_lo, s22
	v_max_f32_e32 v78, v78, v78
	v_max_f32_e32 v20, v20, v20
	s_mov_b32 s16, 0
	v_max_f32_e32 v78, v20, v78
.LBB4_6485:                             ;   in Loop: Header=BB4_6327 Depth=3
	s_and_b32 vcc_lo, exec_lo, s16
	s_cbranch_vccz .LBB4_6499
; %bb.6486:                             ;   in Loop: Header=BB4_6327 Depth=3
	v_cmp_gt_i16_sdwa s22, v21, v117 src0_sel:BYTE_0 src1_sel:DWORD
	s_mov_b32 s16, 0
	s_and_saveexec_b32 s23, s22
	s_xor_b32 s22, exec_lo, s23
	s_cbranch_execz .LBB4_7513
; %bb.6487:                             ;   in Loop: Header=BB4_6327 Depth=3
	v_cmp_eq_u16_sdwa s73, v21, v118 src0_sel:BYTE_0 src1_sel:DWORD
	s_mov_b32 s16, -1
	s_and_saveexec_b32 s23, s73
; %bb.6488:                             ;   in Loop: Header=BB4_6327 Depth=3
	s_xor_b32 s16, exec_lo, -1
; %bb.6489:                             ;   in Loop: Header=BB4_6327 Depth=3
	s_or_b32 exec_lo, exec_lo, s23
	s_and_b32 s16, s16, exec_lo
	s_or_saveexec_b32 s22, s22
	v_mov_b32_e32 v20, 0x7f800001
	s_xor_b32 exec_lo, exec_lo, s22
	s_cbranch_execnz .LBB4_7514
.LBB4_6490:                             ;   in Loop: Header=BB4_6327 Depth=3
	s_or_b32 exec_lo, exec_lo, s22
	s_and_saveexec_b32 s22, s16
	s_cbranch_execz .LBB4_6492
.LBB4_6491:                             ;   in Loop: Header=BB4_6327 Depth=3
	v_and_b32_e32 v20, 7, v21
	v_bfe_u32 v88, v21, 3, 4
	v_lshlrev_b32_e32 v89, 24, v21
	v_ffbh_u32_e32 v78, v20
	v_cmp_eq_u32_e32 vcc_lo, 0, v88
	v_min_u32_e32 v78, 32, v78
	v_subrev_nc_u32_e32 v79, 28, v78
	v_sub_nc_u32_e32 v78, 29, v78
	v_lshlrev_b32_e32 v79, v79, v21
	v_cndmask_b32_e32 v78, v88, v78, vcc_lo
	v_and_b32_e32 v79, 7, v79
	v_lshl_add_u32 v78, v78, 23, 0x3b800000
	v_cndmask_b32_e32 v20, v20, v79, vcc_lo
	v_and_b32_e32 v79, 0x80000000, v89
	v_lshlrev_b32_e32 v20, 20, v20
	v_or3_b32 v20, v79, v78, v20
.LBB4_6492:                             ;   in Loop: Header=BB4_6327 Depth=3
	s_or_b32 exec_lo, exec_lo, s22
	v_cmp_gt_i16_sdwa s22, v17, v117 src0_sel:BYTE_0 src1_sel:DWORD
	s_mov_b32 s16, 0
	s_and_saveexec_b32 s23, s22
	s_xor_b32 s22, exec_lo, s23
	s_cbranch_execz .LBB4_7515
; %bb.6493:                             ;   in Loop: Header=BB4_6327 Depth=3
	v_cmp_eq_u16_sdwa s73, v17, v118 src0_sel:BYTE_0 src1_sel:DWORD
	s_mov_b32 s16, -1
	s_and_saveexec_b32 s23, s73
; %bb.6494:                             ;   in Loop: Header=BB4_6327 Depth=3
	s_xor_b32 s16, exec_lo, -1
; %bb.6495:                             ;   in Loop: Header=BB4_6327 Depth=3
	s_or_b32 exec_lo, exec_lo, s23
	s_and_b32 s16, s16, exec_lo
	s_or_saveexec_b32 s22, s22
	v_mov_b32_e32 v78, 0x7f800001
	s_xor_b32 exec_lo, exec_lo, s22
	s_cbranch_execnz .LBB4_7516
.LBB4_6496:                             ;   in Loop: Header=BB4_6327 Depth=3
	s_or_b32 exec_lo, exec_lo, s22
	s_and_saveexec_b32 s22, s16
	s_cbranch_execz .LBB4_6498
.LBB4_6497:                             ;   in Loop: Header=BB4_6327 Depth=3
	v_and_b32_e32 v78, 7, v17
	v_bfe_u32 v89, v17, 3, 4
	v_lshlrev_b32_e32 v90, 24, v17
	v_ffbh_u32_e32 v79, v78
	v_cmp_eq_u32_e32 vcc_lo, 0, v89
	v_min_u32_e32 v79, 32, v79
	v_subrev_nc_u32_e32 v88, 28, v79
	v_sub_nc_u32_e32 v79, 29, v79
	v_lshlrev_b32_e32 v88, v88, v17
	v_cndmask_b32_e32 v79, v89, v79, vcc_lo
	v_and_b32_e32 v88, 7, v88
	v_lshl_add_u32 v79, v79, 23, 0x3b800000
	v_cndmask_b32_e32 v78, v78, v88, vcc_lo
	v_and_b32_e32 v88, 0x80000000, v90
	v_lshlrev_b32_e32 v78, 20, v78
	v_or3_b32 v78, v88, v79, v78
.LBB4_6498:                             ;   in Loop: Header=BB4_6327 Depth=3
	s_or_b32 exec_lo, exec_lo, s22
	v_max_f32_e32 v78, v78, v78
	v_max_f32_e32 v20, v20, v20
	v_min_f32_e32 v78, v20, v78
.LBB4_6499:                             ;   in Loop: Header=BB4_6327 Depth=3
	v_and_b32_e32 v20, 0x7f800000, v78
	v_cmp_ne_u32_e32 vcc_lo, 0x7f800000, v20
	v_mov_b32_e32 v20, 0x80
	s_and_saveexec_b32 s22, vcc_lo
	s_cbranch_execz .LBB4_6507
; %bb.6500:                             ;   in Loop: Header=BB4_6327 Depth=3
	v_mov_b32_e32 v20, 0
	s_mov_b32 s23, exec_lo
	v_cmpx_ne_u32_e32 0, v78
	s_cbranch_execz .LBB4_6506
; %bb.6501:                             ;   in Loop: Header=BB4_6327 Depth=3
	v_bfe_u32 v20, v78, 23, 8
	v_and_b32_e32 v79, 0x7fffff, v78
	v_sub_nc_u32_e32 v88, 0x78, v20
	v_cmp_gt_u32_e32 vcc_lo, 0x79, v20
	v_or_b32_e32 v89, 0x800000, v79
	v_cndmask_b32_e32 v88, 0, v88, vcc_lo
	v_cmp_eq_u32_e32 vcc_lo, 0, v20
	v_add_nc_u32_e32 v20, 0xffffff89, v20
	v_cndmask_b32_e64 v88, v88, 0x77, vcc_lo
	v_cndmask_b32_e32 v79, v89, v79, vcc_lo
	v_cndmask_b32_e64 v20, v20, 0xffffff8a, vcc_lo
	v_lshl_add_u32 v89, 0x100000, v88, -1
	v_lshrrev_b32_e32 v90, v88, v79
	v_lshlrev_b32_e64 v92, v88, 0x80000
	v_add_nc_u32_e32 v88, v88, v20
	v_and_b32_e32 v79, v89, v79
	v_bfe_u32 v91, v90, 20, 1
	v_cmp_eq_u32_e64 s16, v79, v92
	v_add_nc_u32_e32 v89, -1, v91
	v_cndmask_b32_e64 v79, 0, v89, s16
	v_lshrrev_b32_e32 v89, 23, v90
	s_mov_b32 s16, exec_lo
	v_add_nc_u32_e32 v79, v79, v90
	v_xor_b32_e32 v89, 1, v89
	v_and_b32_e32 v20, 0xfffff, v79
	v_add_nc_u32_e32 v79, v20, v90
                                        ; implicit-def: $vgpr20
	v_cmpx_ne_u32_e64 v88, v89
	s_xor_b32 s16, exec_lo, s16
; %bb.6502:                             ;   in Loop: Header=BB4_6327 Depth=3
	v_cmp_lt_u32_e32 vcc_lo, 0xffffff, v79
	v_sub_nc_u32_e32 v20, v88, v89
	v_cndmask_b32_e64 v88, 0, 1, vcc_lo
	v_add_co_ci_u32_e64 v20, null, 0, v20, vcc_lo
	v_lshrrev_b32_e32 v79, v88, v79
; %bb.6503:                             ;   in Loop: Header=BB4_6327 Depth=3
	s_andn2_saveexec_b32 s16, s16
; %bb.6504:                             ;   in Loop: Header=BB4_6327 Depth=3
	v_bfe_u32 v20, v79, 23, 1
; %bb.6505:                             ;   in Loop: Header=BB4_6327 Depth=3
	s_or_b32 exec_lo, exec_lo, s16
	v_lshrrev_b32_e32 v79, 20, v79
	v_min_i32_e32 v88, 15, v20
	v_cmp_gt_i32_e32 vcc_lo, 16, v20
	v_and_b32_sdwa v78, v78, v118 dst_sel:DWORD dst_unused:UNUSED_PAD src0_sel:BYTE_3 src1_sel:DWORD
	v_lshlrev_b32_e32 v88, 3, v88
	v_cndmask_b32_e32 v79, 7, v79, vcc_lo
	v_and_b32_e32 v88, 0xf8, v88
	v_and_b32_e32 v89, 7, v79
	v_or_b32_e32 v20, v20, v79
	v_or3_b32 v78, v88, v78, v89
	v_cmp_ne_u32_e32 vcc_lo, 0, v20
	v_cndmask_b32_e32 v20, 0, v78, vcc_lo
.LBB4_6506:                             ;   in Loop: Header=BB4_6327 Depth=3
	s_or_b32 exec_lo, exec_lo, s23
.LBB4_6507:                             ;   in Loop: Header=BB4_6327 Depth=3
	s_or_b32 exec_lo, exec_lo, s22
	v_cmp_gt_i16_sdwa s22, v21, v117 src0_sel:BYTE_1 src1_sel:DWORD
	s_and_b32 vcc_lo, exec_lo, s19
	s_mov_b32 s16, -1
                                        ; implicit-def: $vgpr79
	s_cbranch_vccz .LBB4_6521
; %bb.6508:                             ;   in Loop: Header=BB4_6327 Depth=3
	s_mov_b32 s16, 0
	s_and_saveexec_b32 s23, s22
	s_xor_b32 s22, exec_lo, s23
	s_cbranch_execz .LBB4_7517
; %bb.6509:                             ;   in Loop: Header=BB4_6327 Depth=3
	v_cmp_eq_u16_sdwa s73, v21, v118 src0_sel:BYTE_1 src1_sel:DWORD
	s_mov_b32 s16, -1
	s_and_saveexec_b32 s23, s73
; %bb.6510:                             ;   in Loop: Header=BB4_6327 Depth=3
	s_xor_b32 s16, exec_lo, -1
; %bb.6511:                             ;   in Loop: Header=BB4_6327 Depth=3
	s_or_b32 exec_lo, exec_lo, s23
	s_and_b32 s16, s16, exec_lo
	s_or_saveexec_b32 s22, s22
	v_mov_b32_e32 v78, 0x7f800001
	s_xor_b32 exec_lo, exec_lo, s22
	s_cbranch_execnz .LBB4_7518
.LBB4_6512:                             ;   in Loop: Header=BB4_6327 Depth=3
	s_or_b32 exec_lo, exec_lo, s22
	s_and_saveexec_b32 s22, s16
	s_cbranch_execz .LBB4_6514
.LBB4_6513:                             ;   in Loop: Header=BB4_6327 Depth=3
	v_and_b32_sdwa v78, v119, v21 dst_sel:DWORD dst_unused:UNUSED_PAD src0_sel:DWORD src1_sel:BYTE_1
	v_and_b32_e32 v79, 7, v78
	v_bfe_u32 v90, v78, 3, 4
	v_ffbh_u32_e32 v88, v79
	v_cmp_eq_u32_e32 vcc_lo, 0, v90
	v_min_u32_e32 v88, 32, v88
	v_subrev_nc_u32_e32 v89, 28, v88
	v_sub_nc_u32_e32 v88, 29, v88
	v_lshlrev_b32_e32 v78, v89, v78
	v_lshlrev_b32_e32 v89, 16, v21
	v_cndmask_b32_e32 v88, v90, v88, vcc_lo
	v_and_b32_e32 v78, 7, v78
	v_lshl_add_u32 v88, v88, 23, 0x3b800000
	v_cndmask_b32_e32 v78, v79, v78, vcc_lo
	v_and_b32_e32 v79, 0x80000000, v89
	v_lshlrev_b32_e32 v78, 20, v78
	v_or3_b32 v78, v79, v88, v78
.LBB4_6514:                             ;   in Loop: Header=BB4_6327 Depth=3
	s_or_b32 exec_lo, exec_lo, s22
	v_cmp_gt_i16_sdwa s22, v17, v117 src0_sel:BYTE_1 src1_sel:DWORD
	s_mov_b32 s16, 0
	s_and_saveexec_b32 s23, s22
	s_xor_b32 s22, exec_lo, s23
	s_cbranch_execz .LBB4_7519
; %bb.6515:                             ;   in Loop: Header=BB4_6327 Depth=3
	v_cmp_eq_u16_sdwa s73, v17, v118 src0_sel:BYTE_1 src1_sel:DWORD
	s_mov_b32 s16, -1
	s_and_saveexec_b32 s23, s73
; %bb.6516:                             ;   in Loop: Header=BB4_6327 Depth=3
	s_xor_b32 s16, exec_lo, -1
; %bb.6517:                             ;   in Loop: Header=BB4_6327 Depth=3
	s_or_b32 exec_lo, exec_lo, s23
	s_and_b32 s16, s16, exec_lo
	s_or_saveexec_b32 s22, s22
	v_mov_b32_e32 v79, 0x7f800001
	s_xor_b32 exec_lo, exec_lo, s22
	s_cbranch_execnz .LBB4_7520
.LBB4_6518:                             ;   in Loop: Header=BB4_6327 Depth=3
	s_or_b32 exec_lo, exec_lo, s22
	s_and_saveexec_b32 s22, s16
	s_cbranch_execz .LBB4_6520
.LBB4_6519:                             ;   in Loop: Header=BB4_6327 Depth=3
	v_and_b32_sdwa v79, v119, v17 dst_sel:DWORD dst_unused:UNUSED_PAD src0_sel:DWORD src1_sel:BYTE_1
	v_and_b32_e32 v88, 7, v79
	v_bfe_u32 v91, v79, 3, 4
	v_ffbh_u32_e32 v89, v88
	v_cmp_eq_u32_e32 vcc_lo, 0, v91
	v_min_u32_e32 v89, 32, v89
	v_subrev_nc_u32_e32 v90, 28, v89
	v_sub_nc_u32_e32 v89, 29, v89
	v_lshlrev_b32_e32 v79, v90, v79
	v_lshlrev_b32_e32 v90, 16, v17
	v_cndmask_b32_e32 v89, v91, v89, vcc_lo
	v_and_b32_e32 v79, 7, v79
	v_lshl_add_u32 v89, v89, 23, 0x3b800000
	v_cndmask_b32_e32 v79, v88, v79, vcc_lo
	v_and_b32_e32 v88, 0x80000000, v90
	v_lshlrev_b32_e32 v79, 20, v79
	v_or3_b32 v79, v88, v89, v79
.LBB4_6520:                             ;   in Loop: Header=BB4_6327 Depth=3
	s_or_b32 exec_lo, exec_lo, s22
	v_max_f32_e32 v79, v79, v79
	v_max_f32_e32 v78, v78, v78
	s_mov_b32 s16, 0
	v_max_f32_e32 v79, v78, v79
.LBB4_6521:                             ;   in Loop: Header=BB4_6327 Depth=3
	s_and_b32 vcc_lo, exec_lo, s16
	s_cbranch_vccz .LBB4_6535
; %bb.6522:                             ;   in Loop: Header=BB4_6327 Depth=3
	v_cmp_gt_i16_sdwa s22, v21, v117 src0_sel:BYTE_1 src1_sel:DWORD
	s_mov_b32 s16, 0
	s_and_saveexec_b32 s23, s22
	s_xor_b32 s22, exec_lo, s23
	s_cbranch_execz .LBB4_7521
; %bb.6523:                             ;   in Loop: Header=BB4_6327 Depth=3
	v_cmp_eq_u16_sdwa s73, v21, v118 src0_sel:BYTE_1 src1_sel:DWORD
	s_mov_b32 s16, -1
	s_and_saveexec_b32 s23, s73
; %bb.6524:                             ;   in Loop: Header=BB4_6327 Depth=3
	s_xor_b32 s16, exec_lo, -1
; %bb.6525:                             ;   in Loop: Header=BB4_6327 Depth=3
	s_or_b32 exec_lo, exec_lo, s23
	s_and_b32 s16, s16, exec_lo
	s_or_saveexec_b32 s22, s22
	v_mov_b32_e32 v78, 0x7f800001
	s_xor_b32 exec_lo, exec_lo, s22
	s_cbranch_execnz .LBB4_7522
.LBB4_6526:                             ;   in Loop: Header=BB4_6327 Depth=3
	s_or_b32 exec_lo, exec_lo, s22
	s_and_saveexec_b32 s22, s16
	s_cbranch_execz .LBB4_6528
.LBB4_6527:                             ;   in Loop: Header=BB4_6327 Depth=3
	v_and_b32_sdwa v78, v119, v21 dst_sel:DWORD dst_unused:UNUSED_PAD src0_sel:DWORD src1_sel:BYTE_1
	v_and_b32_e32 v79, 7, v78
	v_bfe_u32 v90, v78, 3, 4
	v_ffbh_u32_e32 v88, v79
	v_cmp_eq_u32_e32 vcc_lo, 0, v90
	v_min_u32_e32 v88, 32, v88
	v_subrev_nc_u32_e32 v89, 28, v88
	v_sub_nc_u32_e32 v88, 29, v88
	v_lshlrev_b32_e32 v78, v89, v78
	v_lshlrev_b32_e32 v89, 16, v21
	v_cndmask_b32_e32 v88, v90, v88, vcc_lo
	v_and_b32_e32 v78, 7, v78
	v_lshl_add_u32 v88, v88, 23, 0x3b800000
	v_cndmask_b32_e32 v78, v79, v78, vcc_lo
	v_and_b32_e32 v79, 0x80000000, v89
	v_lshlrev_b32_e32 v78, 20, v78
	v_or3_b32 v78, v79, v88, v78
.LBB4_6528:                             ;   in Loop: Header=BB4_6327 Depth=3
	s_or_b32 exec_lo, exec_lo, s22
	v_cmp_gt_i16_sdwa s22, v17, v117 src0_sel:BYTE_1 src1_sel:DWORD
	s_mov_b32 s16, 0
	s_and_saveexec_b32 s23, s22
	s_xor_b32 s22, exec_lo, s23
	s_cbranch_execz .LBB4_7523
; %bb.6529:                             ;   in Loop: Header=BB4_6327 Depth=3
	v_cmp_eq_u16_sdwa s73, v17, v118 src0_sel:BYTE_1 src1_sel:DWORD
	s_mov_b32 s16, -1
	s_and_saveexec_b32 s23, s73
; %bb.6530:                             ;   in Loop: Header=BB4_6327 Depth=3
	s_xor_b32 s16, exec_lo, -1
; %bb.6531:                             ;   in Loop: Header=BB4_6327 Depth=3
	s_or_b32 exec_lo, exec_lo, s23
	s_and_b32 s16, s16, exec_lo
	s_or_saveexec_b32 s22, s22
	v_mov_b32_e32 v79, 0x7f800001
	s_xor_b32 exec_lo, exec_lo, s22
	s_cbranch_execnz .LBB4_7524
.LBB4_6532:                             ;   in Loop: Header=BB4_6327 Depth=3
	s_or_b32 exec_lo, exec_lo, s22
	s_and_saveexec_b32 s22, s16
	s_cbranch_execz .LBB4_6534
.LBB4_6533:                             ;   in Loop: Header=BB4_6327 Depth=3
	v_and_b32_sdwa v79, v119, v17 dst_sel:DWORD dst_unused:UNUSED_PAD src0_sel:DWORD src1_sel:BYTE_1
	v_and_b32_e32 v88, 7, v79
	v_bfe_u32 v91, v79, 3, 4
	v_ffbh_u32_e32 v89, v88
	v_cmp_eq_u32_e32 vcc_lo, 0, v91
	v_min_u32_e32 v89, 32, v89
	v_subrev_nc_u32_e32 v90, 28, v89
	v_sub_nc_u32_e32 v89, 29, v89
	v_lshlrev_b32_e32 v79, v90, v79
	v_lshlrev_b32_e32 v90, 16, v17
	v_cndmask_b32_e32 v89, v91, v89, vcc_lo
	v_and_b32_e32 v79, 7, v79
	v_lshl_add_u32 v89, v89, 23, 0x3b800000
	v_cndmask_b32_e32 v79, v88, v79, vcc_lo
	v_and_b32_e32 v88, 0x80000000, v90
	v_lshlrev_b32_e32 v79, 20, v79
	v_or3_b32 v79, v88, v89, v79
.LBB4_6534:                             ;   in Loop: Header=BB4_6327 Depth=3
	s_or_b32 exec_lo, exec_lo, s22
	v_max_f32_e32 v79, v79, v79
	v_max_f32_e32 v78, v78, v78
	v_min_f32_e32 v79, v78, v79
.LBB4_6535:                             ;   in Loop: Header=BB4_6327 Depth=3
	v_and_b32_e32 v78, 0x7f800000, v79
	v_cmp_ne_u32_e32 vcc_lo, 0x7f800000, v78
	v_mov_b32_e32 v78, 0x8000
	s_and_saveexec_b32 s22, vcc_lo
	s_cbranch_execz .LBB4_6543
; %bb.6536:                             ;   in Loop: Header=BB4_6327 Depth=3
	v_mov_b32_e32 v78, 0
	s_mov_b32 s23, exec_lo
	v_cmpx_ne_u32_e32 0, v79
	s_cbranch_execz .LBB4_6542
; %bb.6537:                             ;   in Loop: Header=BB4_6327 Depth=3
	v_bfe_u32 v78, v79, 23, 8
	v_and_b32_e32 v88, 0x7fffff, v79
	v_sub_nc_u32_e32 v89, 0x78, v78
	v_cmp_gt_u32_e32 vcc_lo, 0x79, v78
	v_or_b32_e32 v90, 0x800000, v88
	v_cndmask_b32_e32 v89, 0, v89, vcc_lo
	v_cmp_eq_u32_e32 vcc_lo, 0, v78
	v_add_nc_u32_e32 v78, 0xffffff89, v78
	v_cndmask_b32_e64 v89, v89, 0x77, vcc_lo
	v_cndmask_b32_e32 v88, v90, v88, vcc_lo
	v_cndmask_b32_e64 v78, v78, 0xffffff8a, vcc_lo
	v_lshl_add_u32 v90, 0x100000, v89, -1
	v_lshrrev_b32_e32 v91, v89, v88
	v_lshlrev_b32_e64 v93, v89, 0x80000
	v_add_nc_u32_e32 v89, v89, v78
	v_and_b32_e32 v88, v90, v88
	v_bfe_u32 v92, v91, 20, 1
	v_cmp_eq_u32_e64 s16, v88, v93
	v_add_nc_u32_e32 v90, -1, v92
	v_cndmask_b32_e64 v88, 0, v90, s16
	v_lshrrev_b32_e32 v90, 23, v91
	s_mov_b32 s16, exec_lo
	v_add_nc_u32_e32 v88, v88, v91
	v_xor_b32_e32 v90, 1, v90
	v_and_b32_e32 v78, 0xfffff, v88
	v_add_nc_u32_e32 v88, v78, v91
                                        ; implicit-def: $vgpr78
	v_cmpx_ne_u32_e64 v89, v90
	s_xor_b32 s16, exec_lo, s16
; %bb.6538:                             ;   in Loop: Header=BB4_6327 Depth=3
	v_cmp_lt_u32_e32 vcc_lo, 0xffffff, v88
	v_sub_nc_u32_e32 v78, v89, v90
	v_cndmask_b32_e64 v89, 0, 1, vcc_lo
	v_add_co_ci_u32_e64 v78, null, 0, v78, vcc_lo
	v_lshrrev_b32_e32 v88, v89, v88
; %bb.6539:                             ;   in Loop: Header=BB4_6327 Depth=3
	s_andn2_saveexec_b32 s16, s16
; %bb.6540:                             ;   in Loop: Header=BB4_6327 Depth=3
	v_bfe_u32 v78, v88, 23, 1
; %bb.6541:                             ;   in Loop: Header=BB4_6327 Depth=3
	s_or_b32 exec_lo, exec_lo, s16
	v_lshrrev_b32_e32 v88, 20, v88
	v_min_i32_e32 v89, 15, v78
	v_cmp_gt_i32_e32 vcc_lo, 16, v78
	v_and_b32_sdwa v79, v79, v118 dst_sel:DWORD dst_unused:UNUSED_PAD src0_sel:BYTE_3 src1_sel:DWORD
	v_lshlrev_b32_e32 v89, 3, v89
	v_cndmask_b32_e32 v88, 7, v88, vcc_lo
	v_and_b32_e32 v89, 0xf8, v89
	v_and_b32_e32 v90, 7, v88
	v_or_b32_e32 v78, v78, v88
	v_or3_b32 v79, v79, v89, v90
	v_cmp_ne_u32_e32 vcc_lo, 0, v78
	v_lshlrev_b32_e32 v79, 8, v79
	v_cndmask_b32_e32 v78, 0, v79, vcc_lo
.LBB4_6542:                             ;   in Loop: Header=BB4_6327 Depth=3
	s_or_b32 exec_lo, exec_lo, s23
.LBB4_6543:                             ;   in Loop: Header=BB4_6327 Depth=3
	s_or_b32 exec_lo, exec_lo, s22
	v_and_b32_sdwa v79, v21, v40 dst_sel:DWORD dst_unused:UNUSED_PAD src0_sel:WORD_1 src1_sel:DWORD
	s_and_b32 vcc_lo, exec_lo, s19
	s_mov_b32 s22, -1
                                        ; implicit-def: $vgpr88
	v_cmp_lt_i16_e64 s16, 0x7f, v79
	s_cbranch_vccz .LBB4_6557
; %bb.6544:                             ;   in Loop: Header=BB4_6327 Depth=3
	s_mov_b32 s22, 0
	s_and_saveexec_b32 s23, s16
	s_xor_b32 s16, exec_lo, s23
	s_cbranch_execz .LBB4_7525
; %bb.6545:                             ;   in Loop: Header=BB4_6327 Depth=3
	s_mov_b32 s22, -1
	s_mov_b32 s23, exec_lo
	v_cmpx_eq_u16_e32 0x80, v79
; %bb.6546:                             ;   in Loop: Header=BB4_6327 Depth=3
	s_xor_b32 s22, exec_lo, -1
; %bb.6547:                             ;   in Loop: Header=BB4_6327 Depth=3
	s_or_b32 exec_lo, exec_lo, s23
	s_and_b32 s22, s22, exec_lo
	s_or_saveexec_b32 s16, s16
	v_mov_b32_e32 v88, 0x7f800001
	s_xor_b32 exec_lo, exec_lo, s16
	s_cbranch_execnz .LBB4_7526
.LBB4_6548:                             ;   in Loop: Header=BB4_6327 Depth=3
	s_or_b32 exec_lo, exec_lo, s16
	s_and_saveexec_b32 s16, s22
	s_cbranch_execz .LBB4_6550
.LBB4_6549:                             ;   in Loop: Header=BB4_6327 Depth=3
	v_bfe_u32 v88, v21, 16, 3
	v_bfe_u32 v91, v21, 19, 4
	v_lshlrev_b32_sdwa v92, v41, v21 dst_sel:DWORD dst_unused:UNUSED_PAD src0_sel:DWORD src1_sel:WORD_1
	v_ffbh_u32_e32 v89, v88
	v_cmp_eq_u32_e32 vcc_lo, 0, v91
	v_min_u32_e32 v89, 32, v89
	v_subrev_nc_u32_e32 v90, 28, v89
	v_sub_nc_u32_e32 v89, 29, v89
	v_lshlrev_b32_sdwa v90, v90, v21 dst_sel:DWORD dst_unused:UNUSED_PAD src0_sel:DWORD src1_sel:WORD_1
	v_cndmask_b32_e32 v89, v91, v89, vcc_lo
	v_and_b32_e32 v90, 7, v90
	v_lshl_add_u32 v89, v89, 23, 0x3b800000
	v_cndmask_b32_e32 v88, v88, v90, vcc_lo
	v_and_b32_e32 v90, 0x80000000, v92
	v_lshlrev_b32_e32 v88, 20, v88
	v_or3_b32 v88, v90, v89, v88
.LBB4_6550:                             ;   in Loop: Header=BB4_6327 Depth=3
	s_or_b32 exec_lo, exec_lo, s16
	v_and_b32_sdwa v90, v17, v40 dst_sel:DWORD dst_unused:UNUSED_PAD src0_sel:WORD_1 src1_sel:DWORD
	s_mov_b32 s16, 0
	s_mov_b32 s22, exec_lo
	v_cmpx_lt_i16_e32 0x7f, v90
	s_xor_b32 s22, exec_lo, s22
	s_cbranch_execz .LBB4_7527
; %bb.6551:                             ;   in Loop: Header=BB4_6327 Depth=3
	s_mov_b32 s16, -1
	s_mov_b32 s23, exec_lo
	v_cmpx_eq_u16_e32 0x80, v90
; %bb.6552:                             ;   in Loop: Header=BB4_6327 Depth=3
	s_xor_b32 s16, exec_lo, -1
; %bb.6553:                             ;   in Loop: Header=BB4_6327 Depth=3
	s_or_b32 exec_lo, exec_lo, s23
	s_and_b32 s16, s16, exec_lo
                                        ; implicit-def: $vgpr90
	s_or_saveexec_b32 s22, s22
	v_mov_b32_e32 v89, 0x7f800001
	s_xor_b32 exec_lo, exec_lo, s22
	s_cbranch_execnz .LBB4_7528
.LBB4_6554:                             ;   in Loop: Header=BB4_6327 Depth=3
	s_or_b32 exec_lo, exec_lo, s22
	s_and_saveexec_b32 s22, s16
	s_cbranch_execz .LBB4_6556
.LBB4_6555:                             ;   in Loop: Header=BB4_6327 Depth=3
	v_bfe_u32 v89, v17, 16, 3
	v_bfe_u32 v92, v17, 19, 4
	v_lshlrev_b32_sdwa v93, v41, v17 dst_sel:DWORD dst_unused:UNUSED_PAD src0_sel:DWORD src1_sel:WORD_1
	v_ffbh_u32_e32 v90, v89
	v_cmp_eq_u32_e32 vcc_lo, 0, v92
	v_min_u32_e32 v90, 32, v90
	v_subrev_nc_u32_e32 v91, 28, v90
	v_sub_nc_u32_e32 v90, 29, v90
	v_lshlrev_b32_sdwa v91, v91, v17 dst_sel:DWORD dst_unused:UNUSED_PAD src0_sel:DWORD src1_sel:WORD_1
	v_cndmask_b32_e32 v90, v92, v90, vcc_lo
	v_and_b32_e32 v91, 7, v91
	v_lshl_add_u32 v90, v90, 23, 0x3b800000
	v_cndmask_b32_e32 v89, v89, v91, vcc_lo
	v_and_b32_e32 v91, 0x80000000, v93
	v_lshlrev_b32_e32 v89, 20, v89
	v_or3_b32 v89, v91, v90, v89
.LBB4_6556:                             ;   in Loop: Header=BB4_6327 Depth=3
	s_or_b32 exec_lo, exec_lo, s22
	v_max_f32_e32 v89, v89, v89
	v_max_f32_e32 v88, v88, v88
	s_mov_b32 s22, 0
	v_max_f32_e32 v88, v88, v89
.LBB4_6557:                             ;   in Loop: Header=BB4_6327 Depth=3
	s_and_b32 vcc_lo, exec_lo, s22
	s_cbranch_vccz .LBB4_6571
; %bb.6558:                             ;   in Loop: Header=BB4_6327 Depth=3
	s_mov_b32 s16, 0
	s_mov_b32 s22, exec_lo
	v_cmpx_lt_i16_e32 0x7f, v79
	s_xor_b32 s22, exec_lo, s22
	s_cbranch_execz .LBB4_7529
; %bb.6559:                             ;   in Loop: Header=BB4_6327 Depth=3
	s_mov_b32 s16, -1
	s_mov_b32 s23, exec_lo
	v_cmpx_eq_u16_e32 0x80, v79
; %bb.6560:                             ;   in Loop: Header=BB4_6327 Depth=3
	s_xor_b32 s16, exec_lo, -1
; %bb.6561:                             ;   in Loop: Header=BB4_6327 Depth=3
	s_or_b32 exec_lo, exec_lo, s23
	s_and_b32 s16, s16, exec_lo
                                        ; implicit-def: $vgpr79
	s_or_saveexec_b32 s22, s22
	v_mov_b32_e32 v88, 0x7f800001
	s_xor_b32 exec_lo, exec_lo, s22
	s_cbranch_execnz .LBB4_7530
.LBB4_6562:                             ;   in Loop: Header=BB4_6327 Depth=3
	s_or_b32 exec_lo, exec_lo, s22
	s_and_saveexec_b32 s22, s16
	s_cbranch_execz .LBB4_6564
.LBB4_6563:                             ;   in Loop: Header=BB4_6327 Depth=3
	v_bfe_u32 v79, v21, 16, 3
	v_bfe_u32 v90, v21, 19, 4
	v_lshlrev_b32_sdwa v91, v41, v21 dst_sel:DWORD dst_unused:UNUSED_PAD src0_sel:DWORD src1_sel:WORD_1
	v_ffbh_u32_e32 v88, v79
	v_cmp_eq_u32_e32 vcc_lo, 0, v90
	v_min_u32_e32 v88, 32, v88
	v_subrev_nc_u32_e32 v89, 28, v88
	v_sub_nc_u32_e32 v88, 29, v88
	v_lshlrev_b32_sdwa v89, v89, v21 dst_sel:DWORD dst_unused:UNUSED_PAD src0_sel:DWORD src1_sel:WORD_1
	v_cndmask_b32_e32 v88, v90, v88, vcc_lo
	v_and_b32_e32 v89, 7, v89
	v_lshl_add_u32 v88, v88, 23, 0x3b800000
	v_cndmask_b32_e32 v79, v79, v89, vcc_lo
	v_and_b32_e32 v89, 0x80000000, v91
	v_lshlrev_b32_e32 v79, 20, v79
	v_or3_b32 v88, v89, v88, v79
.LBB4_6564:                             ;   in Loop: Header=BB4_6327 Depth=3
	s_or_b32 exec_lo, exec_lo, s22
	v_and_b32_sdwa v89, v17, v40 dst_sel:DWORD dst_unused:UNUSED_PAD src0_sel:WORD_1 src1_sel:DWORD
	s_mov_b32 s16, 0
	s_mov_b32 s22, exec_lo
	v_cmpx_lt_i16_e32 0x7f, v89
	s_xor_b32 s22, exec_lo, s22
	s_cbranch_execz .LBB4_7531
; %bb.6565:                             ;   in Loop: Header=BB4_6327 Depth=3
	s_mov_b32 s16, -1
	s_mov_b32 s23, exec_lo
	v_cmpx_eq_u16_e32 0x80, v89
; %bb.6566:                             ;   in Loop: Header=BB4_6327 Depth=3
	s_xor_b32 s16, exec_lo, -1
; %bb.6567:                             ;   in Loop: Header=BB4_6327 Depth=3
	s_or_b32 exec_lo, exec_lo, s23
	s_and_b32 s16, s16, exec_lo
                                        ; implicit-def: $vgpr89
	s_or_saveexec_b32 s22, s22
	v_mov_b32_e32 v79, 0x7f800001
	s_xor_b32 exec_lo, exec_lo, s22
	s_cbranch_execnz .LBB4_7532
.LBB4_6568:                             ;   in Loop: Header=BB4_6327 Depth=3
	s_or_b32 exec_lo, exec_lo, s22
	s_and_saveexec_b32 s22, s16
	s_cbranch_execz .LBB4_6570
.LBB4_6569:                             ;   in Loop: Header=BB4_6327 Depth=3
	v_bfe_u32 v79, v17, 16, 3
	v_bfe_u32 v91, v17, 19, 4
	v_lshlrev_b32_sdwa v92, v41, v17 dst_sel:DWORD dst_unused:UNUSED_PAD src0_sel:DWORD src1_sel:WORD_1
	v_ffbh_u32_e32 v89, v79
	v_cmp_eq_u32_e32 vcc_lo, 0, v91
	v_min_u32_e32 v89, 32, v89
	v_subrev_nc_u32_e32 v90, 28, v89
	v_sub_nc_u32_e32 v89, 29, v89
	v_lshlrev_b32_sdwa v90, v90, v17 dst_sel:DWORD dst_unused:UNUSED_PAD src0_sel:DWORD src1_sel:WORD_1
	v_cndmask_b32_e32 v89, v91, v89, vcc_lo
	v_and_b32_e32 v90, 7, v90
	v_lshl_add_u32 v89, v89, 23, 0x3b800000
	v_cndmask_b32_e32 v79, v79, v90, vcc_lo
	v_and_b32_e32 v90, 0x80000000, v92
	v_lshlrev_b32_e32 v79, 20, v79
	v_or3_b32 v79, v90, v89, v79
.LBB4_6570:                             ;   in Loop: Header=BB4_6327 Depth=3
	s_or_b32 exec_lo, exec_lo, s22
	v_max_f32_e32 v79, v79, v79
	v_max_f32_e32 v88, v88, v88
	v_min_f32_e32 v88, v88, v79
.LBB4_6571:                             ;   in Loop: Header=BB4_6327 Depth=3
	v_and_b32_e32 v79, 0x7f800000, v88
	v_cmp_ne_u32_e32 vcc_lo, 0x7f800000, v79
	v_mov_b32_e32 v79, 0x80
	s_and_saveexec_b32 s22, vcc_lo
	s_cbranch_execz .LBB4_6579
; %bb.6572:                             ;   in Loop: Header=BB4_6327 Depth=3
	v_mov_b32_e32 v79, 0
	s_mov_b32 s23, exec_lo
	v_cmpx_ne_u32_e32 0, v88
	s_cbranch_execz .LBB4_6578
; %bb.6573:                             ;   in Loop: Header=BB4_6327 Depth=3
	v_bfe_u32 v79, v88, 23, 8
	v_and_b32_e32 v89, 0x7fffff, v88
	v_sub_nc_u32_e32 v90, 0x78, v79
	v_cmp_gt_u32_e32 vcc_lo, 0x79, v79
	v_or_b32_e32 v91, 0x800000, v89
	v_cndmask_b32_e32 v90, 0, v90, vcc_lo
	v_cmp_eq_u32_e32 vcc_lo, 0, v79
	v_add_nc_u32_e32 v79, 0xffffff89, v79
	v_cndmask_b32_e64 v90, v90, 0x77, vcc_lo
	v_cndmask_b32_e32 v89, v91, v89, vcc_lo
	v_cndmask_b32_e64 v79, v79, 0xffffff8a, vcc_lo
	v_lshl_add_u32 v91, 0x100000, v90, -1
	v_lshrrev_b32_e32 v92, v90, v89
	v_lshlrev_b32_e64 v94, v90, 0x80000
	v_add_nc_u32_e32 v90, v90, v79
	v_and_b32_e32 v89, v91, v89
	v_bfe_u32 v93, v92, 20, 1
	v_cmp_eq_u32_e64 s16, v89, v94
	v_add_nc_u32_e32 v91, -1, v93
	v_cndmask_b32_e64 v89, 0, v91, s16
	v_lshrrev_b32_e32 v91, 23, v92
	s_mov_b32 s16, exec_lo
	v_add_nc_u32_e32 v89, v89, v92
	v_xor_b32_e32 v91, 1, v91
	v_and_b32_e32 v79, 0xfffff, v89
	v_add_nc_u32_e32 v89, v79, v92
                                        ; implicit-def: $vgpr79
	v_cmpx_ne_u32_e64 v90, v91
	s_xor_b32 s16, exec_lo, s16
; %bb.6574:                             ;   in Loop: Header=BB4_6327 Depth=3
	v_cmp_lt_u32_e32 vcc_lo, 0xffffff, v89
	v_sub_nc_u32_e32 v79, v90, v91
	v_cndmask_b32_e64 v90, 0, 1, vcc_lo
	v_add_co_ci_u32_e64 v79, null, 0, v79, vcc_lo
	v_lshrrev_b32_e32 v89, v90, v89
; %bb.6575:                             ;   in Loop: Header=BB4_6327 Depth=3
	s_andn2_saveexec_b32 s16, s16
; %bb.6576:                             ;   in Loop: Header=BB4_6327 Depth=3
	v_bfe_u32 v79, v89, 23, 1
; %bb.6577:                             ;   in Loop: Header=BB4_6327 Depth=3
	s_or_b32 exec_lo, exec_lo, s16
	v_lshrrev_b32_e32 v89, 20, v89
	v_min_i32_e32 v90, 15, v79
	v_cmp_gt_i32_e32 vcc_lo, 16, v79
	v_and_b32_sdwa v88, v88, v118 dst_sel:DWORD dst_unused:UNUSED_PAD src0_sel:BYTE_3 src1_sel:DWORD
	v_lshlrev_b32_e32 v90, 3, v90
	v_cndmask_b32_e32 v89, 7, v89, vcc_lo
	v_and_b32_e32 v90, 0xf8, v90
	v_and_b32_e32 v91, 7, v89
	v_or_b32_e32 v79, v79, v89
	v_or3_b32 v88, v90, v88, v91
	v_cmp_ne_u32_e32 vcc_lo, 0, v79
	v_cndmask_b32_e32 v79, 0, v88, vcc_lo
.LBB4_6578:                             ;   in Loop: Header=BB4_6327 Depth=3
	s_or_b32 exec_lo, exec_lo, s23
.LBB4_6579:                             ;   in Loop: Header=BB4_6327 Depth=3
	s_or_b32 exec_lo, exec_lo, s22
	v_cmp_gt_i16_sdwa s22, v21, v117 src0_sel:BYTE_3 src1_sel:DWORD
	s_and_b32 vcc_lo, exec_lo, s19
	s_mov_b32 s16, -1
                                        ; implicit-def: $vgpr88
	s_cbranch_vccz .LBB4_6593
; %bb.6580:                             ;   in Loop: Header=BB4_6327 Depth=3
	s_mov_b32 s16, 0
	s_and_saveexec_b32 s23, s22
	s_xor_b32 s22, exec_lo, s23
	s_cbranch_execz .LBB4_7533
; %bb.6581:                             ;   in Loop: Header=BB4_6327 Depth=3
	v_cmp_eq_u16_sdwa s73, v21, v118 src0_sel:BYTE_3 src1_sel:DWORD
	s_mov_b32 s16, -1
	s_and_saveexec_b32 s23, s73
; %bb.6582:                             ;   in Loop: Header=BB4_6327 Depth=3
	s_xor_b32 s16, exec_lo, -1
; %bb.6583:                             ;   in Loop: Header=BB4_6327 Depth=3
	s_or_b32 exec_lo, exec_lo, s23
	s_and_b32 s16, s16, exec_lo
	s_or_saveexec_b32 s22, s22
	v_mov_b32_e32 v88, 0x7f800001
	s_xor_b32 exec_lo, exec_lo, s22
	s_cbranch_execnz .LBB4_7534
.LBB4_6584:                             ;   in Loop: Header=BB4_6327 Depth=3
	s_or_b32 exec_lo, exec_lo, s22
	s_and_saveexec_b32 s22, s16
	s_cbranch_execz .LBB4_6586
.LBB4_6585:                             ;   in Loop: Header=BB4_6327 Depth=3
	v_bfe_u32 v88, v21, 24, 3
	v_bfe_u32 v91, v21, 27, 4
	v_ffbh_u32_e32 v89, v88
	v_cmp_eq_u32_e32 vcc_lo, 0, v91
	v_min_u32_e32 v89, 32, v89
	v_subrev_nc_u32_e32 v90, 28, v89
	v_sub_nc_u32_e32 v89, 29, v89
	v_lshlrev_b32_sdwa v90, v90, v21 dst_sel:DWORD dst_unused:UNUSED_PAD src0_sel:DWORD src1_sel:BYTE_3
	v_cndmask_b32_e32 v89, v91, v89, vcc_lo
	v_and_b32_e32 v90, 7, v90
	v_lshl_add_u32 v89, v89, 23, 0x3b800000
	v_cndmask_b32_e32 v88, v88, v90, vcc_lo
	v_and_b32_e32 v90, 0x80000000, v21
	v_lshlrev_b32_e32 v88, 20, v88
	v_or3_b32 v88, v90, v89, v88
.LBB4_6586:                             ;   in Loop: Header=BB4_6327 Depth=3
	s_or_b32 exec_lo, exec_lo, s22
	v_cmp_gt_i16_sdwa s22, v17, v117 src0_sel:BYTE_3 src1_sel:DWORD
	s_mov_b32 s16, 0
	s_and_saveexec_b32 s23, s22
	s_xor_b32 s22, exec_lo, s23
	s_cbranch_execz .LBB4_7535
; %bb.6587:                             ;   in Loop: Header=BB4_6327 Depth=3
	v_cmp_eq_u16_sdwa s73, v17, v118 src0_sel:BYTE_3 src1_sel:DWORD
	s_mov_b32 s16, -1
	s_and_saveexec_b32 s23, s73
; %bb.6588:                             ;   in Loop: Header=BB4_6327 Depth=3
	s_xor_b32 s16, exec_lo, -1
; %bb.6589:                             ;   in Loop: Header=BB4_6327 Depth=3
	s_or_b32 exec_lo, exec_lo, s23
	s_and_b32 s16, s16, exec_lo
	s_or_saveexec_b32 s22, s22
	v_mov_b32_e32 v89, 0x7f800001
	s_xor_b32 exec_lo, exec_lo, s22
	s_cbranch_execnz .LBB4_7536
.LBB4_6590:                             ;   in Loop: Header=BB4_6327 Depth=3
	s_or_b32 exec_lo, exec_lo, s22
	s_and_saveexec_b32 s22, s16
	s_cbranch_execz .LBB4_6592
.LBB4_6591:                             ;   in Loop: Header=BB4_6327 Depth=3
	v_bfe_u32 v89, v17, 24, 3
	v_bfe_u32 v92, v17, 27, 4
	v_ffbh_u32_e32 v90, v89
	v_cmp_eq_u32_e32 vcc_lo, 0, v92
	v_min_u32_e32 v90, 32, v90
	v_subrev_nc_u32_e32 v91, 28, v90
	v_sub_nc_u32_e32 v90, 29, v90
	v_lshlrev_b32_sdwa v91, v91, v17 dst_sel:DWORD dst_unused:UNUSED_PAD src0_sel:DWORD src1_sel:BYTE_3
	v_cndmask_b32_e32 v90, v92, v90, vcc_lo
	v_and_b32_e32 v91, 7, v91
	v_lshl_add_u32 v90, v90, 23, 0x3b800000
	v_cndmask_b32_e32 v89, v89, v91, vcc_lo
	v_and_b32_e32 v91, 0x80000000, v17
	v_lshlrev_b32_e32 v89, 20, v89
	v_or3_b32 v89, v91, v90, v89
.LBB4_6592:                             ;   in Loop: Header=BB4_6327 Depth=3
	s_or_b32 exec_lo, exec_lo, s22
	v_max_f32_e32 v89, v89, v89
	v_max_f32_e32 v88, v88, v88
	s_mov_b32 s16, 0
	v_max_f32_e32 v88, v88, v89
.LBB4_6593:                             ;   in Loop: Header=BB4_6327 Depth=3
	s_and_b32 vcc_lo, exec_lo, s16
	s_cbranch_vccz .LBB4_6607
; %bb.6594:                             ;   in Loop: Header=BB4_6327 Depth=3
	v_cmp_gt_i16_sdwa s22, v21, v117 src0_sel:BYTE_3 src1_sel:DWORD
	s_mov_b32 s16, 0
	s_and_saveexec_b32 s23, s22
	s_xor_b32 s22, exec_lo, s23
	s_cbranch_execz .LBB4_7537
; %bb.6595:                             ;   in Loop: Header=BB4_6327 Depth=3
	v_cmp_eq_u16_sdwa s73, v21, v118 src0_sel:BYTE_3 src1_sel:DWORD
	s_mov_b32 s16, -1
	s_and_saveexec_b32 s23, s73
; %bb.6596:                             ;   in Loop: Header=BB4_6327 Depth=3
	s_xor_b32 s16, exec_lo, -1
; %bb.6597:                             ;   in Loop: Header=BB4_6327 Depth=3
	s_or_b32 exec_lo, exec_lo, s23
	s_and_b32 s16, s16, exec_lo
	s_or_saveexec_b32 s22, s22
	v_mov_b32_e32 v88, 0x7f800001
	s_xor_b32 exec_lo, exec_lo, s22
	s_cbranch_execnz .LBB4_7538
.LBB4_6598:                             ;   in Loop: Header=BB4_6327 Depth=3
	s_or_b32 exec_lo, exec_lo, s22
	s_and_saveexec_b32 s22, s16
	s_cbranch_execz .LBB4_6600
.LBB4_6599:                             ;   in Loop: Header=BB4_6327 Depth=3
	v_bfe_u32 v88, v21, 24, 3
	v_bfe_u32 v91, v21, 27, 4
	v_ffbh_u32_e32 v89, v88
	v_cmp_eq_u32_e32 vcc_lo, 0, v91
	v_min_u32_e32 v89, 32, v89
	v_subrev_nc_u32_e32 v90, 28, v89
	v_sub_nc_u32_e32 v89, 29, v89
	v_lshlrev_b32_sdwa v90, v90, v21 dst_sel:DWORD dst_unused:UNUSED_PAD src0_sel:DWORD src1_sel:BYTE_3
	v_cndmask_b32_e32 v89, v91, v89, vcc_lo
	v_and_b32_e32 v21, 0x80000000, v21
	v_and_b32_e32 v90, 7, v90
	v_lshl_add_u32 v89, v89, 23, 0x3b800000
	v_cndmask_b32_e32 v88, v88, v90, vcc_lo
	v_lshlrev_b32_e32 v88, 20, v88
	v_or3_b32 v88, v21, v89, v88
.LBB4_6600:                             ;   in Loop: Header=BB4_6327 Depth=3
	s_or_b32 exec_lo, exec_lo, s22
	v_cmp_gt_i16_sdwa s22, v17, v117 src0_sel:BYTE_3 src1_sel:DWORD
	s_mov_b32 s16, 0
	s_and_saveexec_b32 s23, s22
	s_xor_b32 s22, exec_lo, s23
	s_cbranch_execz .LBB4_7539
; %bb.6601:                             ;   in Loop: Header=BB4_6327 Depth=3
	v_cmp_eq_u16_sdwa s73, v17, v118 src0_sel:BYTE_3 src1_sel:DWORD
	s_mov_b32 s16, -1
	s_and_saveexec_b32 s23, s73
; %bb.6602:                             ;   in Loop: Header=BB4_6327 Depth=3
	s_xor_b32 s16, exec_lo, -1
; %bb.6603:                             ;   in Loop: Header=BB4_6327 Depth=3
	s_or_b32 exec_lo, exec_lo, s23
	s_and_b32 s16, s16, exec_lo
	s_or_saveexec_b32 s22, s22
	v_mov_b32_e32 v21, 0x7f800001
	s_xor_b32 exec_lo, exec_lo, s22
	s_cbranch_execnz .LBB4_7540
.LBB4_6604:                             ;   in Loop: Header=BB4_6327 Depth=3
	s_or_b32 exec_lo, exec_lo, s22
	s_and_saveexec_b32 s22, s16
	s_cbranch_execz .LBB4_6606
.LBB4_6605:                             ;   in Loop: Header=BB4_6327 Depth=3
	v_bfe_u32 v21, v17, 24, 3
	v_bfe_u32 v91, v17, 27, 4
	v_ffbh_u32_e32 v89, v21
	v_cmp_eq_u32_e32 vcc_lo, 0, v91
	v_min_u32_e32 v89, 32, v89
	v_subrev_nc_u32_e32 v90, 28, v89
	v_sub_nc_u32_e32 v89, 29, v89
	v_lshlrev_b32_sdwa v90, v90, v17 dst_sel:DWORD dst_unused:UNUSED_PAD src0_sel:DWORD src1_sel:BYTE_3
	v_cndmask_b32_e32 v89, v91, v89, vcc_lo
	v_and_b32_e32 v17, 0x80000000, v17
	v_and_b32_e32 v90, 7, v90
	v_lshl_add_u32 v89, v89, 23, 0x3b800000
	v_cndmask_b32_e32 v21, v21, v90, vcc_lo
	v_lshlrev_b32_e32 v21, 20, v21
	v_or3_b32 v21, v17, v89, v21
.LBB4_6606:                             ;   in Loop: Header=BB4_6327 Depth=3
	s_or_b32 exec_lo, exec_lo, s22
	v_max_f32_e32 v17, v21, v21
	v_max_f32_e32 v21, v88, v88
	v_min_f32_e32 v88, v21, v17
.LBB4_6607:                             ;   in Loop: Header=BB4_6327 Depth=3
	v_and_b32_e32 v17, 0x7f800000, v88
	v_cmp_ne_u32_e32 vcc_lo, 0x7f800000, v17
	v_mov_b32_e32 v17, 0x8000
	s_and_saveexec_b32 s22, vcc_lo
	s_cbranch_execz .LBB4_6615
; %bb.6608:                             ;   in Loop: Header=BB4_6327 Depth=3
	v_mov_b32_e32 v17, 0
	s_mov_b32 s23, exec_lo
	v_cmpx_ne_u32_e32 0, v88
	s_cbranch_execz .LBB4_6614
; %bb.6609:                             ;   in Loop: Header=BB4_6327 Depth=3
	v_bfe_u32 v17, v88, 23, 8
	v_and_b32_e32 v21, 0x7fffff, v88
	v_sub_nc_u32_e32 v89, 0x78, v17
	v_cmp_gt_u32_e32 vcc_lo, 0x79, v17
	v_or_b32_e32 v90, 0x800000, v21
	v_cndmask_b32_e32 v89, 0, v89, vcc_lo
	v_cmp_eq_u32_e32 vcc_lo, 0, v17
	v_add_nc_u32_e32 v17, 0xffffff89, v17
	v_cndmask_b32_e64 v89, v89, 0x77, vcc_lo
	v_cndmask_b32_e32 v21, v90, v21, vcc_lo
	v_cndmask_b32_e64 v17, v17, 0xffffff8a, vcc_lo
	v_lshl_add_u32 v90, 0x100000, v89, -1
	v_lshrrev_b32_e32 v91, v89, v21
	v_lshlrev_b32_e64 v93, v89, 0x80000
	v_add_nc_u32_e32 v89, v89, v17
	v_and_b32_e32 v21, v90, v21
	v_bfe_u32 v92, v91, 20, 1
	v_cmp_eq_u32_e64 s16, v21, v93
	v_add_nc_u32_e32 v90, -1, v92
	v_cndmask_b32_e64 v21, 0, v90, s16
	v_lshrrev_b32_e32 v90, 23, v91
	s_mov_b32 s16, exec_lo
	v_add_nc_u32_e32 v21, v21, v91
	v_xor_b32_e32 v90, 1, v90
	v_and_b32_e32 v17, 0xfffff, v21
	v_add_nc_u32_e32 v21, v17, v91
                                        ; implicit-def: $vgpr17
	v_cmpx_ne_u32_e64 v89, v90
	s_xor_b32 s16, exec_lo, s16
; %bb.6610:                             ;   in Loop: Header=BB4_6327 Depth=3
	v_cmp_lt_u32_e32 vcc_lo, 0xffffff, v21
	v_sub_nc_u32_e32 v17, v89, v90
	v_cndmask_b32_e64 v89, 0, 1, vcc_lo
	v_add_co_ci_u32_e64 v17, null, 0, v17, vcc_lo
	v_lshrrev_b32_e32 v21, v89, v21
; %bb.6611:                             ;   in Loop: Header=BB4_6327 Depth=3
	s_andn2_saveexec_b32 s16, s16
; %bb.6612:                             ;   in Loop: Header=BB4_6327 Depth=3
	v_bfe_u32 v17, v21, 23, 1
; %bb.6613:                             ;   in Loop: Header=BB4_6327 Depth=3
	s_or_b32 exec_lo, exec_lo, s16
	v_lshrrev_b32_e32 v21, 20, v21
	v_min_i32_e32 v89, 15, v17
	v_cmp_gt_i32_e32 vcc_lo, 16, v17
	v_and_b32_sdwa v88, v88, v118 dst_sel:DWORD dst_unused:UNUSED_PAD src0_sel:BYTE_3 src1_sel:DWORD
	v_lshlrev_b32_e32 v89, 3, v89
	v_cndmask_b32_e32 v21, 7, v21, vcc_lo
	v_and_b32_e32 v89, 0xf8, v89
	v_and_b32_e32 v90, 7, v21
	v_or_b32_e32 v17, v17, v21
	v_or3_b32 v88, v88, v89, v90
	v_cmp_ne_u32_e32 vcc_lo, 0, v17
	v_lshlrev_b32_e32 v21, 8, v88
	v_cndmask_b32_e32 v17, 0, v21, vcc_lo
.LBB4_6614:                             ;   in Loop: Header=BB4_6327 Depth=3
	s_or_b32 exec_lo, exec_lo, s23
.LBB4_6615:                             ;   in Loop: Header=BB4_6327 Depth=3
	s_or_b32 exec_lo, exec_lo, s22
	v_cmp_gt_i16_sdwa s22, v22, v117 src0_sel:BYTE_0 src1_sel:DWORD
	s_and_b32 vcc_lo, exec_lo, s19
	s_mov_b32 s16, -1
                                        ; implicit-def: $vgpr88
	s_cbranch_vccz .LBB4_6629
; %bb.6616:                             ;   in Loop: Header=BB4_6327 Depth=3
	s_mov_b32 s16, 0
	s_and_saveexec_b32 s23, s22
	s_xor_b32 s22, exec_lo, s23
	s_cbranch_execz .LBB4_7541
; %bb.6617:                             ;   in Loop: Header=BB4_6327 Depth=3
	v_cmp_eq_u16_sdwa s73, v22, v118 src0_sel:BYTE_0 src1_sel:DWORD
	s_mov_b32 s16, -1
	s_and_saveexec_b32 s23, s73
; %bb.6618:                             ;   in Loop: Header=BB4_6327 Depth=3
	s_xor_b32 s16, exec_lo, -1
; %bb.6619:                             ;   in Loop: Header=BB4_6327 Depth=3
	s_or_b32 exec_lo, exec_lo, s23
	s_and_b32 s16, s16, exec_lo
	s_or_saveexec_b32 s22, s22
	v_mov_b32_e32 v21, 0x7f800001
	s_xor_b32 exec_lo, exec_lo, s22
	s_cbranch_execnz .LBB4_7542
.LBB4_6620:                             ;   in Loop: Header=BB4_6327 Depth=3
	s_or_b32 exec_lo, exec_lo, s22
	s_and_saveexec_b32 s22, s16
	s_cbranch_execz .LBB4_6622
.LBB4_6621:                             ;   in Loop: Header=BB4_6327 Depth=3
	v_and_b32_e32 v21, 7, v22
	v_bfe_u32 v90, v22, 3, 4
	v_lshlrev_b32_e32 v91, 24, v22
	v_ffbh_u32_e32 v88, v21
	v_cmp_eq_u32_e32 vcc_lo, 0, v90
	v_min_u32_e32 v88, 32, v88
	v_subrev_nc_u32_e32 v89, 28, v88
	v_sub_nc_u32_e32 v88, 29, v88
	v_lshlrev_b32_e32 v89, v89, v22
	v_cndmask_b32_e32 v88, v90, v88, vcc_lo
	v_and_b32_e32 v89, 7, v89
	v_lshl_add_u32 v88, v88, 23, 0x3b800000
	v_cndmask_b32_e32 v21, v21, v89, vcc_lo
	v_and_b32_e32 v89, 0x80000000, v91
	v_lshlrev_b32_e32 v21, 20, v21
	v_or3_b32 v21, v89, v88, v21
.LBB4_6622:                             ;   in Loop: Header=BB4_6327 Depth=3
	s_or_b32 exec_lo, exec_lo, s22
	v_cmp_gt_i16_sdwa s22, v18, v117 src0_sel:BYTE_0 src1_sel:DWORD
	s_mov_b32 s16, 0
	s_and_saveexec_b32 s23, s22
	s_xor_b32 s22, exec_lo, s23
	s_cbranch_execz .LBB4_7543
; %bb.6623:                             ;   in Loop: Header=BB4_6327 Depth=3
	v_cmp_eq_u16_sdwa s73, v18, v118 src0_sel:BYTE_0 src1_sel:DWORD
	s_mov_b32 s16, -1
	s_and_saveexec_b32 s23, s73
; %bb.6624:                             ;   in Loop: Header=BB4_6327 Depth=3
	s_xor_b32 s16, exec_lo, -1
; %bb.6625:                             ;   in Loop: Header=BB4_6327 Depth=3
	s_or_b32 exec_lo, exec_lo, s23
	s_and_b32 s16, s16, exec_lo
	s_or_saveexec_b32 s22, s22
	v_mov_b32_e32 v88, 0x7f800001
	s_xor_b32 exec_lo, exec_lo, s22
	s_cbranch_execnz .LBB4_7544
.LBB4_6626:                             ;   in Loop: Header=BB4_6327 Depth=3
	s_or_b32 exec_lo, exec_lo, s22
	s_and_saveexec_b32 s22, s16
	s_cbranch_execz .LBB4_6628
.LBB4_6627:                             ;   in Loop: Header=BB4_6327 Depth=3
	v_and_b32_e32 v88, 7, v18
	v_bfe_u32 v91, v18, 3, 4
	v_lshlrev_b32_e32 v92, 24, v18
	v_ffbh_u32_e32 v89, v88
	v_cmp_eq_u32_e32 vcc_lo, 0, v91
	v_min_u32_e32 v89, 32, v89
	v_subrev_nc_u32_e32 v90, 28, v89
	v_sub_nc_u32_e32 v89, 29, v89
	v_lshlrev_b32_e32 v90, v90, v18
	v_cndmask_b32_e32 v89, v91, v89, vcc_lo
	v_and_b32_e32 v90, 7, v90
	v_lshl_add_u32 v89, v89, 23, 0x3b800000
	v_cndmask_b32_e32 v88, v88, v90, vcc_lo
	v_and_b32_e32 v90, 0x80000000, v92
	v_lshlrev_b32_e32 v88, 20, v88
	v_or3_b32 v88, v90, v89, v88
.LBB4_6628:                             ;   in Loop: Header=BB4_6327 Depth=3
	s_or_b32 exec_lo, exec_lo, s22
	v_max_f32_e32 v88, v88, v88
	v_max_f32_e32 v21, v21, v21
	s_mov_b32 s16, 0
	v_max_f32_e32 v88, v21, v88
.LBB4_6629:                             ;   in Loop: Header=BB4_6327 Depth=3
	s_and_b32 vcc_lo, exec_lo, s16
	s_cbranch_vccz .LBB4_6643
; %bb.6630:                             ;   in Loop: Header=BB4_6327 Depth=3
	v_cmp_gt_i16_sdwa s22, v22, v117 src0_sel:BYTE_0 src1_sel:DWORD
	s_mov_b32 s16, 0
	s_and_saveexec_b32 s23, s22
	s_xor_b32 s22, exec_lo, s23
	s_cbranch_execz .LBB4_7545
; %bb.6631:                             ;   in Loop: Header=BB4_6327 Depth=3
	v_cmp_eq_u16_sdwa s73, v22, v118 src0_sel:BYTE_0 src1_sel:DWORD
	s_mov_b32 s16, -1
	s_and_saveexec_b32 s23, s73
; %bb.6632:                             ;   in Loop: Header=BB4_6327 Depth=3
	s_xor_b32 s16, exec_lo, -1
; %bb.6633:                             ;   in Loop: Header=BB4_6327 Depth=3
	s_or_b32 exec_lo, exec_lo, s23
	s_and_b32 s16, s16, exec_lo
	s_or_saveexec_b32 s22, s22
	v_mov_b32_e32 v21, 0x7f800001
	s_xor_b32 exec_lo, exec_lo, s22
	s_cbranch_execnz .LBB4_7546
.LBB4_6634:                             ;   in Loop: Header=BB4_6327 Depth=3
	s_or_b32 exec_lo, exec_lo, s22
	s_and_saveexec_b32 s22, s16
	s_cbranch_execz .LBB4_6636
.LBB4_6635:                             ;   in Loop: Header=BB4_6327 Depth=3
	v_and_b32_e32 v21, 7, v22
	v_bfe_u32 v90, v22, 3, 4
	v_lshlrev_b32_e32 v91, 24, v22
	v_ffbh_u32_e32 v88, v21
	v_cmp_eq_u32_e32 vcc_lo, 0, v90
	v_min_u32_e32 v88, 32, v88
	v_subrev_nc_u32_e32 v89, 28, v88
	v_sub_nc_u32_e32 v88, 29, v88
	v_lshlrev_b32_e32 v89, v89, v22
	v_cndmask_b32_e32 v88, v90, v88, vcc_lo
	v_and_b32_e32 v89, 7, v89
	v_lshl_add_u32 v88, v88, 23, 0x3b800000
	v_cndmask_b32_e32 v21, v21, v89, vcc_lo
	v_and_b32_e32 v89, 0x80000000, v91
	v_lshlrev_b32_e32 v21, 20, v21
	v_or3_b32 v21, v89, v88, v21
.LBB4_6636:                             ;   in Loop: Header=BB4_6327 Depth=3
	s_or_b32 exec_lo, exec_lo, s22
	v_cmp_gt_i16_sdwa s22, v18, v117 src0_sel:BYTE_0 src1_sel:DWORD
	s_mov_b32 s16, 0
	s_and_saveexec_b32 s23, s22
	s_xor_b32 s22, exec_lo, s23
	s_cbranch_execz .LBB4_7547
; %bb.6637:                             ;   in Loop: Header=BB4_6327 Depth=3
	v_cmp_eq_u16_sdwa s73, v18, v118 src0_sel:BYTE_0 src1_sel:DWORD
	s_mov_b32 s16, -1
	s_and_saveexec_b32 s23, s73
; %bb.6638:                             ;   in Loop: Header=BB4_6327 Depth=3
	s_xor_b32 s16, exec_lo, -1
; %bb.6639:                             ;   in Loop: Header=BB4_6327 Depth=3
	s_or_b32 exec_lo, exec_lo, s23
	s_and_b32 s16, s16, exec_lo
	s_or_saveexec_b32 s22, s22
	v_mov_b32_e32 v88, 0x7f800001
	s_xor_b32 exec_lo, exec_lo, s22
	s_cbranch_execnz .LBB4_7548
.LBB4_6640:                             ;   in Loop: Header=BB4_6327 Depth=3
	s_or_b32 exec_lo, exec_lo, s22
	s_and_saveexec_b32 s22, s16
	s_cbranch_execz .LBB4_6642
.LBB4_6641:                             ;   in Loop: Header=BB4_6327 Depth=3
	v_and_b32_e32 v88, 7, v18
	v_bfe_u32 v91, v18, 3, 4
	v_lshlrev_b32_e32 v92, 24, v18
	v_ffbh_u32_e32 v89, v88
	v_cmp_eq_u32_e32 vcc_lo, 0, v91
	v_min_u32_e32 v89, 32, v89
	v_subrev_nc_u32_e32 v90, 28, v89
	v_sub_nc_u32_e32 v89, 29, v89
	v_lshlrev_b32_e32 v90, v90, v18
	v_cndmask_b32_e32 v89, v91, v89, vcc_lo
	v_and_b32_e32 v90, 7, v90
	v_lshl_add_u32 v89, v89, 23, 0x3b800000
	v_cndmask_b32_e32 v88, v88, v90, vcc_lo
	v_and_b32_e32 v90, 0x80000000, v92
	v_lshlrev_b32_e32 v88, 20, v88
	v_or3_b32 v88, v90, v89, v88
.LBB4_6642:                             ;   in Loop: Header=BB4_6327 Depth=3
	s_or_b32 exec_lo, exec_lo, s22
	v_max_f32_e32 v88, v88, v88
	v_max_f32_e32 v21, v21, v21
	v_min_f32_e32 v88, v21, v88
.LBB4_6643:                             ;   in Loop: Header=BB4_6327 Depth=3
	v_and_b32_e32 v21, 0x7f800000, v88
	v_cmp_ne_u32_e32 vcc_lo, 0x7f800000, v21
	v_mov_b32_e32 v21, 0x80
	s_and_saveexec_b32 s22, vcc_lo
	s_cbranch_execz .LBB4_6651
; %bb.6644:                             ;   in Loop: Header=BB4_6327 Depth=3
	v_mov_b32_e32 v21, 0
	s_mov_b32 s23, exec_lo
	v_cmpx_ne_u32_e32 0, v88
	s_cbranch_execz .LBB4_6650
; %bb.6645:                             ;   in Loop: Header=BB4_6327 Depth=3
	v_bfe_u32 v21, v88, 23, 8
	v_and_b32_e32 v89, 0x7fffff, v88
	v_sub_nc_u32_e32 v90, 0x78, v21
	v_cmp_gt_u32_e32 vcc_lo, 0x79, v21
	v_or_b32_e32 v91, 0x800000, v89
	v_cndmask_b32_e32 v90, 0, v90, vcc_lo
	v_cmp_eq_u32_e32 vcc_lo, 0, v21
	v_add_nc_u32_e32 v21, 0xffffff89, v21
	v_cndmask_b32_e64 v90, v90, 0x77, vcc_lo
	v_cndmask_b32_e32 v89, v91, v89, vcc_lo
	v_cndmask_b32_e64 v21, v21, 0xffffff8a, vcc_lo
	v_lshl_add_u32 v91, 0x100000, v90, -1
	v_lshrrev_b32_e32 v92, v90, v89
	v_lshlrev_b32_e64 v94, v90, 0x80000
	v_add_nc_u32_e32 v90, v90, v21
	v_and_b32_e32 v89, v91, v89
	v_bfe_u32 v93, v92, 20, 1
	v_cmp_eq_u32_e64 s16, v89, v94
	v_add_nc_u32_e32 v91, -1, v93
	v_cndmask_b32_e64 v89, 0, v91, s16
	v_lshrrev_b32_e32 v91, 23, v92
	s_mov_b32 s16, exec_lo
	v_add_nc_u32_e32 v89, v89, v92
	v_xor_b32_e32 v91, 1, v91
	v_and_b32_e32 v21, 0xfffff, v89
	v_add_nc_u32_e32 v89, v21, v92
                                        ; implicit-def: $vgpr21
	v_cmpx_ne_u32_e64 v90, v91
	s_xor_b32 s16, exec_lo, s16
; %bb.6646:                             ;   in Loop: Header=BB4_6327 Depth=3
	v_cmp_lt_u32_e32 vcc_lo, 0xffffff, v89
	v_sub_nc_u32_e32 v21, v90, v91
	v_cndmask_b32_e64 v90, 0, 1, vcc_lo
	v_add_co_ci_u32_e64 v21, null, 0, v21, vcc_lo
	v_lshrrev_b32_e32 v89, v90, v89
; %bb.6647:                             ;   in Loop: Header=BB4_6327 Depth=3
	s_andn2_saveexec_b32 s16, s16
; %bb.6648:                             ;   in Loop: Header=BB4_6327 Depth=3
	v_bfe_u32 v21, v89, 23, 1
; %bb.6649:                             ;   in Loop: Header=BB4_6327 Depth=3
	s_or_b32 exec_lo, exec_lo, s16
	v_lshrrev_b32_e32 v89, 20, v89
	v_min_i32_e32 v90, 15, v21
	v_cmp_gt_i32_e32 vcc_lo, 16, v21
	v_and_b32_sdwa v88, v88, v118 dst_sel:DWORD dst_unused:UNUSED_PAD src0_sel:BYTE_3 src1_sel:DWORD
	v_lshlrev_b32_e32 v90, 3, v90
	v_cndmask_b32_e32 v89, 7, v89, vcc_lo
	v_and_b32_e32 v90, 0xf8, v90
	v_and_b32_e32 v91, 7, v89
	v_or_b32_e32 v21, v21, v89
	v_or3_b32 v88, v90, v88, v91
	v_cmp_ne_u32_e32 vcc_lo, 0, v21
	v_cndmask_b32_e32 v21, 0, v88, vcc_lo
.LBB4_6650:                             ;   in Loop: Header=BB4_6327 Depth=3
	s_or_b32 exec_lo, exec_lo, s23
.LBB4_6651:                             ;   in Loop: Header=BB4_6327 Depth=3
	s_or_b32 exec_lo, exec_lo, s22
	v_cmp_gt_i16_sdwa s22, v22, v117 src0_sel:BYTE_1 src1_sel:DWORD
	s_and_b32 vcc_lo, exec_lo, s19
	s_mov_b32 s16, -1
                                        ; implicit-def: $vgpr89
	s_cbranch_vccz .LBB4_6665
; %bb.6652:                             ;   in Loop: Header=BB4_6327 Depth=3
	s_mov_b32 s16, 0
	s_and_saveexec_b32 s23, s22
	s_xor_b32 s22, exec_lo, s23
	s_cbranch_execz .LBB4_7549
; %bb.6653:                             ;   in Loop: Header=BB4_6327 Depth=3
	v_cmp_eq_u16_sdwa s73, v22, v118 src0_sel:BYTE_1 src1_sel:DWORD
	s_mov_b32 s16, -1
	s_and_saveexec_b32 s23, s73
; %bb.6654:                             ;   in Loop: Header=BB4_6327 Depth=3
	s_xor_b32 s16, exec_lo, -1
; %bb.6655:                             ;   in Loop: Header=BB4_6327 Depth=3
	s_or_b32 exec_lo, exec_lo, s23
	s_and_b32 s16, s16, exec_lo
	s_or_saveexec_b32 s22, s22
	v_mov_b32_e32 v88, 0x7f800001
	s_xor_b32 exec_lo, exec_lo, s22
	s_cbranch_execnz .LBB4_7550
.LBB4_6656:                             ;   in Loop: Header=BB4_6327 Depth=3
	s_or_b32 exec_lo, exec_lo, s22
	s_and_saveexec_b32 s22, s16
	s_cbranch_execz .LBB4_6658
.LBB4_6657:                             ;   in Loop: Header=BB4_6327 Depth=3
	v_and_b32_sdwa v88, v119, v22 dst_sel:DWORD dst_unused:UNUSED_PAD src0_sel:DWORD src1_sel:BYTE_1
	v_and_b32_e32 v89, 7, v88
	v_bfe_u32 v92, v88, 3, 4
	v_ffbh_u32_e32 v90, v89
	v_cmp_eq_u32_e32 vcc_lo, 0, v92
	v_min_u32_e32 v90, 32, v90
	v_subrev_nc_u32_e32 v91, 28, v90
	v_sub_nc_u32_e32 v90, 29, v90
	v_lshlrev_b32_e32 v88, v91, v88
	v_lshlrev_b32_e32 v91, 16, v22
	v_cndmask_b32_e32 v90, v92, v90, vcc_lo
	v_and_b32_e32 v88, 7, v88
	v_lshl_add_u32 v90, v90, 23, 0x3b800000
	v_cndmask_b32_e32 v88, v89, v88, vcc_lo
	v_and_b32_e32 v89, 0x80000000, v91
	v_lshlrev_b32_e32 v88, 20, v88
	v_or3_b32 v88, v89, v90, v88
.LBB4_6658:                             ;   in Loop: Header=BB4_6327 Depth=3
	s_or_b32 exec_lo, exec_lo, s22
	v_cmp_gt_i16_sdwa s22, v18, v117 src0_sel:BYTE_1 src1_sel:DWORD
	s_mov_b32 s16, 0
	s_and_saveexec_b32 s23, s22
	s_xor_b32 s22, exec_lo, s23
	s_cbranch_execz .LBB4_7551
; %bb.6659:                             ;   in Loop: Header=BB4_6327 Depth=3
	v_cmp_eq_u16_sdwa s73, v18, v118 src0_sel:BYTE_1 src1_sel:DWORD
	s_mov_b32 s16, -1
	s_and_saveexec_b32 s23, s73
; %bb.6660:                             ;   in Loop: Header=BB4_6327 Depth=3
	s_xor_b32 s16, exec_lo, -1
; %bb.6661:                             ;   in Loop: Header=BB4_6327 Depth=3
	s_or_b32 exec_lo, exec_lo, s23
	s_and_b32 s16, s16, exec_lo
	s_or_saveexec_b32 s22, s22
	v_mov_b32_e32 v89, 0x7f800001
	s_xor_b32 exec_lo, exec_lo, s22
	s_cbranch_execnz .LBB4_7552
.LBB4_6662:                             ;   in Loop: Header=BB4_6327 Depth=3
	s_or_b32 exec_lo, exec_lo, s22
	s_and_saveexec_b32 s22, s16
	s_cbranch_execz .LBB4_6664
.LBB4_6663:                             ;   in Loop: Header=BB4_6327 Depth=3
	v_and_b32_sdwa v89, v119, v18 dst_sel:DWORD dst_unused:UNUSED_PAD src0_sel:DWORD src1_sel:BYTE_1
	v_and_b32_e32 v90, 7, v89
	v_bfe_u32 v93, v89, 3, 4
	v_ffbh_u32_e32 v91, v90
	v_cmp_eq_u32_e32 vcc_lo, 0, v93
	v_min_u32_e32 v91, 32, v91
	v_subrev_nc_u32_e32 v92, 28, v91
	v_sub_nc_u32_e32 v91, 29, v91
	v_lshlrev_b32_e32 v89, v92, v89
	v_lshlrev_b32_e32 v92, 16, v18
	v_cndmask_b32_e32 v91, v93, v91, vcc_lo
	v_and_b32_e32 v89, 7, v89
	v_lshl_add_u32 v91, v91, 23, 0x3b800000
	v_cndmask_b32_e32 v89, v90, v89, vcc_lo
	v_and_b32_e32 v90, 0x80000000, v92
	v_lshlrev_b32_e32 v89, 20, v89
	v_or3_b32 v89, v90, v91, v89
.LBB4_6664:                             ;   in Loop: Header=BB4_6327 Depth=3
	s_or_b32 exec_lo, exec_lo, s22
	v_max_f32_e32 v89, v89, v89
	v_max_f32_e32 v88, v88, v88
	s_mov_b32 s16, 0
	v_max_f32_e32 v89, v88, v89
.LBB4_6665:                             ;   in Loop: Header=BB4_6327 Depth=3
	s_and_b32 vcc_lo, exec_lo, s16
	s_cbranch_vccz .LBB4_6679
; %bb.6666:                             ;   in Loop: Header=BB4_6327 Depth=3
	v_cmp_gt_i16_sdwa s22, v22, v117 src0_sel:BYTE_1 src1_sel:DWORD
	s_mov_b32 s16, 0
	s_and_saveexec_b32 s23, s22
	s_xor_b32 s22, exec_lo, s23
	s_cbranch_execz .LBB4_7553
; %bb.6667:                             ;   in Loop: Header=BB4_6327 Depth=3
	v_cmp_eq_u16_sdwa s73, v22, v118 src0_sel:BYTE_1 src1_sel:DWORD
	s_mov_b32 s16, -1
	s_and_saveexec_b32 s23, s73
; %bb.6668:                             ;   in Loop: Header=BB4_6327 Depth=3
	s_xor_b32 s16, exec_lo, -1
; %bb.6669:                             ;   in Loop: Header=BB4_6327 Depth=3
	s_or_b32 exec_lo, exec_lo, s23
	s_and_b32 s16, s16, exec_lo
	s_or_saveexec_b32 s22, s22
	v_mov_b32_e32 v88, 0x7f800001
	s_xor_b32 exec_lo, exec_lo, s22
	s_cbranch_execnz .LBB4_7554
.LBB4_6670:                             ;   in Loop: Header=BB4_6327 Depth=3
	s_or_b32 exec_lo, exec_lo, s22
	s_and_saveexec_b32 s22, s16
	s_cbranch_execz .LBB4_6672
.LBB4_6671:                             ;   in Loop: Header=BB4_6327 Depth=3
	v_and_b32_sdwa v88, v119, v22 dst_sel:DWORD dst_unused:UNUSED_PAD src0_sel:DWORD src1_sel:BYTE_1
	v_and_b32_e32 v89, 7, v88
	v_bfe_u32 v92, v88, 3, 4
	v_ffbh_u32_e32 v90, v89
	v_cmp_eq_u32_e32 vcc_lo, 0, v92
	v_min_u32_e32 v90, 32, v90
	v_subrev_nc_u32_e32 v91, 28, v90
	v_sub_nc_u32_e32 v90, 29, v90
	v_lshlrev_b32_e32 v88, v91, v88
	v_lshlrev_b32_e32 v91, 16, v22
	v_cndmask_b32_e32 v90, v92, v90, vcc_lo
	v_and_b32_e32 v88, 7, v88
	v_lshl_add_u32 v90, v90, 23, 0x3b800000
	v_cndmask_b32_e32 v88, v89, v88, vcc_lo
	v_and_b32_e32 v89, 0x80000000, v91
	v_lshlrev_b32_e32 v88, 20, v88
	v_or3_b32 v88, v89, v90, v88
.LBB4_6672:                             ;   in Loop: Header=BB4_6327 Depth=3
	s_or_b32 exec_lo, exec_lo, s22
	v_cmp_gt_i16_sdwa s22, v18, v117 src0_sel:BYTE_1 src1_sel:DWORD
	s_mov_b32 s16, 0
	s_and_saveexec_b32 s23, s22
	s_xor_b32 s22, exec_lo, s23
	s_cbranch_execz .LBB4_7555
; %bb.6673:                             ;   in Loop: Header=BB4_6327 Depth=3
	v_cmp_eq_u16_sdwa s73, v18, v118 src0_sel:BYTE_1 src1_sel:DWORD
	s_mov_b32 s16, -1
	s_and_saveexec_b32 s23, s73
; %bb.6674:                             ;   in Loop: Header=BB4_6327 Depth=3
	s_xor_b32 s16, exec_lo, -1
; %bb.6675:                             ;   in Loop: Header=BB4_6327 Depth=3
	s_or_b32 exec_lo, exec_lo, s23
	s_and_b32 s16, s16, exec_lo
	s_or_saveexec_b32 s22, s22
	v_mov_b32_e32 v89, 0x7f800001
	s_xor_b32 exec_lo, exec_lo, s22
	s_cbranch_execnz .LBB4_7556
.LBB4_6676:                             ;   in Loop: Header=BB4_6327 Depth=3
	s_or_b32 exec_lo, exec_lo, s22
	s_and_saveexec_b32 s22, s16
	s_cbranch_execz .LBB4_6678
.LBB4_6677:                             ;   in Loop: Header=BB4_6327 Depth=3
	v_and_b32_sdwa v89, v119, v18 dst_sel:DWORD dst_unused:UNUSED_PAD src0_sel:DWORD src1_sel:BYTE_1
	v_and_b32_e32 v90, 7, v89
	v_bfe_u32 v93, v89, 3, 4
	v_ffbh_u32_e32 v91, v90
	v_cmp_eq_u32_e32 vcc_lo, 0, v93
	v_min_u32_e32 v91, 32, v91
	v_subrev_nc_u32_e32 v92, 28, v91
	v_sub_nc_u32_e32 v91, 29, v91
	v_lshlrev_b32_e32 v89, v92, v89
	v_lshlrev_b32_e32 v92, 16, v18
	v_cndmask_b32_e32 v91, v93, v91, vcc_lo
	v_and_b32_e32 v89, 7, v89
	v_lshl_add_u32 v91, v91, 23, 0x3b800000
	v_cndmask_b32_e32 v89, v90, v89, vcc_lo
	v_and_b32_e32 v90, 0x80000000, v92
	v_lshlrev_b32_e32 v89, 20, v89
	v_or3_b32 v89, v90, v91, v89
.LBB4_6678:                             ;   in Loop: Header=BB4_6327 Depth=3
	s_or_b32 exec_lo, exec_lo, s22
	v_max_f32_e32 v89, v89, v89
	v_max_f32_e32 v88, v88, v88
	v_min_f32_e32 v89, v88, v89
.LBB4_6679:                             ;   in Loop: Header=BB4_6327 Depth=3
	v_and_b32_e32 v88, 0x7f800000, v89
	v_cmp_ne_u32_e32 vcc_lo, 0x7f800000, v88
	v_mov_b32_e32 v88, 0x8000
	s_and_saveexec_b32 s22, vcc_lo
	s_cbranch_execz .LBB4_6687
; %bb.6680:                             ;   in Loop: Header=BB4_6327 Depth=3
	v_mov_b32_e32 v88, 0
	s_mov_b32 s23, exec_lo
	v_cmpx_ne_u32_e32 0, v89
	s_cbranch_execz .LBB4_6686
; %bb.6681:                             ;   in Loop: Header=BB4_6327 Depth=3
	v_bfe_u32 v88, v89, 23, 8
	v_and_b32_e32 v90, 0x7fffff, v89
	v_sub_nc_u32_e32 v91, 0x78, v88
	v_cmp_gt_u32_e32 vcc_lo, 0x79, v88
	v_or_b32_e32 v92, 0x800000, v90
	v_cndmask_b32_e32 v91, 0, v91, vcc_lo
	v_cmp_eq_u32_e32 vcc_lo, 0, v88
	v_add_nc_u32_e32 v88, 0xffffff89, v88
	v_cndmask_b32_e64 v91, v91, 0x77, vcc_lo
	v_cndmask_b32_e32 v90, v92, v90, vcc_lo
	v_cndmask_b32_e64 v88, v88, 0xffffff8a, vcc_lo
	v_lshl_add_u32 v92, 0x100000, v91, -1
	v_lshrrev_b32_e32 v93, v91, v90
	v_lshlrev_b32_e64 v95, v91, 0x80000
	v_add_nc_u32_e32 v91, v91, v88
	v_and_b32_e32 v90, v92, v90
	v_bfe_u32 v94, v93, 20, 1
	v_cmp_eq_u32_e64 s16, v90, v95
	v_add_nc_u32_e32 v92, -1, v94
	v_cndmask_b32_e64 v90, 0, v92, s16
	v_lshrrev_b32_e32 v92, 23, v93
	s_mov_b32 s16, exec_lo
	v_add_nc_u32_e32 v90, v90, v93
	v_xor_b32_e32 v92, 1, v92
	v_and_b32_e32 v88, 0xfffff, v90
	v_add_nc_u32_e32 v90, v88, v93
                                        ; implicit-def: $vgpr88
	v_cmpx_ne_u32_e64 v91, v92
	s_xor_b32 s16, exec_lo, s16
; %bb.6682:                             ;   in Loop: Header=BB4_6327 Depth=3
	v_cmp_lt_u32_e32 vcc_lo, 0xffffff, v90
	v_sub_nc_u32_e32 v88, v91, v92
	v_cndmask_b32_e64 v91, 0, 1, vcc_lo
	v_add_co_ci_u32_e64 v88, null, 0, v88, vcc_lo
	v_lshrrev_b32_e32 v90, v91, v90
; %bb.6683:                             ;   in Loop: Header=BB4_6327 Depth=3
	s_andn2_saveexec_b32 s16, s16
; %bb.6684:                             ;   in Loop: Header=BB4_6327 Depth=3
	v_bfe_u32 v88, v90, 23, 1
; %bb.6685:                             ;   in Loop: Header=BB4_6327 Depth=3
	s_or_b32 exec_lo, exec_lo, s16
	v_lshrrev_b32_e32 v90, 20, v90
	v_min_i32_e32 v91, 15, v88
	v_cmp_gt_i32_e32 vcc_lo, 16, v88
	v_and_b32_sdwa v89, v89, v118 dst_sel:DWORD dst_unused:UNUSED_PAD src0_sel:BYTE_3 src1_sel:DWORD
	v_lshlrev_b32_e32 v91, 3, v91
	v_cndmask_b32_e32 v90, 7, v90, vcc_lo
	v_and_b32_e32 v91, 0xf8, v91
	v_and_b32_e32 v92, 7, v90
	v_or_b32_e32 v88, v88, v90
	v_or3_b32 v89, v89, v91, v92
	v_cmp_ne_u32_e32 vcc_lo, 0, v88
	v_lshlrev_b32_e32 v89, 8, v89
	v_cndmask_b32_e32 v88, 0, v89, vcc_lo
.LBB4_6686:                             ;   in Loop: Header=BB4_6327 Depth=3
	s_or_b32 exec_lo, exec_lo, s23
.LBB4_6687:                             ;   in Loop: Header=BB4_6327 Depth=3
	s_or_b32 exec_lo, exec_lo, s22
	v_and_b32_sdwa v89, v22, v40 dst_sel:DWORD dst_unused:UNUSED_PAD src0_sel:WORD_1 src1_sel:DWORD
	s_and_b32 vcc_lo, exec_lo, s19
	s_mov_b32 s22, -1
                                        ; implicit-def: $vgpr90
	v_cmp_lt_i16_e64 s16, 0x7f, v89
	s_cbranch_vccz .LBB4_6701
; %bb.6688:                             ;   in Loop: Header=BB4_6327 Depth=3
	s_mov_b32 s22, 0
	s_and_saveexec_b32 s23, s16
	s_xor_b32 s16, exec_lo, s23
	s_cbranch_execz .LBB4_7557
; %bb.6689:                             ;   in Loop: Header=BB4_6327 Depth=3
	s_mov_b32 s22, -1
	s_mov_b32 s23, exec_lo
	v_cmpx_eq_u16_e32 0x80, v89
; %bb.6690:                             ;   in Loop: Header=BB4_6327 Depth=3
	s_xor_b32 s22, exec_lo, -1
; %bb.6691:                             ;   in Loop: Header=BB4_6327 Depth=3
	s_or_b32 exec_lo, exec_lo, s23
	s_and_b32 s22, s22, exec_lo
	s_or_saveexec_b32 s16, s16
	v_mov_b32_e32 v90, 0x7f800001
	s_xor_b32 exec_lo, exec_lo, s16
	s_cbranch_execnz .LBB4_7558
.LBB4_6692:                             ;   in Loop: Header=BB4_6327 Depth=3
	s_or_b32 exec_lo, exec_lo, s16
	s_and_saveexec_b32 s16, s22
	s_cbranch_execz .LBB4_6694
.LBB4_6693:                             ;   in Loop: Header=BB4_6327 Depth=3
	v_bfe_u32 v90, v22, 16, 3
	v_bfe_u32 v93, v22, 19, 4
	v_lshlrev_b32_sdwa v94, v41, v22 dst_sel:DWORD dst_unused:UNUSED_PAD src0_sel:DWORD src1_sel:WORD_1
	v_ffbh_u32_e32 v91, v90
	v_cmp_eq_u32_e32 vcc_lo, 0, v93
	v_min_u32_e32 v91, 32, v91
	v_subrev_nc_u32_e32 v92, 28, v91
	v_sub_nc_u32_e32 v91, 29, v91
	v_lshlrev_b32_sdwa v92, v92, v22 dst_sel:DWORD dst_unused:UNUSED_PAD src0_sel:DWORD src1_sel:WORD_1
	v_cndmask_b32_e32 v91, v93, v91, vcc_lo
	v_and_b32_e32 v92, 7, v92
	v_lshl_add_u32 v91, v91, 23, 0x3b800000
	v_cndmask_b32_e32 v90, v90, v92, vcc_lo
	v_and_b32_e32 v92, 0x80000000, v94
	v_lshlrev_b32_e32 v90, 20, v90
	v_or3_b32 v90, v92, v91, v90
.LBB4_6694:                             ;   in Loop: Header=BB4_6327 Depth=3
	s_or_b32 exec_lo, exec_lo, s16
	v_and_b32_sdwa v92, v18, v40 dst_sel:DWORD dst_unused:UNUSED_PAD src0_sel:WORD_1 src1_sel:DWORD
	s_mov_b32 s16, 0
	s_mov_b32 s22, exec_lo
	v_cmpx_lt_i16_e32 0x7f, v92
	s_xor_b32 s22, exec_lo, s22
	s_cbranch_execz .LBB4_7559
; %bb.6695:                             ;   in Loop: Header=BB4_6327 Depth=3
	s_mov_b32 s16, -1
	s_mov_b32 s23, exec_lo
	v_cmpx_eq_u16_e32 0x80, v92
; %bb.6696:                             ;   in Loop: Header=BB4_6327 Depth=3
	s_xor_b32 s16, exec_lo, -1
; %bb.6697:                             ;   in Loop: Header=BB4_6327 Depth=3
	s_or_b32 exec_lo, exec_lo, s23
	s_and_b32 s16, s16, exec_lo
                                        ; implicit-def: $vgpr92
	s_or_saveexec_b32 s22, s22
	v_mov_b32_e32 v91, 0x7f800001
	s_xor_b32 exec_lo, exec_lo, s22
	s_cbranch_execnz .LBB4_7560
.LBB4_6698:                             ;   in Loop: Header=BB4_6327 Depth=3
	s_or_b32 exec_lo, exec_lo, s22
	s_and_saveexec_b32 s22, s16
	s_cbranch_execz .LBB4_6700
.LBB4_6699:                             ;   in Loop: Header=BB4_6327 Depth=3
	v_bfe_u32 v91, v18, 16, 3
	v_bfe_u32 v94, v18, 19, 4
	v_lshlrev_b32_sdwa v95, v41, v18 dst_sel:DWORD dst_unused:UNUSED_PAD src0_sel:DWORD src1_sel:WORD_1
	v_ffbh_u32_e32 v92, v91
	v_cmp_eq_u32_e32 vcc_lo, 0, v94
	v_min_u32_e32 v92, 32, v92
	v_subrev_nc_u32_e32 v93, 28, v92
	v_sub_nc_u32_e32 v92, 29, v92
	v_lshlrev_b32_sdwa v93, v93, v18 dst_sel:DWORD dst_unused:UNUSED_PAD src0_sel:DWORD src1_sel:WORD_1
	v_cndmask_b32_e32 v92, v94, v92, vcc_lo
	v_and_b32_e32 v93, 7, v93
	v_lshl_add_u32 v92, v92, 23, 0x3b800000
	v_cndmask_b32_e32 v91, v91, v93, vcc_lo
	v_and_b32_e32 v93, 0x80000000, v95
	v_lshlrev_b32_e32 v91, 20, v91
	v_or3_b32 v91, v93, v92, v91
.LBB4_6700:                             ;   in Loop: Header=BB4_6327 Depth=3
	s_or_b32 exec_lo, exec_lo, s22
	v_max_f32_e32 v91, v91, v91
	v_max_f32_e32 v90, v90, v90
	s_mov_b32 s22, 0
	v_max_f32_e32 v90, v90, v91
.LBB4_6701:                             ;   in Loop: Header=BB4_6327 Depth=3
	s_and_b32 vcc_lo, exec_lo, s22
	s_cbranch_vccz .LBB4_6715
; %bb.6702:                             ;   in Loop: Header=BB4_6327 Depth=3
	s_mov_b32 s16, 0
	s_mov_b32 s22, exec_lo
	v_cmpx_lt_i16_e32 0x7f, v89
	s_xor_b32 s22, exec_lo, s22
	s_cbranch_execz .LBB4_7561
; %bb.6703:                             ;   in Loop: Header=BB4_6327 Depth=3
	s_mov_b32 s16, -1
	s_mov_b32 s23, exec_lo
	v_cmpx_eq_u16_e32 0x80, v89
; %bb.6704:                             ;   in Loop: Header=BB4_6327 Depth=3
	s_xor_b32 s16, exec_lo, -1
; %bb.6705:                             ;   in Loop: Header=BB4_6327 Depth=3
	s_or_b32 exec_lo, exec_lo, s23
	s_and_b32 s16, s16, exec_lo
                                        ; implicit-def: $vgpr89
	s_or_saveexec_b32 s22, s22
	v_mov_b32_e32 v90, 0x7f800001
	s_xor_b32 exec_lo, exec_lo, s22
	s_cbranch_execnz .LBB4_7562
.LBB4_6706:                             ;   in Loop: Header=BB4_6327 Depth=3
	s_or_b32 exec_lo, exec_lo, s22
	s_and_saveexec_b32 s22, s16
	s_cbranch_execz .LBB4_6708
.LBB4_6707:                             ;   in Loop: Header=BB4_6327 Depth=3
	v_bfe_u32 v89, v22, 16, 3
	v_bfe_u32 v92, v22, 19, 4
	v_lshlrev_b32_sdwa v93, v41, v22 dst_sel:DWORD dst_unused:UNUSED_PAD src0_sel:DWORD src1_sel:WORD_1
	v_ffbh_u32_e32 v90, v89
	v_cmp_eq_u32_e32 vcc_lo, 0, v92
	v_min_u32_e32 v90, 32, v90
	v_subrev_nc_u32_e32 v91, 28, v90
	v_sub_nc_u32_e32 v90, 29, v90
	v_lshlrev_b32_sdwa v91, v91, v22 dst_sel:DWORD dst_unused:UNUSED_PAD src0_sel:DWORD src1_sel:WORD_1
	v_cndmask_b32_e32 v90, v92, v90, vcc_lo
	v_and_b32_e32 v91, 7, v91
	v_lshl_add_u32 v90, v90, 23, 0x3b800000
	v_cndmask_b32_e32 v89, v89, v91, vcc_lo
	v_and_b32_e32 v91, 0x80000000, v93
	v_lshlrev_b32_e32 v89, 20, v89
	v_or3_b32 v90, v91, v90, v89
.LBB4_6708:                             ;   in Loop: Header=BB4_6327 Depth=3
	s_or_b32 exec_lo, exec_lo, s22
	v_and_b32_sdwa v91, v18, v40 dst_sel:DWORD dst_unused:UNUSED_PAD src0_sel:WORD_1 src1_sel:DWORD
	s_mov_b32 s16, 0
	s_mov_b32 s22, exec_lo
	v_cmpx_lt_i16_e32 0x7f, v91
	s_xor_b32 s22, exec_lo, s22
	s_cbranch_execz .LBB4_7563
; %bb.6709:                             ;   in Loop: Header=BB4_6327 Depth=3
	s_mov_b32 s16, -1
	s_mov_b32 s23, exec_lo
	v_cmpx_eq_u16_e32 0x80, v91
; %bb.6710:                             ;   in Loop: Header=BB4_6327 Depth=3
	s_xor_b32 s16, exec_lo, -1
; %bb.6711:                             ;   in Loop: Header=BB4_6327 Depth=3
	s_or_b32 exec_lo, exec_lo, s23
	s_and_b32 s16, s16, exec_lo
                                        ; implicit-def: $vgpr91
	s_or_saveexec_b32 s22, s22
	v_mov_b32_e32 v89, 0x7f800001
	s_xor_b32 exec_lo, exec_lo, s22
	s_cbranch_execnz .LBB4_7564
.LBB4_6712:                             ;   in Loop: Header=BB4_6327 Depth=3
	s_or_b32 exec_lo, exec_lo, s22
	s_and_saveexec_b32 s22, s16
	s_cbranch_execz .LBB4_6714
.LBB4_6713:                             ;   in Loop: Header=BB4_6327 Depth=3
	v_bfe_u32 v89, v18, 16, 3
	v_bfe_u32 v93, v18, 19, 4
	v_lshlrev_b32_sdwa v94, v41, v18 dst_sel:DWORD dst_unused:UNUSED_PAD src0_sel:DWORD src1_sel:WORD_1
	v_ffbh_u32_e32 v91, v89
	v_cmp_eq_u32_e32 vcc_lo, 0, v93
	v_min_u32_e32 v91, 32, v91
	v_subrev_nc_u32_e32 v92, 28, v91
	v_sub_nc_u32_e32 v91, 29, v91
	v_lshlrev_b32_sdwa v92, v92, v18 dst_sel:DWORD dst_unused:UNUSED_PAD src0_sel:DWORD src1_sel:WORD_1
	v_cndmask_b32_e32 v91, v93, v91, vcc_lo
	v_and_b32_e32 v92, 7, v92
	v_lshl_add_u32 v91, v91, 23, 0x3b800000
	v_cndmask_b32_e32 v89, v89, v92, vcc_lo
	v_and_b32_e32 v92, 0x80000000, v94
	v_lshlrev_b32_e32 v89, 20, v89
	v_or3_b32 v89, v92, v91, v89
.LBB4_6714:                             ;   in Loop: Header=BB4_6327 Depth=3
	s_or_b32 exec_lo, exec_lo, s22
	v_max_f32_e32 v89, v89, v89
	v_max_f32_e32 v90, v90, v90
	v_min_f32_e32 v90, v90, v89
.LBB4_6715:                             ;   in Loop: Header=BB4_6327 Depth=3
	v_and_b32_e32 v89, 0x7f800000, v90
	v_cmp_ne_u32_e32 vcc_lo, 0x7f800000, v89
	v_mov_b32_e32 v89, 0x80
	s_and_saveexec_b32 s22, vcc_lo
	s_cbranch_execz .LBB4_6723
; %bb.6716:                             ;   in Loop: Header=BB4_6327 Depth=3
	v_mov_b32_e32 v89, 0
	s_mov_b32 s23, exec_lo
	v_cmpx_ne_u32_e32 0, v90
	s_cbranch_execz .LBB4_6722
; %bb.6717:                             ;   in Loop: Header=BB4_6327 Depth=3
	v_bfe_u32 v89, v90, 23, 8
	v_and_b32_e32 v91, 0x7fffff, v90
	v_sub_nc_u32_e32 v92, 0x78, v89
	v_cmp_gt_u32_e32 vcc_lo, 0x79, v89
	v_or_b32_e32 v93, 0x800000, v91
	v_cndmask_b32_e32 v92, 0, v92, vcc_lo
	v_cmp_eq_u32_e32 vcc_lo, 0, v89
	v_add_nc_u32_e32 v89, 0xffffff89, v89
	v_cndmask_b32_e64 v92, v92, 0x77, vcc_lo
	v_cndmask_b32_e32 v91, v93, v91, vcc_lo
	v_cndmask_b32_e64 v89, v89, 0xffffff8a, vcc_lo
	v_lshl_add_u32 v93, 0x100000, v92, -1
	v_lshrrev_b32_e32 v94, v92, v91
	v_lshlrev_b32_e64 v104, v92, 0x80000
	v_add_nc_u32_e32 v92, v92, v89
	v_and_b32_e32 v91, v93, v91
	v_bfe_u32 v95, v94, 20, 1
	v_cmp_eq_u32_e64 s16, v91, v104
	v_add_nc_u32_e32 v93, -1, v95
	v_cndmask_b32_e64 v91, 0, v93, s16
	v_lshrrev_b32_e32 v93, 23, v94
	s_mov_b32 s16, exec_lo
	v_add_nc_u32_e32 v91, v91, v94
	v_xor_b32_e32 v93, 1, v93
	v_and_b32_e32 v89, 0xfffff, v91
	v_add_nc_u32_e32 v91, v89, v94
                                        ; implicit-def: $vgpr89
	v_cmpx_ne_u32_e64 v92, v93
	s_xor_b32 s16, exec_lo, s16
; %bb.6718:                             ;   in Loop: Header=BB4_6327 Depth=3
	v_cmp_lt_u32_e32 vcc_lo, 0xffffff, v91
	v_sub_nc_u32_e32 v89, v92, v93
	v_cndmask_b32_e64 v92, 0, 1, vcc_lo
	v_add_co_ci_u32_e64 v89, null, 0, v89, vcc_lo
	v_lshrrev_b32_e32 v91, v92, v91
; %bb.6719:                             ;   in Loop: Header=BB4_6327 Depth=3
	s_andn2_saveexec_b32 s16, s16
; %bb.6720:                             ;   in Loop: Header=BB4_6327 Depth=3
	v_bfe_u32 v89, v91, 23, 1
; %bb.6721:                             ;   in Loop: Header=BB4_6327 Depth=3
	s_or_b32 exec_lo, exec_lo, s16
	v_lshrrev_b32_e32 v91, 20, v91
	v_min_i32_e32 v92, 15, v89
	v_cmp_gt_i32_e32 vcc_lo, 16, v89
	v_and_b32_sdwa v90, v90, v118 dst_sel:DWORD dst_unused:UNUSED_PAD src0_sel:BYTE_3 src1_sel:DWORD
	v_lshlrev_b32_e32 v92, 3, v92
	v_cndmask_b32_e32 v91, 7, v91, vcc_lo
	v_and_b32_e32 v92, 0xf8, v92
	v_and_b32_e32 v93, 7, v91
	v_or_b32_e32 v89, v89, v91
	v_or3_b32 v90, v92, v90, v93
	v_cmp_ne_u32_e32 vcc_lo, 0, v89
	v_cndmask_b32_e32 v89, 0, v90, vcc_lo
.LBB4_6722:                             ;   in Loop: Header=BB4_6327 Depth=3
	s_or_b32 exec_lo, exec_lo, s23
.LBB4_6723:                             ;   in Loop: Header=BB4_6327 Depth=3
	s_or_b32 exec_lo, exec_lo, s22
	v_cmp_gt_i16_sdwa s22, v22, v117 src0_sel:BYTE_3 src1_sel:DWORD
	s_and_b32 vcc_lo, exec_lo, s19
	s_mov_b32 s16, -1
                                        ; implicit-def: $vgpr90
	s_cbranch_vccz .LBB4_6737
; %bb.6724:                             ;   in Loop: Header=BB4_6327 Depth=3
	s_mov_b32 s16, 0
	s_and_saveexec_b32 s23, s22
	s_xor_b32 s22, exec_lo, s23
	s_cbranch_execz .LBB4_7565
; %bb.6725:                             ;   in Loop: Header=BB4_6327 Depth=3
	v_cmp_eq_u16_sdwa s73, v22, v118 src0_sel:BYTE_3 src1_sel:DWORD
	s_mov_b32 s16, -1
	s_and_saveexec_b32 s23, s73
; %bb.6726:                             ;   in Loop: Header=BB4_6327 Depth=3
	s_xor_b32 s16, exec_lo, -1
; %bb.6727:                             ;   in Loop: Header=BB4_6327 Depth=3
	s_or_b32 exec_lo, exec_lo, s23
	s_and_b32 s16, s16, exec_lo
	s_or_saveexec_b32 s22, s22
	v_mov_b32_e32 v90, 0x7f800001
	s_xor_b32 exec_lo, exec_lo, s22
	s_cbranch_execnz .LBB4_7566
.LBB4_6728:                             ;   in Loop: Header=BB4_6327 Depth=3
	s_or_b32 exec_lo, exec_lo, s22
	s_and_saveexec_b32 s22, s16
	s_cbranch_execz .LBB4_6730
.LBB4_6729:                             ;   in Loop: Header=BB4_6327 Depth=3
	v_bfe_u32 v90, v22, 24, 3
	v_bfe_u32 v93, v22, 27, 4
	v_ffbh_u32_e32 v91, v90
	v_cmp_eq_u32_e32 vcc_lo, 0, v93
	v_min_u32_e32 v91, 32, v91
	v_subrev_nc_u32_e32 v92, 28, v91
	v_sub_nc_u32_e32 v91, 29, v91
	v_lshlrev_b32_sdwa v92, v92, v22 dst_sel:DWORD dst_unused:UNUSED_PAD src0_sel:DWORD src1_sel:BYTE_3
	v_cndmask_b32_e32 v91, v93, v91, vcc_lo
	v_and_b32_e32 v92, 7, v92
	v_lshl_add_u32 v91, v91, 23, 0x3b800000
	v_cndmask_b32_e32 v90, v90, v92, vcc_lo
	v_and_b32_e32 v92, 0x80000000, v22
	v_lshlrev_b32_e32 v90, 20, v90
	v_or3_b32 v90, v92, v91, v90
.LBB4_6730:                             ;   in Loop: Header=BB4_6327 Depth=3
	s_or_b32 exec_lo, exec_lo, s22
	v_cmp_gt_i16_sdwa s22, v18, v117 src0_sel:BYTE_3 src1_sel:DWORD
	s_mov_b32 s16, 0
	s_and_saveexec_b32 s23, s22
	s_xor_b32 s22, exec_lo, s23
	s_cbranch_execz .LBB4_7567
; %bb.6731:                             ;   in Loop: Header=BB4_6327 Depth=3
	v_cmp_eq_u16_sdwa s73, v18, v118 src0_sel:BYTE_3 src1_sel:DWORD
	s_mov_b32 s16, -1
	s_and_saveexec_b32 s23, s73
; %bb.6732:                             ;   in Loop: Header=BB4_6327 Depth=3
	s_xor_b32 s16, exec_lo, -1
; %bb.6733:                             ;   in Loop: Header=BB4_6327 Depth=3
	s_or_b32 exec_lo, exec_lo, s23
	s_and_b32 s16, s16, exec_lo
	s_or_saveexec_b32 s22, s22
	v_mov_b32_e32 v91, 0x7f800001
	s_xor_b32 exec_lo, exec_lo, s22
	s_cbranch_execnz .LBB4_7568
.LBB4_6734:                             ;   in Loop: Header=BB4_6327 Depth=3
	s_or_b32 exec_lo, exec_lo, s22
	s_and_saveexec_b32 s22, s16
	s_cbranch_execz .LBB4_6736
.LBB4_6735:                             ;   in Loop: Header=BB4_6327 Depth=3
	v_bfe_u32 v91, v18, 24, 3
	v_bfe_u32 v94, v18, 27, 4
	v_ffbh_u32_e32 v92, v91
	v_cmp_eq_u32_e32 vcc_lo, 0, v94
	v_min_u32_e32 v92, 32, v92
	v_subrev_nc_u32_e32 v93, 28, v92
	v_sub_nc_u32_e32 v92, 29, v92
	v_lshlrev_b32_sdwa v93, v93, v18 dst_sel:DWORD dst_unused:UNUSED_PAD src0_sel:DWORD src1_sel:BYTE_3
	v_cndmask_b32_e32 v92, v94, v92, vcc_lo
	v_and_b32_e32 v93, 7, v93
	v_lshl_add_u32 v92, v92, 23, 0x3b800000
	v_cndmask_b32_e32 v91, v91, v93, vcc_lo
	v_and_b32_e32 v93, 0x80000000, v18
	v_lshlrev_b32_e32 v91, 20, v91
	v_or3_b32 v91, v93, v92, v91
.LBB4_6736:                             ;   in Loop: Header=BB4_6327 Depth=3
	s_or_b32 exec_lo, exec_lo, s22
	v_max_f32_e32 v91, v91, v91
	v_max_f32_e32 v90, v90, v90
	s_mov_b32 s16, 0
	v_max_f32_e32 v90, v90, v91
.LBB4_6737:                             ;   in Loop: Header=BB4_6327 Depth=3
	s_and_b32 vcc_lo, exec_lo, s16
	s_cbranch_vccz .LBB4_6751
; %bb.6738:                             ;   in Loop: Header=BB4_6327 Depth=3
	v_cmp_gt_i16_sdwa s22, v22, v117 src0_sel:BYTE_3 src1_sel:DWORD
	s_mov_b32 s16, 0
	s_and_saveexec_b32 s23, s22
	s_xor_b32 s22, exec_lo, s23
	s_cbranch_execz .LBB4_7569
; %bb.6739:                             ;   in Loop: Header=BB4_6327 Depth=3
	v_cmp_eq_u16_sdwa s73, v22, v118 src0_sel:BYTE_3 src1_sel:DWORD
	s_mov_b32 s16, -1
	s_and_saveexec_b32 s23, s73
; %bb.6740:                             ;   in Loop: Header=BB4_6327 Depth=3
	s_xor_b32 s16, exec_lo, -1
; %bb.6741:                             ;   in Loop: Header=BB4_6327 Depth=3
	s_or_b32 exec_lo, exec_lo, s23
	s_and_b32 s16, s16, exec_lo
	s_or_saveexec_b32 s22, s22
	v_mov_b32_e32 v90, 0x7f800001
	s_xor_b32 exec_lo, exec_lo, s22
	s_cbranch_execnz .LBB4_7570
.LBB4_6742:                             ;   in Loop: Header=BB4_6327 Depth=3
	s_or_b32 exec_lo, exec_lo, s22
	s_and_saveexec_b32 s22, s16
	s_cbranch_execz .LBB4_6744
.LBB4_6743:                             ;   in Loop: Header=BB4_6327 Depth=3
	v_bfe_u32 v90, v22, 24, 3
	v_bfe_u32 v93, v22, 27, 4
	v_ffbh_u32_e32 v91, v90
	v_cmp_eq_u32_e32 vcc_lo, 0, v93
	v_min_u32_e32 v91, 32, v91
	v_subrev_nc_u32_e32 v92, 28, v91
	v_sub_nc_u32_e32 v91, 29, v91
	v_lshlrev_b32_sdwa v92, v92, v22 dst_sel:DWORD dst_unused:UNUSED_PAD src0_sel:DWORD src1_sel:BYTE_3
	v_cndmask_b32_e32 v91, v93, v91, vcc_lo
	v_and_b32_e32 v22, 0x80000000, v22
	v_and_b32_e32 v92, 7, v92
	v_lshl_add_u32 v91, v91, 23, 0x3b800000
	v_cndmask_b32_e32 v90, v90, v92, vcc_lo
	v_lshlrev_b32_e32 v90, 20, v90
	v_or3_b32 v90, v22, v91, v90
.LBB4_6744:                             ;   in Loop: Header=BB4_6327 Depth=3
	s_or_b32 exec_lo, exec_lo, s22
	v_cmp_gt_i16_sdwa s22, v18, v117 src0_sel:BYTE_3 src1_sel:DWORD
	s_mov_b32 s16, 0
	s_and_saveexec_b32 s23, s22
	s_xor_b32 s22, exec_lo, s23
	s_cbranch_execz .LBB4_7571
; %bb.6745:                             ;   in Loop: Header=BB4_6327 Depth=3
	v_cmp_eq_u16_sdwa s73, v18, v118 src0_sel:BYTE_3 src1_sel:DWORD
	s_mov_b32 s16, -1
	s_and_saveexec_b32 s23, s73
; %bb.6746:                             ;   in Loop: Header=BB4_6327 Depth=3
	s_xor_b32 s16, exec_lo, -1
; %bb.6747:                             ;   in Loop: Header=BB4_6327 Depth=3
	s_or_b32 exec_lo, exec_lo, s23
	s_and_b32 s16, s16, exec_lo
	s_or_saveexec_b32 s22, s22
	v_mov_b32_e32 v22, 0x7f800001
	s_xor_b32 exec_lo, exec_lo, s22
	s_cbranch_execnz .LBB4_7572
.LBB4_6748:                             ;   in Loop: Header=BB4_6327 Depth=3
	s_or_b32 exec_lo, exec_lo, s22
	s_and_saveexec_b32 s22, s16
	s_cbranch_execz .LBB4_6750
.LBB4_6749:                             ;   in Loop: Header=BB4_6327 Depth=3
	v_bfe_u32 v22, v18, 24, 3
	v_bfe_u32 v93, v18, 27, 4
	v_ffbh_u32_e32 v91, v22
	v_cmp_eq_u32_e32 vcc_lo, 0, v93
	v_min_u32_e32 v91, 32, v91
	v_subrev_nc_u32_e32 v92, 28, v91
	v_sub_nc_u32_e32 v91, 29, v91
	v_lshlrev_b32_sdwa v92, v92, v18 dst_sel:DWORD dst_unused:UNUSED_PAD src0_sel:DWORD src1_sel:BYTE_3
	v_cndmask_b32_e32 v91, v93, v91, vcc_lo
	v_and_b32_e32 v18, 0x80000000, v18
	v_and_b32_e32 v92, 7, v92
	v_lshl_add_u32 v91, v91, 23, 0x3b800000
	v_cndmask_b32_e32 v22, v22, v92, vcc_lo
	v_lshlrev_b32_e32 v22, 20, v22
	v_or3_b32 v22, v18, v91, v22
.LBB4_6750:                             ;   in Loop: Header=BB4_6327 Depth=3
	s_or_b32 exec_lo, exec_lo, s22
	v_max_f32_e32 v18, v22, v22
	v_max_f32_e32 v22, v90, v90
	v_min_f32_e32 v90, v22, v18
.LBB4_6751:                             ;   in Loop: Header=BB4_6327 Depth=3
	v_and_b32_e32 v18, 0x7f800000, v90
	v_cmp_ne_u32_e32 vcc_lo, 0x7f800000, v18
	v_mov_b32_e32 v18, 0x8000
	s_and_saveexec_b32 s22, vcc_lo
	s_cbranch_execz .LBB4_6759
; %bb.6752:                             ;   in Loop: Header=BB4_6327 Depth=3
	v_mov_b32_e32 v18, 0
	s_mov_b32 s23, exec_lo
	v_cmpx_ne_u32_e32 0, v90
	s_cbranch_execz .LBB4_6758
; %bb.6753:                             ;   in Loop: Header=BB4_6327 Depth=3
	v_bfe_u32 v18, v90, 23, 8
	v_and_b32_e32 v22, 0x7fffff, v90
	v_sub_nc_u32_e32 v91, 0x78, v18
	v_cmp_gt_u32_e32 vcc_lo, 0x79, v18
	v_or_b32_e32 v92, 0x800000, v22
	v_cndmask_b32_e32 v91, 0, v91, vcc_lo
	v_cmp_eq_u32_e32 vcc_lo, 0, v18
	v_add_nc_u32_e32 v18, 0xffffff89, v18
	v_cndmask_b32_e64 v91, v91, 0x77, vcc_lo
	v_cndmask_b32_e32 v22, v92, v22, vcc_lo
	v_cndmask_b32_e64 v18, v18, 0xffffff8a, vcc_lo
	v_lshl_add_u32 v92, 0x100000, v91, -1
	v_lshrrev_b32_e32 v93, v91, v22
	v_lshlrev_b32_e64 v95, v91, 0x80000
	v_add_nc_u32_e32 v91, v91, v18
	v_and_b32_e32 v22, v92, v22
	v_bfe_u32 v94, v93, 20, 1
	v_cmp_eq_u32_e64 s16, v22, v95
	v_add_nc_u32_e32 v92, -1, v94
	v_cndmask_b32_e64 v22, 0, v92, s16
	v_lshrrev_b32_e32 v92, 23, v93
	s_mov_b32 s16, exec_lo
	v_add_nc_u32_e32 v22, v22, v93
	v_xor_b32_e32 v92, 1, v92
	v_and_b32_e32 v18, 0xfffff, v22
	v_add_nc_u32_e32 v22, v18, v93
                                        ; implicit-def: $vgpr18
	v_cmpx_ne_u32_e64 v91, v92
	s_xor_b32 s16, exec_lo, s16
; %bb.6754:                             ;   in Loop: Header=BB4_6327 Depth=3
	v_cmp_lt_u32_e32 vcc_lo, 0xffffff, v22
	v_sub_nc_u32_e32 v18, v91, v92
	v_cndmask_b32_e64 v91, 0, 1, vcc_lo
	v_add_co_ci_u32_e64 v18, null, 0, v18, vcc_lo
	v_lshrrev_b32_e32 v22, v91, v22
; %bb.6755:                             ;   in Loop: Header=BB4_6327 Depth=3
	s_andn2_saveexec_b32 s16, s16
; %bb.6756:                             ;   in Loop: Header=BB4_6327 Depth=3
	v_bfe_u32 v18, v22, 23, 1
; %bb.6757:                             ;   in Loop: Header=BB4_6327 Depth=3
	s_or_b32 exec_lo, exec_lo, s16
	v_lshrrev_b32_e32 v22, 20, v22
	v_min_i32_e32 v91, 15, v18
	v_cmp_gt_i32_e32 vcc_lo, 16, v18
	v_and_b32_sdwa v90, v90, v118 dst_sel:DWORD dst_unused:UNUSED_PAD src0_sel:BYTE_3 src1_sel:DWORD
	v_lshlrev_b32_e32 v91, 3, v91
	v_cndmask_b32_e32 v22, 7, v22, vcc_lo
	v_and_b32_e32 v91, 0xf8, v91
	v_and_b32_e32 v92, 7, v22
	v_or_b32_e32 v18, v18, v22
	v_or3_b32 v90, v90, v91, v92
	v_cmp_ne_u32_e32 vcc_lo, 0, v18
	v_lshlrev_b32_e32 v22, 8, v90
	v_cndmask_b32_e32 v18, 0, v22, vcc_lo
.LBB4_6758:                             ;   in Loop: Header=BB4_6327 Depth=3
	s_or_b32 exec_lo, exec_lo, s23
.LBB4_6759:                             ;   in Loop: Header=BB4_6327 Depth=3
	s_or_b32 exec_lo, exec_lo, s22
	v_cmp_gt_i16_sdwa s22, v23, v117 src0_sel:BYTE_0 src1_sel:DWORD
	s_and_b32 vcc_lo, exec_lo, s19
	s_mov_b32 s16, -1
                                        ; implicit-def: $vgpr90
	s_cbranch_vccz .LBB4_6773
; %bb.6760:                             ;   in Loop: Header=BB4_6327 Depth=3
	s_mov_b32 s16, 0
	s_and_saveexec_b32 s23, s22
	s_xor_b32 s22, exec_lo, s23
	s_cbranch_execz .LBB4_7573
; %bb.6761:                             ;   in Loop: Header=BB4_6327 Depth=3
	v_cmp_eq_u16_sdwa s73, v23, v118 src0_sel:BYTE_0 src1_sel:DWORD
	s_mov_b32 s16, -1
	s_and_saveexec_b32 s23, s73
; %bb.6762:                             ;   in Loop: Header=BB4_6327 Depth=3
	s_xor_b32 s16, exec_lo, -1
; %bb.6763:                             ;   in Loop: Header=BB4_6327 Depth=3
	s_or_b32 exec_lo, exec_lo, s23
	s_and_b32 s16, s16, exec_lo
	s_or_saveexec_b32 s22, s22
	v_mov_b32_e32 v22, 0x7f800001
	s_xor_b32 exec_lo, exec_lo, s22
	s_cbranch_execnz .LBB4_7574
.LBB4_6764:                             ;   in Loop: Header=BB4_6327 Depth=3
	s_or_b32 exec_lo, exec_lo, s22
	s_and_saveexec_b32 s22, s16
	s_cbranch_execz .LBB4_6766
.LBB4_6765:                             ;   in Loop: Header=BB4_6327 Depth=3
	v_and_b32_e32 v22, 7, v23
	v_bfe_u32 v92, v23, 3, 4
	v_lshlrev_b32_e32 v93, 24, v23
	v_ffbh_u32_e32 v90, v22
	v_cmp_eq_u32_e32 vcc_lo, 0, v92
	v_min_u32_e32 v90, 32, v90
	v_subrev_nc_u32_e32 v91, 28, v90
	v_sub_nc_u32_e32 v90, 29, v90
	v_lshlrev_b32_e32 v91, v91, v23
	v_cndmask_b32_e32 v90, v92, v90, vcc_lo
	v_and_b32_e32 v91, 7, v91
	v_lshl_add_u32 v90, v90, 23, 0x3b800000
	v_cndmask_b32_e32 v22, v22, v91, vcc_lo
	v_and_b32_e32 v91, 0x80000000, v93
	v_lshlrev_b32_e32 v22, 20, v22
	v_or3_b32 v22, v91, v90, v22
.LBB4_6766:                             ;   in Loop: Header=BB4_6327 Depth=3
	s_or_b32 exec_lo, exec_lo, s22
	v_cmp_gt_i16_sdwa s22, v19, v117 src0_sel:BYTE_0 src1_sel:DWORD
	s_mov_b32 s16, 0
	s_and_saveexec_b32 s23, s22
	s_xor_b32 s22, exec_lo, s23
	s_cbranch_execz .LBB4_7575
; %bb.6767:                             ;   in Loop: Header=BB4_6327 Depth=3
	v_cmp_eq_u16_sdwa s73, v19, v118 src0_sel:BYTE_0 src1_sel:DWORD
	s_mov_b32 s16, -1
	s_and_saveexec_b32 s23, s73
; %bb.6768:                             ;   in Loop: Header=BB4_6327 Depth=3
	s_xor_b32 s16, exec_lo, -1
; %bb.6769:                             ;   in Loop: Header=BB4_6327 Depth=3
	s_or_b32 exec_lo, exec_lo, s23
	s_and_b32 s16, s16, exec_lo
	s_or_saveexec_b32 s22, s22
	v_mov_b32_e32 v90, 0x7f800001
	s_xor_b32 exec_lo, exec_lo, s22
	s_cbranch_execnz .LBB4_7576
.LBB4_6770:                             ;   in Loop: Header=BB4_6327 Depth=3
	s_or_b32 exec_lo, exec_lo, s22
	s_and_saveexec_b32 s22, s16
	s_cbranch_execz .LBB4_6772
.LBB4_6771:                             ;   in Loop: Header=BB4_6327 Depth=3
	v_and_b32_e32 v90, 7, v19
	v_bfe_u32 v93, v19, 3, 4
	v_lshlrev_b32_e32 v94, 24, v19
	v_ffbh_u32_e32 v91, v90
	v_cmp_eq_u32_e32 vcc_lo, 0, v93
	v_min_u32_e32 v91, 32, v91
	v_subrev_nc_u32_e32 v92, 28, v91
	v_sub_nc_u32_e32 v91, 29, v91
	v_lshlrev_b32_e32 v92, v92, v19
	v_cndmask_b32_e32 v91, v93, v91, vcc_lo
	v_and_b32_e32 v92, 7, v92
	v_lshl_add_u32 v91, v91, 23, 0x3b800000
	v_cndmask_b32_e32 v90, v90, v92, vcc_lo
	v_and_b32_e32 v92, 0x80000000, v94
	v_lshlrev_b32_e32 v90, 20, v90
	v_or3_b32 v90, v92, v91, v90
.LBB4_6772:                             ;   in Loop: Header=BB4_6327 Depth=3
	s_or_b32 exec_lo, exec_lo, s22
	v_max_f32_e32 v90, v90, v90
	v_max_f32_e32 v22, v22, v22
	s_mov_b32 s16, 0
	v_max_f32_e32 v90, v22, v90
.LBB4_6773:                             ;   in Loop: Header=BB4_6327 Depth=3
	s_and_b32 vcc_lo, exec_lo, s16
	s_cbranch_vccz .LBB4_6787
; %bb.6774:                             ;   in Loop: Header=BB4_6327 Depth=3
	v_cmp_gt_i16_sdwa s22, v23, v117 src0_sel:BYTE_0 src1_sel:DWORD
	s_mov_b32 s16, 0
	s_and_saveexec_b32 s23, s22
	s_xor_b32 s22, exec_lo, s23
	s_cbranch_execz .LBB4_7577
; %bb.6775:                             ;   in Loop: Header=BB4_6327 Depth=3
	v_cmp_eq_u16_sdwa s73, v23, v118 src0_sel:BYTE_0 src1_sel:DWORD
	s_mov_b32 s16, -1
	s_and_saveexec_b32 s23, s73
; %bb.6776:                             ;   in Loop: Header=BB4_6327 Depth=3
	s_xor_b32 s16, exec_lo, -1
; %bb.6777:                             ;   in Loop: Header=BB4_6327 Depth=3
	s_or_b32 exec_lo, exec_lo, s23
	s_and_b32 s16, s16, exec_lo
	s_or_saveexec_b32 s22, s22
	v_mov_b32_e32 v22, 0x7f800001
	s_xor_b32 exec_lo, exec_lo, s22
	s_cbranch_execnz .LBB4_7578
.LBB4_6778:                             ;   in Loop: Header=BB4_6327 Depth=3
	s_or_b32 exec_lo, exec_lo, s22
	s_and_saveexec_b32 s22, s16
	s_cbranch_execz .LBB4_6780
.LBB4_6779:                             ;   in Loop: Header=BB4_6327 Depth=3
	v_and_b32_e32 v22, 7, v23
	v_bfe_u32 v92, v23, 3, 4
	v_lshlrev_b32_e32 v93, 24, v23
	v_ffbh_u32_e32 v90, v22
	v_cmp_eq_u32_e32 vcc_lo, 0, v92
	v_min_u32_e32 v90, 32, v90
	v_subrev_nc_u32_e32 v91, 28, v90
	v_sub_nc_u32_e32 v90, 29, v90
	v_lshlrev_b32_e32 v91, v91, v23
	v_cndmask_b32_e32 v90, v92, v90, vcc_lo
	v_and_b32_e32 v91, 7, v91
	v_lshl_add_u32 v90, v90, 23, 0x3b800000
	v_cndmask_b32_e32 v22, v22, v91, vcc_lo
	v_and_b32_e32 v91, 0x80000000, v93
	v_lshlrev_b32_e32 v22, 20, v22
	v_or3_b32 v22, v91, v90, v22
.LBB4_6780:                             ;   in Loop: Header=BB4_6327 Depth=3
	s_or_b32 exec_lo, exec_lo, s22
	v_cmp_gt_i16_sdwa s22, v19, v117 src0_sel:BYTE_0 src1_sel:DWORD
	s_mov_b32 s16, 0
	s_and_saveexec_b32 s23, s22
	s_xor_b32 s22, exec_lo, s23
	s_cbranch_execz .LBB4_7579
; %bb.6781:                             ;   in Loop: Header=BB4_6327 Depth=3
	v_cmp_eq_u16_sdwa s73, v19, v118 src0_sel:BYTE_0 src1_sel:DWORD
	s_mov_b32 s16, -1
	s_and_saveexec_b32 s23, s73
; %bb.6782:                             ;   in Loop: Header=BB4_6327 Depth=3
	s_xor_b32 s16, exec_lo, -1
; %bb.6783:                             ;   in Loop: Header=BB4_6327 Depth=3
	s_or_b32 exec_lo, exec_lo, s23
	s_and_b32 s16, s16, exec_lo
	s_or_saveexec_b32 s22, s22
	v_mov_b32_e32 v90, 0x7f800001
	s_xor_b32 exec_lo, exec_lo, s22
	s_cbranch_execnz .LBB4_7580
.LBB4_6784:                             ;   in Loop: Header=BB4_6327 Depth=3
	s_or_b32 exec_lo, exec_lo, s22
	s_and_saveexec_b32 s22, s16
	s_cbranch_execz .LBB4_6786
.LBB4_6785:                             ;   in Loop: Header=BB4_6327 Depth=3
	v_and_b32_e32 v90, 7, v19
	v_bfe_u32 v93, v19, 3, 4
	v_lshlrev_b32_e32 v94, 24, v19
	v_ffbh_u32_e32 v91, v90
	v_cmp_eq_u32_e32 vcc_lo, 0, v93
	v_min_u32_e32 v91, 32, v91
	v_subrev_nc_u32_e32 v92, 28, v91
	v_sub_nc_u32_e32 v91, 29, v91
	v_lshlrev_b32_e32 v92, v92, v19
	v_cndmask_b32_e32 v91, v93, v91, vcc_lo
	v_and_b32_e32 v92, 7, v92
	v_lshl_add_u32 v91, v91, 23, 0x3b800000
	v_cndmask_b32_e32 v90, v90, v92, vcc_lo
	v_and_b32_e32 v92, 0x80000000, v94
	v_lshlrev_b32_e32 v90, 20, v90
	v_or3_b32 v90, v92, v91, v90
.LBB4_6786:                             ;   in Loop: Header=BB4_6327 Depth=3
	s_or_b32 exec_lo, exec_lo, s22
	v_max_f32_e32 v90, v90, v90
	v_max_f32_e32 v22, v22, v22
	v_min_f32_e32 v90, v22, v90
.LBB4_6787:                             ;   in Loop: Header=BB4_6327 Depth=3
	v_and_b32_e32 v22, 0x7f800000, v90
	v_cmp_ne_u32_e32 vcc_lo, 0x7f800000, v22
	v_mov_b32_e32 v22, 0x80
	s_and_saveexec_b32 s22, vcc_lo
	s_cbranch_execz .LBB4_6795
; %bb.6788:                             ;   in Loop: Header=BB4_6327 Depth=3
	v_mov_b32_e32 v22, 0
	s_mov_b32 s23, exec_lo
	v_cmpx_ne_u32_e32 0, v90
	s_cbranch_execz .LBB4_6794
; %bb.6789:                             ;   in Loop: Header=BB4_6327 Depth=3
	v_bfe_u32 v22, v90, 23, 8
	v_and_b32_e32 v91, 0x7fffff, v90
	v_sub_nc_u32_e32 v92, 0x78, v22
	v_cmp_gt_u32_e32 vcc_lo, 0x79, v22
	v_or_b32_e32 v93, 0x800000, v91
	v_cndmask_b32_e32 v92, 0, v92, vcc_lo
	v_cmp_eq_u32_e32 vcc_lo, 0, v22
	v_add_nc_u32_e32 v22, 0xffffff89, v22
	v_cndmask_b32_e64 v92, v92, 0x77, vcc_lo
	v_cndmask_b32_e32 v91, v93, v91, vcc_lo
	v_cndmask_b32_e64 v22, v22, 0xffffff8a, vcc_lo
	v_lshl_add_u32 v93, 0x100000, v92, -1
	v_lshrrev_b32_e32 v94, v92, v91
	v_lshlrev_b32_e64 v104, v92, 0x80000
	v_add_nc_u32_e32 v92, v92, v22
	v_and_b32_e32 v91, v93, v91
	v_bfe_u32 v95, v94, 20, 1
	v_cmp_eq_u32_e64 s16, v91, v104
	v_add_nc_u32_e32 v93, -1, v95
	v_cndmask_b32_e64 v91, 0, v93, s16
	v_lshrrev_b32_e32 v93, 23, v94
	s_mov_b32 s16, exec_lo
	v_add_nc_u32_e32 v91, v91, v94
	v_xor_b32_e32 v93, 1, v93
	v_and_b32_e32 v22, 0xfffff, v91
	v_add_nc_u32_e32 v91, v22, v94
                                        ; implicit-def: $vgpr22
	v_cmpx_ne_u32_e64 v92, v93
	s_xor_b32 s16, exec_lo, s16
; %bb.6790:                             ;   in Loop: Header=BB4_6327 Depth=3
	v_cmp_lt_u32_e32 vcc_lo, 0xffffff, v91
	v_sub_nc_u32_e32 v22, v92, v93
	v_cndmask_b32_e64 v92, 0, 1, vcc_lo
	v_add_co_ci_u32_e64 v22, null, 0, v22, vcc_lo
	v_lshrrev_b32_e32 v91, v92, v91
; %bb.6791:                             ;   in Loop: Header=BB4_6327 Depth=3
	s_andn2_saveexec_b32 s16, s16
; %bb.6792:                             ;   in Loop: Header=BB4_6327 Depth=3
	v_bfe_u32 v22, v91, 23, 1
; %bb.6793:                             ;   in Loop: Header=BB4_6327 Depth=3
	s_or_b32 exec_lo, exec_lo, s16
	v_lshrrev_b32_e32 v91, 20, v91
	v_min_i32_e32 v92, 15, v22
	v_cmp_gt_i32_e32 vcc_lo, 16, v22
	v_and_b32_sdwa v90, v90, v118 dst_sel:DWORD dst_unused:UNUSED_PAD src0_sel:BYTE_3 src1_sel:DWORD
	v_lshlrev_b32_e32 v92, 3, v92
	v_cndmask_b32_e32 v91, 7, v91, vcc_lo
	v_and_b32_e32 v92, 0xf8, v92
	v_and_b32_e32 v93, 7, v91
	v_or_b32_e32 v22, v22, v91
	v_or3_b32 v90, v92, v90, v93
	v_cmp_ne_u32_e32 vcc_lo, 0, v22
	v_cndmask_b32_e32 v22, 0, v90, vcc_lo
.LBB4_6794:                             ;   in Loop: Header=BB4_6327 Depth=3
	s_or_b32 exec_lo, exec_lo, s23
.LBB4_6795:                             ;   in Loop: Header=BB4_6327 Depth=3
	s_or_b32 exec_lo, exec_lo, s22
	v_cmp_gt_i16_sdwa s22, v23, v117 src0_sel:BYTE_1 src1_sel:DWORD
	s_and_b32 vcc_lo, exec_lo, s19
	s_mov_b32 s16, -1
                                        ; implicit-def: $vgpr91
	s_cbranch_vccz .LBB4_6809
; %bb.6796:                             ;   in Loop: Header=BB4_6327 Depth=3
	s_mov_b32 s16, 0
	s_and_saveexec_b32 s23, s22
	s_xor_b32 s22, exec_lo, s23
	s_cbranch_execz .LBB4_7581
; %bb.6797:                             ;   in Loop: Header=BB4_6327 Depth=3
	v_cmp_eq_u16_sdwa s73, v23, v118 src0_sel:BYTE_1 src1_sel:DWORD
	s_mov_b32 s16, -1
	s_and_saveexec_b32 s23, s73
; %bb.6798:                             ;   in Loop: Header=BB4_6327 Depth=3
	s_xor_b32 s16, exec_lo, -1
; %bb.6799:                             ;   in Loop: Header=BB4_6327 Depth=3
	s_or_b32 exec_lo, exec_lo, s23
	s_and_b32 s16, s16, exec_lo
	s_or_saveexec_b32 s22, s22
	v_mov_b32_e32 v90, 0x7f800001
	s_xor_b32 exec_lo, exec_lo, s22
	s_cbranch_execnz .LBB4_7582
.LBB4_6800:                             ;   in Loop: Header=BB4_6327 Depth=3
	s_or_b32 exec_lo, exec_lo, s22
	s_and_saveexec_b32 s22, s16
	s_cbranch_execz .LBB4_6802
.LBB4_6801:                             ;   in Loop: Header=BB4_6327 Depth=3
	v_and_b32_sdwa v90, v119, v23 dst_sel:DWORD dst_unused:UNUSED_PAD src0_sel:DWORD src1_sel:BYTE_1
	v_and_b32_e32 v91, 7, v90
	v_bfe_u32 v94, v90, 3, 4
	v_ffbh_u32_e32 v92, v91
	v_cmp_eq_u32_e32 vcc_lo, 0, v94
	v_min_u32_e32 v92, 32, v92
	v_subrev_nc_u32_e32 v93, 28, v92
	v_sub_nc_u32_e32 v92, 29, v92
	v_lshlrev_b32_e32 v90, v93, v90
	v_lshlrev_b32_e32 v93, 16, v23
	v_cndmask_b32_e32 v92, v94, v92, vcc_lo
	v_and_b32_e32 v90, 7, v90
	v_lshl_add_u32 v92, v92, 23, 0x3b800000
	v_cndmask_b32_e32 v90, v91, v90, vcc_lo
	v_and_b32_e32 v91, 0x80000000, v93
	v_lshlrev_b32_e32 v90, 20, v90
	v_or3_b32 v90, v91, v92, v90
.LBB4_6802:                             ;   in Loop: Header=BB4_6327 Depth=3
	s_or_b32 exec_lo, exec_lo, s22
	v_cmp_gt_i16_sdwa s22, v19, v117 src0_sel:BYTE_1 src1_sel:DWORD
	s_mov_b32 s16, 0
	s_and_saveexec_b32 s23, s22
	s_xor_b32 s22, exec_lo, s23
	s_cbranch_execz .LBB4_7583
; %bb.6803:                             ;   in Loop: Header=BB4_6327 Depth=3
	v_cmp_eq_u16_sdwa s73, v19, v118 src0_sel:BYTE_1 src1_sel:DWORD
	s_mov_b32 s16, -1
	s_and_saveexec_b32 s23, s73
; %bb.6804:                             ;   in Loop: Header=BB4_6327 Depth=3
	s_xor_b32 s16, exec_lo, -1
; %bb.6805:                             ;   in Loop: Header=BB4_6327 Depth=3
	s_or_b32 exec_lo, exec_lo, s23
	s_and_b32 s16, s16, exec_lo
	s_or_saveexec_b32 s22, s22
	v_mov_b32_e32 v91, 0x7f800001
	s_xor_b32 exec_lo, exec_lo, s22
	s_cbranch_execnz .LBB4_7584
.LBB4_6806:                             ;   in Loop: Header=BB4_6327 Depth=3
	s_or_b32 exec_lo, exec_lo, s22
	s_and_saveexec_b32 s22, s16
	s_cbranch_execz .LBB4_6808
.LBB4_6807:                             ;   in Loop: Header=BB4_6327 Depth=3
	v_and_b32_sdwa v91, v119, v19 dst_sel:DWORD dst_unused:UNUSED_PAD src0_sel:DWORD src1_sel:BYTE_1
	v_and_b32_e32 v92, 7, v91
	v_bfe_u32 v95, v91, 3, 4
	v_ffbh_u32_e32 v93, v92
	v_cmp_eq_u32_e32 vcc_lo, 0, v95
	v_min_u32_e32 v93, 32, v93
	v_subrev_nc_u32_e32 v94, 28, v93
	v_sub_nc_u32_e32 v93, 29, v93
	v_lshlrev_b32_e32 v91, v94, v91
	v_lshlrev_b32_e32 v94, 16, v19
	v_cndmask_b32_e32 v93, v95, v93, vcc_lo
	v_and_b32_e32 v91, 7, v91
	v_lshl_add_u32 v93, v93, 23, 0x3b800000
	v_cndmask_b32_e32 v91, v92, v91, vcc_lo
	v_and_b32_e32 v92, 0x80000000, v94
	v_lshlrev_b32_e32 v91, 20, v91
	v_or3_b32 v91, v92, v93, v91
.LBB4_6808:                             ;   in Loop: Header=BB4_6327 Depth=3
	s_or_b32 exec_lo, exec_lo, s22
	v_max_f32_e32 v91, v91, v91
	v_max_f32_e32 v90, v90, v90
	s_mov_b32 s16, 0
	v_max_f32_e32 v91, v90, v91
.LBB4_6809:                             ;   in Loop: Header=BB4_6327 Depth=3
	s_and_b32 vcc_lo, exec_lo, s16
	s_cbranch_vccz .LBB4_6823
; %bb.6810:                             ;   in Loop: Header=BB4_6327 Depth=3
	v_cmp_gt_i16_sdwa s22, v23, v117 src0_sel:BYTE_1 src1_sel:DWORD
	s_mov_b32 s16, 0
	s_and_saveexec_b32 s23, s22
	s_xor_b32 s22, exec_lo, s23
	s_cbranch_execz .LBB4_7585
; %bb.6811:                             ;   in Loop: Header=BB4_6327 Depth=3
	v_cmp_eq_u16_sdwa s73, v23, v118 src0_sel:BYTE_1 src1_sel:DWORD
	s_mov_b32 s16, -1
	s_and_saveexec_b32 s23, s73
; %bb.6812:                             ;   in Loop: Header=BB4_6327 Depth=3
	s_xor_b32 s16, exec_lo, -1
; %bb.6813:                             ;   in Loop: Header=BB4_6327 Depth=3
	s_or_b32 exec_lo, exec_lo, s23
	s_and_b32 s16, s16, exec_lo
	s_or_saveexec_b32 s22, s22
	v_mov_b32_e32 v90, 0x7f800001
	s_xor_b32 exec_lo, exec_lo, s22
	s_cbranch_execnz .LBB4_7586
.LBB4_6814:                             ;   in Loop: Header=BB4_6327 Depth=3
	s_or_b32 exec_lo, exec_lo, s22
	s_and_saveexec_b32 s22, s16
	s_cbranch_execz .LBB4_6816
.LBB4_6815:                             ;   in Loop: Header=BB4_6327 Depth=3
	v_and_b32_sdwa v90, v119, v23 dst_sel:DWORD dst_unused:UNUSED_PAD src0_sel:DWORD src1_sel:BYTE_1
	v_and_b32_e32 v91, 7, v90
	v_bfe_u32 v94, v90, 3, 4
	v_ffbh_u32_e32 v92, v91
	v_cmp_eq_u32_e32 vcc_lo, 0, v94
	v_min_u32_e32 v92, 32, v92
	v_subrev_nc_u32_e32 v93, 28, v92
	v_sub_nc_u32_e32 v92, 29, v92
	v_lshlrev_b32_e32 v90, v93, v90
	v_lshlrev_b32_e32 v93, 16, v23
	v_cndmask_b32_e32 v92, v94, v92, vcc_lo
	v_and_b32_e32 v90, 7, v90
	v_lshl_add_u32 v92, v92, 23, 0x3b800000
	v_cndmask_b32_e32 v90, v91, v90, vcc_lo
	v_and_b32_e32 v91, 0x80000000, v93
	v_lshlrev_b32_e32 v90, 20, v90
	v_or3_b32 v90, v91, v92, v90
.LBB4_6816:                             ;   in Loop: Header=BB4_6327 Depth=3
	s_or_b32 exec_lo, exec_lo, s22
	v_cmp_gt_i16_sdwa s22, v19, v117 src0_sel:BYTE_1 src1_sel:DWORD
	s_mov_b32 s16, 0
	s_and_saveexec_b32 s23, s22
	s_xor_b32 s22, exec_lo, s23
	s_cbranch_execz .LBB4_7587
; %bb.6817:                             ;   in Loop: Header=BB4_6327 Depth=3
	v_cmp_eq_u16_sdwa s73, v19, v118 src0_sel:BYTE_1 src1_sel:DWORD
	s_mov_b32 s16, -1
	s_and_saveexec_b32 s23, s73
; %bb.6818:                             ;   in Loop: Header=BB4_6327 Depth=3
	s_xor_b32 s16, exec_lo, -1
; %bb.6819:                             ;   in Loop: Header=BB4_6327 Depth=3
	s_or_b32 exec_lo, exec_lo, s23
	s_and_b32 s16, s16, exec_lo
	s_or_saveexec_b32 s22, s22
	v_mov_b32_e32 v91, 0x7f800001
	s_xor_b32 exec_lo, exec_lo, s22
	s_cbranch_execnz .LBB4_7588
.LBB4_6820:                             ;   in Loop: Header=BB4_6327 Depth=3
	s_or_b32 exec_lo, exec_lo, s22
	s_and_saveexec_b32 s22, s16
	s_cbranch_execz .LBB4_6822
.LBB4_6821:                             ;   in Loop: Header=BB4_6327 Depth=3
	v_and_b32_sdwa v91, v119, v19 dst_sel:DWORD dst_unused:UNUSED_PAD src0_sel:DWORD src1_sel:BYTE_1
	v_and_b32_e32 v92, 7, v91
	v_bfe_u32 v95, v91, 3, 4
	v_ffbh_u32_e32 v93, v92
	v_cmp_eq_u32_e32 vcc_lo, 0, v95
	v_min_u32_e32 v93, 32, v93
	v_subrev_nc_u32_e32 v94, 28, v93
	v_sub_nc_u32_e32 v93, 29, v93
	v_lshlrev_b32_e32 v91, v94, v91
	v_lshlrev_b32_e32 v94, 16, v19
	v_cndmask_b32_e32 v93, v95, v93, vcc_lo
	v_and_b32_e32 v91, 7, v91
	v_lshl_add_u32 v93, v93, 23, 0x3b800000
	v_cndmask_b32_e32 v91, v92, v91, vcc_lo
	v_and_b32_e32 v92, 0x80000000, v94
	v_lshlrev_b32_e32 v91, 20, v91
	v_or3_b32 v91, v92, v93, v91
.LBB4_6822:                             ;   in Loop: Header=BB4_6327 Depth=3
	s_or_b32 exec_lo, exec_lo, s22
	v_max_f32_e32 v91, v91, v91
	v_max_f32_e32 v90, v90, v90
	v_min_f32_e32 v91, v90, v91
.LBB4_6823:                             ;   in Loop: Header=BB4_6327 Depth=3
	v_and_b32_e32 v90, 0x7f800000, v91
	v_cmp_ne_u32_e32 vcc_lo, 0x7f800000, v90
	v_mov_b32_e32 v90, 0x8000
	s_and_saveexec_b32 s22, vcc_lo
	s_cbranch_execz .LBB4_6831
; %bb.6824:                             ;   in Loop: Header=BB4_6327 Depth=3
	v_mov_b32_e32 v90, 0
	s_mov_b32 s23, exec_lo
	v_cmpx_ne_u32_e32 0, v91
	s_cbranch_execz .LBB4_6830
; %bb.6825:                             ;   in Loop: Header=BB4_6327 Depth=3
	v_bfe_u32 v90, v91, 23, 8
	v_and_b32_e32 v92, 0x7fffff, v91
	v_sub_nc_u32_e32 v93, 0x78, v90
	v_cmp_gt_u32_e32 vcc_lo, 0x79, v90
	v_or_b32_e32 v94, 0x800000, v92
	v_cndmask_b32_e32 v93, 0, v93, vcc_lo
	v_cmp_eq_u32_e32 vcc_lo, 0, v90
	v_add_nc_u32_e32 v90, 0xffffff89, v90
	v_cndmask_b32_e64 v93, v93, 0x77, vcc_lo
	v_cndmask_b32_e32 v92, v94, v92, vcc_lo
	v_cndmask_b32_e64 v90, v90, 0xffffff8a, vcc_lo
	v_lshl_add_u32 v94, 0x100000, v93, -1
	v_lshrrev_b32_e32 v95, v93, v92
	v_lshlrev_b32_e64 v105, v93, 0x80000
	v_add_nc_u32_e32 v93, v93, v90
	v_and_b32_e32 v92, v94, v92
	v_bfe_u32 v104, v95, 20, 1
	v_cmp_eq_u32_e64 s16, v92, v105
	v_add_nc_u32_e32 v94, -1, v104
	v_cndmask_b32_e64 v92, 0, v94, s16
	v_lshrrev_b32_e32 v94, 23, v95
	s_mov_b32 s16, exec_lo
	v_add_nc_u32_e32 v92, v92, v95
	v_xor_b32_e32 v94, 1, v94
	v_and_b32_e32 v90, 0xfffff, v92
	v_add_nc_u32_e32 v92, v90, v95
                                        ; implicit-def: $vgpr90
	v_cmpx_ne_u32_e64 v93, v94
	s_xor_b32 s16, exec_lo, s16
; %bb.6826:                             ;   in Loop: Header=BB4_6327 Depth=3
	v_cmp_lt_u32_e32 vcc_lo, 0xffffff, v92
	v_sub_nc_u32_e32 v90, v93, v94
	v_cndmask_b32_e64 v93, 0, 1, vcc_lo
	v_add_co_ci_u32_e64 v90, null, 0, v90, vcc_lo
	v_lshrrev_b32_e32 v92, v93, v92
; %bb.6827:                             ;   in Loop: Header=BB4_6327 Depth=3
	s_andn2_saveexec_b32 s16, s16
; %bb.6828:                             ;   in Loop: Header=BB4_6327 Depth=3
	v_bfe_u32 v90, v92, 23, 1
; %bb.6829:                             ;   in Loop: Header=BB4_6327 Depth=3
	s_or_b32 exec_lo, exec_lo, s16
	v_lshrrev_b32_e32 v92, 20, v92
	v_min_i32_e32 v93, 15, v90
	v_cmp_gt_i32_e32 vcc_lo, 16, v90
	v_and_b32_sdwa v91, v91, v118 dst_sel:DWORD dst_unused:UNUSED_PAD src0_sel:BYTE_3 src1_sel:DWORD
	v_lshlrev_b32_e32 v93, 3, v93
	v_cndmask_b32_e32 v92, 7, v92, vcc_lo
	v_and_b32_e32 v93, 0xf8, v93
	v_and_b32_e32 v94, 7, v92
	v_or_b32_e32 v90, v90, v92
	v_or3_b32 v91, v91, v93, v94
	v_cmp_ne_u32_e32 vcc_lo, 0, v90
	v_lshlrev_b32_e32 v91, 8, v91
	v_cndmask_b32_e32 v90, 0, v91, vcc_lo
.LBB4_6830:                             ;   in Loop: Header=BB4_6327 Depth=3
	s_or_b32 exec_lo, exec_lo, s23
.LBB4_6831:                             ;   in Loop: Header=BB4_6327 Depth=3
	s_or_b32 exec_lo, exec_lo, s22
	v_and_b32_sdwa v91, v23, v40 dst_sel:DWORD dst_unused:UNUSED_PAD src0_sel:WORD_1 src1_sel:DWORD
	s_and_b32 vcc_lo, exec_lo, s19
	s_mov_b32 s22, -1
                                        ; implicit-def: $vgpr92
	v_cmp_lt_i16_e64 s16, 0x7f, v91
	s_cbranch_vccz .LBB4_6845
; %bb.6832:                             ;   in Loop: Header=BB4_6327 Depth=3
	s_mov_b32 s22, 0
	s_and_saveexec_b32 s23, s16
	s_xor_b32 s16, exec_lo, s23
	s_cbranch_execz .LBB4_7589
; %bb.6833:                             ;   in Loop: Header=BB4_6327 Depth=3
	s_mov_b32 s22, -1
	s_mov_b32 s23, exec_lo
	v_cmpx_eq_u16_e32 0x80, v91
; %bb.6834:                             ;   in Loop: Header=BB4_6327 Depth=3
	s_xor_b32 s22, exec_lo, -1
; %bb.6835:                             ;   in Loop: Header=BB4_6327 Depth=3
	s_or_b32 exec_lo, exec_lo, s23
	s_and_b32 s22, s22, exec_lo
	s_or_saveexec_b32 s16, s16
	v_mov_b32_e32 v92, 0x7f800001
	s_xor_b32 exec_lo, exec_lo, s16
	s_cbranch_execnz .LBB4_7590
.LBB4_6836:                             ;   in Loop: Header=BB4_6327 Depth=3
	s_or_b32 exec_lo, exec_lo, s16
	s_and_saveexec_b32 s16, s22
	s_cbranch_execz .LBB4_6838
.LBB4_6837:                             ;   in Loop: Header=BB4_6327 Depth=3
	v_bfe_u32 v92, v23, 16, 3
	v_bfe_u32 v95, v23, 19, 4
	v_lshlrev_b32_sdwa v104, v41, v23 dst_sel:DWORD dst_unused:UNUSED_PAD src0_sel:DWORD src1_sel:WORD_1
	v_ffbh_u32_e32 v93, v92
	v_cmp_eq_u32_e32 vcc_lo, 0, v95
	v_min_u32_e32 v93, 32, v93
	v_subrev_nc_u32_e32 v94, 28, v93
	v_sub_nc_u32_e32 v93, 29, v93
	v_lshlrev_b32_sdwa v94, v94, v23 dst_sel:DWORD dst_unused:UNUSED_PAD src0_sel:DWORD src1_sel:WORD_1
	v_cndmask_b32_e32 v93, v95, v93, vcc_lo
	v_and_b32_e32 v94, 7, v94
	v_lshl_add_u32 v93, v93, 23, 0x3b800000
	v_cndmask_b32_e32 v92, v92, v94, vcc_lo
	v_and_b32_e32 v94, 0x80000000, v104
	v_lshlrev_b32_e32 v92, 20, v92
	v_or3_b32 v92, v94, v93, v92
.LBB4_6838:                             ;   in Loop: Header=BB4_6327 Depth=3
	s_or_b32 exec_lo, exec_lo, s16
	v_and_b32_sdwa v94, v19, v40 dst_sel:DWORD dst_unused:UNUSED_PAD src0_sel:WORD_1 src1_sel:DWORD
	s_mov_b32 s16, 0
	s_mov_b32 s22, exec_lo
	v_cmpx_lt_i16_e32 0x7f, v94
	s_xor_b32 s22, exec_lo, s22
	s_cbranch_execz .LBB4_7591
; %bb.6839:                             ;   in Loop: Header=BB4_6327 Depth=3
	s_mov_b32 s16, -1
	s_mov_b32 s23, exec_lo
	v_cmpx_eq_u16_e32 0x80, v94
; %bb.6840:                             ;   in Loop: Header=BB4_6327 Depth=3
	s_xor_b32 s16, exec_lo, -1
; %bb.6841:                             ;   in Loop: Header=BB4_6327 Depth=3
	s_or_b32 exec_lo, exec_lo, s23
	s_and_b32 s16, s16, exec_lo
                                        ; implicit-def: $vgpr94
	s_or_saveexec_b32 s22, s22
	v_mov_b32_e32 v93, 0x7f800001
	s_xor_b32 exec_lo, exec_lo, s22
	s_cbranch_execnz .LBB4_7592
.LBB4_6842:                             ;   in Loop: Header=BB4_6327 Depth=3
	s_or_b32 exec_lo, exec_lo, s22
	s_and_saveexec_b32 s22, s16
	s_cbranch_execz .LBB4_6844
.LBB4_6843:                             ;   in Loop: Header=BB4_6327 Depth=3
	v_bfe_u32 v93, v19, 16, 3
	v_bfe_u32 v104, v19, 19, 4
	v_lshlrev_b32_sdwa v105, v41, v19 dst_sel:DWORD dst_unused:UNUSED_PAD src0_sel:DWORD src1_sel:WORD_1
	v_ffbh_u32_e32 v94, v93
	v_cmp_eq_u32_e32 vcc_lo, 0, v104
	v_min_u32_e32 v94, 32, v94
	v_subrev_nc_u32_e32 v95, 28, v94
	v_sub_nc_u32_e32 v94, 29, v94
	v_lshlrev_b32_sdwa v95, v95, v19 dst_sel:DWORD dst_unused:UNUSED_PAD src0_sel:DWORD src1_sel:WORD_1
	v_cndmask_b32_e32 v94, v104, v94, vcc_lo
	v_and_b32_e32 v95, 7, v95
	v_lshl_add_u32 v94, v94, 23, 0x3b800000
	v_cndmask_b32_e32 v93, v93, v95, vcc_lo
	v_and_b32_e32 v95, 0x80000000, v105
	v_lshlrev_b32_e32 v93, 20, v93
	v_or3_b32 v93, v95, v94, v93
.LBB4_6844:                             ;   in Loop: Header=BB4_6327 Depth=3
	s_or_b32 exec_lo, exec_lo, s22
	v_max_f32_e32 v93, v93, v93
	v_max_f32_e32 v92, v92, v92
	s_mov_b32 s22, 0
	v_max_f32_e32 v92, v92, v93
.LBB4_6845:                             ;   in Loop: Header=BB4_6327 Depth=3
	s_and_b32 vcc_lo, exec_lo, s22
	s_cbranch_vccz .LBB4_6859
; %bb.6846:                             ;   in Loop: Header=BB4_6327 Depth=3
	s_mov_b32 s16, 0
	s_mov_b32 s22, exec_lo
	v_cmpx_lt_i16_e32 0x7f, v91
	s_xor_b32 s22, exec_lo, s22
	s_cbranch_execz .LBB4_7593
; %bb.6847:                             ;   in Loop: Header=BB4_6327 Depth=3
	s_mov_b32 s16, -1
	s_mov_b32 s23, exec_lo
	v_cmpx_eq_u16_e32 0x80, v91
; %bb.6848:                             ;   in Loop: Header=BB4_6327 Depth=3
	s_xor_b32 s16, exec_lo, -1
; %bb.6849:                             ;   in Loop: Header=BB4_6327 Depth=3
	s_or_b32 exec_lo, exec_lo, s23
	s_and_b32 s16, s16, exec_lo
                                        ; implicit-def: $vgpr91
	s_or_saveexec_b32 s22, s22
	v_mov_b32_e32 v92, 0x7f800001
	s_xor_b32 exec_lo, exec_lo, s22
	s_cbranch_execnz .LBB4_7594
.LBB4_6850:                             ;   in Loop: Header=BB4_6327 Depth=3
	s_or_b32 exec_lo, exec_lo, s22
	s_and_saveexec_b32 s22, s16
	s_cbranch_execz .LBB4_6852
.LBB4_6851:                             ;   in Loop: Header=BB4_6327 Depth=3
	v_bfe_u32 v91, v23, 16, 3
	v_bfe_u32 v94, v23, 19, 4
	v_lshlrev_b32_sdwa v95, v41, v23 dst_sel:DWORD dst_unused:UNUSED_PAD src0_sel:DWORD src1_sel:WORD_1
	v_ffbh_u32_e32 v92, v91
	v_cmp_eq_u32_e32 vcc_lo, 0, v94
	v_min_u32_e32 v92, 32, v92
	v_subrev_nc_u32_e32 v93, 28, v92
	v_sub_nc_u32_e32 v92, 29, v92
	v_lshlrev_b32_sdwa v93, v93, v23 dst_sel:DWORD dst_unused:UNUSED_PAD src0_sel:DWORD src1_sel:WORD_1
	v_cndmask_b32_e32 v92, v94, v92, vcc_lo
	v_and_b32_e32 v93, 7, v93
	v_lshl_add_u32 v92, v92, 23, 0x3b800000
	v_cndmask_b32_e32 v91, v91, v93, vcc_lo
	v_and_b32_e32 v93, 0x80000000, v95
	v_lshlrev_b32_e32 v91, 20, v91
	v_or3_b32 v92, v93, v92, v91
.LBB4_6852:                             ;   in Loop: Header=BB4_6327 Depth=3
	s_or_b32 exec_lo, exec_lo, s22
	v_and_b32_sdwa v93, v19, v40 dst_sel:DWORD dst_unused:UNUSED_PAD src0_sel:WORD_1 src1_sel:DWORD
	s_mov_b32 s16, 0
	s_mov_b32 s22, exec_lo
	v_cmpx_lt_i16_e32 0x7f, v93
	s_xor_b32 s22, exec_lo, s22
	s_cbranch_execz .LBB4_7595
; %bb.6853:                             ;   in Loop: Header=BB4_6327 Depth=3
	s_mov_b32 s16, -1
	s_mov_b32 s23, exec_lo
	v_cmpx_eq_u16_e32 0x80, v93
; %bb.6854:                             ;   in Loop: Header=BB4_6327 Depth=3
	s_xor_b32 s16, exec_lo, -1
; %bb.6855:                             ;   in Loop: Header=BB4_6327 Depth=3
	s_or_b32 exec_lo, exec_lo, s23
	s_and_b32 s16, s16, exec_lo
                                        ; implicit-def: $vgpr93
	s_or_saveexec_b32 s22, s22
	v_mov_b32_e32 v91, 0x7f800001
	s_xor_b32 exec_lo, exec_lo, s22
	s_cbranch_execnz .LBB4_7596
.LBB4_6856:                             ;   in Loop: Header=BB4_6327 Depth=3
	s_or_b32 exec_lo, exec_lo, s22
	s_and_saveexec_b32 s22, s16
	s_cbranch_execz .LBB4_6858
.LBB4_6857:                             ;   in Loop: Header=BB4_6327 Depth=3
	v_bfe_u32 v91, v19, 16, 3
	v_bfe_u32 v95, v19, 19, 4
	v_lshlrev_b32_sdwa v104, v41, v19 dst_sel:DWORD dst_unused:UNUSED_PAD src0_sel:DWORD src1_sel:WORD_1
	v_ffbh_u32_e32 v93, v91
	v_cmp_eq_u32_e32 vcc_lo, 0, v95
	v_min_u32_e32 v93, 32, v93
	v_subrev_nc_u32_e32 v94, 28, v93
	v_sub_nc_u32_e32 v93, 29, v93
	v_lshlrev_b32_sdwa v94, v94, v19 dst_sel:DWORD dst_unused:UNUSED_PAD src0_sel:DWORD src1_sel:WORD_1
	v_cndmask_b32_e32 v93, v95, v93, vcc_lo
	v_and_b32_e32 v94, 7, v94
	v_lshl_add_u32 v93, v93, 23, 0x3b800000
	v_cndmask_b32_e32 v91, v91, v94, vcc_lo
	v_and_b32_e32 v94, 0x80000000, v104
	v_lshlrev_b32_e32 v91, 20, v91
	v_or3_b32 v91, v94, v93, v91
.LBB4_6858:                             ;   in Loop: Header=BB4_6327 Depth=3
	s_or_b32 exec_lo, exec_lo, s22
	v_max_f32_e32 v91, v91, v91
	v_max_f32_e32 v92, v92, v92
	v_min_f32_e32 v92, v92, v91
.LBB4_6859:                             ;   in Loop: Header=BB4_6327 Depth=3
	v_and_b32_e32 v91, 0x7f800000, v92
	v_cmp_ne_u32_e32 vcc_lo, 0x7f800000, v91
	v_mov_b32_e32 v91, 0x80
	s_and_saveexec_b32 s22, vcc_lo
	s_cbranch_execz .LBB4_6867
; %bb.6860:                             ;   in Loop: Header=BB4_6327 Depth=3
	v_mov_b32_e32 v91, 0
	s_mov_b32 s23, exec_lo
	v_cmpx_ne_u32_e32 0, v92
	s_cbranch_execz .LBB4_6866
; %bb.6861:                             ;   in Loop: Header=BB4_6327 Depth=3
	v_bfe_u32 v91, v92, 23, 8
	v_and_b32_e32 v93, 0x7fffff, v92
	v_sub_nc_u32_e32 v94, 0x78, v91
	v_cmp_gt_u32_e32 vcc_lo, 0x79, v91
	v_or_b32_e32 v95, 0x800000, v93
	v_cndmask_b32_e32 v94, 0, v94, vcc_lo
	v_cmp_eq_u32_e32 vcc_lo, 0, v91
	v_add_nc_u32_e32 v91, 0xffffff89, v91
	v_cndmask_b32_e64 v94, v94, 0x77, vcc_lo
	v_cndmask_b32_e32 v93, v95, v93, vcc_lo
	v_cndmask_b32_e64 v91, v91, 0xffffff8a, vcc_lo
	v_lshl_add_u32 v95, 0x100000, v94, -1
	v_lshrrev_b32_e32 v104, v94, v93
	v_lshlrev_b32_e64 v106, v94, 0x80000
	v_add_nc_u32_e32 v94, v94, v91
	v_and_b32_e32 v93, v95, v93
	v_bfe_u32 v105, v104, 20, 1
	v_cmp_eq_u32_e64 s16, v93, v106
	v_add_nc_u32_e32 v95, -1, v105
	v_cndmask_b32_e64 v93, 0, v95, s16
	v_lshrrev_b32_e32 v95, 23, v104
	s_mov_b32 s16, exec_lo
	v_add_nc_u32_e32 v93, v93, v104
	v_xor_b32_e32 v95, 1, v95
	v_and_b32_e32 v91, 0xfffff, v93
	v_add_nc_u32_e32 v93, v91, v104
                                        ; implicit-def: $vgpr91
	v_cmpx_ne_u32_e64 v94, v95
	s_xor_b32 s16, exec_lo, s16
; %bb.6862:                             ;   in Loop: Header=BB4_6327 Depth=3
	v_cmp_lt_u32_e32 vcc_lo, 0xffffff, v93
	v_sub_nc_u32_e32 v91, v94, v95
	v_cndmask_b32_e64 v94, 0, 1, vcc_lo
	v_add_co_ci_u32_e64 v91, null, 0, v91, vcc_lo
	v_lshrrev_b32_e32 v93, v94, v93
; %bb.6863:                             ;   in Loop: Header=BB4_6327 Depth=3
	s_andn2_saveexec_b32 s16, s16
; %bb.6864:                             ;   in Loop: Header=BB4_6327 Depth=3
	v_bfe_u32 v91, v93, 23, 1
; %bb.6865:                             ;   in Loop: Header=BB4_6327 Depth=3
	s_or_b32 exec_lo, exec_lo, s16
	v_lshrrev_b32_e32 v93, 20, v93
	v_min_i32_e32 v94, 15, v91
	v_cmp_gt_i32_e32 vcc_lo, 16, v91
	v_and_b32_sdwa v92, v92, v118 dst_sel:DWORD dst_unused:UNUSED_PAD src0_sel:BYTE_3 src1_sel:DWORD
	v_lshlrev_b32_e32 v94, 3, v94
	v_cndmask_b32_e32 v93, 7, v93, vcc_lo
	v_and_b32_e32 v94, 0xf8, v94
	v_and_b32_e32 v95, 7, v93
	v_or_b32_e32 v91, v91, v93
	v_or3_b32 v92, v94, v92, v95
	v_cmp_ne_u32_e32 vcc_lo, 0, v91
	v_cndmask_b32_e32 v91, 0, v92, vcc_lo
.LBB4_6866:                             ;   in Loop: Header=BB4_6327 Depth=3
	s_or_b32 exec_lo, exec_lo, s23
.LBB4_6867:                             ;   in Loop: Header=BB4_6327 Depth=3
	s_or_b32 exec_lo, exec_lo, s22
	v_cmp_gt_i16_sdwa s22, v23, v117 src0_sel:BYTE_3 src1_sel:DWORD
	s_and_b32 vcc_lo, exec_lo, s19
	s_mov_b32 s16, -1
                                        ; implicit-def: $vgpr92
	s_cbranch_vccz .LBB4_6881
; %bb.6868:                             ;   in Loop: Header=BB4_6327 Depth=3
	s_mov_b32 s16, 0
	s_and_saveexec_b32 s23, s22
	s_xor_b32 s22, exec_lo, s23
	s_cbranch_execz .LBB4_7597
; %bb.6869:                             ;   in Loop: Header=BB4_6327 Depth=3
	v_cmp_eq_u16_sdwa s73, v23, v118 src0_sel:BYTE_3 src1_sel:DWORD
	s_mov_b32 s16, -1
	s_and_saveexec_b32 s23, s73
; %bb.6870:                             ;   in Loop: Header=BB4_6327 Depth=3
	s_xor_b32 s16, exec_lo, -1
; %bb.6871:                             ;   in Loop: Header=BB4_6327 Depth=3
	s_or_b32 exec_lo, exec_lo, s23
	s_and_b32 s16, s16, exec_lo
	s_or_saveexec_b32 s22, s22
	v_mov_b32_e32 v92, 0x7f800001
	s_xor_b32 exec_lo, exec_lo, s22
	s_cbranch_execnz .LBB4_7598
.LBB4_6872:                             ;   in Loop: Header=BB4_6327 Depth=3
	s_or_b32 exec_lo, exec_lo, s22
	s_and_saveexec_b32 s22, s16
	s_cbranch_execz .LBB4_6874
.LBB4_6873:                             ;   in Loop: Header=BB4_6327 Depth=3
	v_bfe_u32 v92, v23, 24, 3
	v_bfe_u32 v95, v23, 27, 4
	v_ffbh_u32_e32 v93, v92
	v_cmp_eq_u32_e32 vcc_lo, 0, v95
	v_min_u32_e32 v93, 32, v93
	v_subrev_nc_u32_e32 v94, 28, v93
	v_sub_nc_u32_e32 v93, 29, v93
	v_lshlrev_b32_sdwa v94, v94, v23 dst_sel:DWORD dst_unused:UNUSED_PAD src0_sel:DWORD src1_sel:BYTE_3
	v_cndmask_b32_e32 v93, v95, v93, vcc_lo
	v_and_b32_e32 v94, 7, v94
	v_lshl_add_u32 v93, v93, 23, 0x3b800000
	v_cndmask_b32_e32 v92, v92, v94, vcc_lo
	v_and_b32_e32 v94, 0x80000000, v23
	v_lshlrev_b32_e32 v92, 20, v92
	v_or3_b32 v92, v94, v93, v92
.LBB4_6874:                             ;   in Loop: Header=BB4_6327 Depth=3
	s_or_b32 exec_lo, exec_lo, s22
	v_cmp_gt_i16_sdwa s22, v19, v117 src0_sel:BYTE_3 src1_sel:DWORD
	s_mov_b32 s16, 0
	s_and_saveexec_b32 s23, s22
	s_xor_b32 s22, exec_lo, s23
	s_cbranch_execz .LBB4_7599
; %bb.6875:                             ;   in Loop: Header=BB4_6327 Depth=3
	v_cmp_eq_u16_sdwa s73, v19, v118 src0_sel:BYTE_3 src1_sel:DWORD
	s_mov_b32 s16, -1
	s_and_saveexec_b32 s23, s73
; %bb.6876:                             ;   in Loop: Header=BB4_6327 Depth=3
	s_xor_b32 s16, exec_lo, -1
; %bb.6877:                             ;   in Loop: Header=BB4_6327 Depth=3
	s_or_b32 exec_lo, exec_lo, s23
	s_and_b32 s16, s16, exec_lo
	s_or_saveexec_b32 s22, s22
	v_mov_b32_e32 v93, 0x7f800001
	s_xor_b32 exec_lo, exec_lo, s22
	s_cbranch_execnz .LBB4_7600
.LBB4_6878:                             ;   in Loop: Header=BB4_6327 Depth=3
	s_or_b32 exec_lo, exec_lo, s22
	s_and_saveexec_b32 s22, s16
	s_cbranch_execz .LBB4_6880
.LBB4_6879:                             ;   in Loop: Header=BB4_6327 Depth=3
	v_bfe_u32 v93, v19, 24, 3
	v_bfe_u32 v104, v19, 27, 4
	v_ffbh_u32_e32 v94, v93
	v_cmp_eq_u32_e32 vcc_lo, 0, v104
	v_min_u32_e32 v94, 32, v94
	v_subrev_nc_u32_e32 v95, 28, v94
	v_sub_nc_u32_e32 v94, 29, v94
	v_lshlrev_b32_sdwa v95, v95, v19 dst_sel:DWORD dst_unused:UNUSED_PAD src0_sel:DWORD src1_sel:BYTE_3
	v_cndmask_b32_e32 v94, v104, v94, vcc_lo
	v_and_b32_e32 v95, 7, v95
	v_lshl_add_u32 v94, v94, 23, 0x3b800000
	v_cndmask_b32_e32 v93, v93, v95, vcc_lo
	v_and_b32_e32 v95, 0x80000000, v19
	v_lshlrev_b32_e32 v93, 20, v93
	v_or3_b32 v93, v95, v94, v93
.LBB4_6880:                             ;   in Loop: Header=BB4_6327 Depth=3
	s_or_b32 exec_lo, exec_lo, s22
	v_max_f32_e32 v93, v93, v93
	v_max_f32_e32 v92, v92, v92
	s_mov_b32 s16, 0
	v_max_f32_e32 v92, v92, v93
.LBB4_6881:                             ;   in Loop: Header=BB4_6327 Depth=3
	s_and_b32 vcc_lo, exec_lo, s16
	s_cbranch_vccz .LBB4_6895
; %bb.6882:                             ;   in Loop: Header=BB4_6327 Depth=3
	v_cmp_gt_i16_sdwa s22, v23, v117 src0_sel:BYTE_3 src1_sel:DWORD
	s_mov_b32 s16, 0
	s_and_saveexec_b32 s23, s22
	s_xor_b32 s22, exec_lo, s23
	s_cbranch_execz .LBB4_7601
; %bb.6883:                             ;   in Loop: Header=BB4_6327 Depth=3
	v_cmp_eq_u16_sdwa s73, v23, v118 src0_sel:BYTE_3 src1_sel:DWORD
	s_mov_b32 s16, -1
	s_and_saveexec_b32 s23, s73
; %bb.6884:                             ;   in Loop: Header=BB4_6327 Depth=3
	s_xor_b32 s16, exec_lo, -1
; %bb.6885:                             ;   in Loop: Header=BB4_6327 Depth=3
	s_or_b32 exec_lo, exec_lo, s23
	s_and_b32 s16, s16, exec_lo
	s_or_saveexec_b32 s22, s22
	v_mov_b32_e32 v92, 0x7f800001
	s_xor_b32 exec_lo, exec_lo, s22
	s_cbranch_execnz .LBB4_7602
.LBB4_6886:                             ;   in Loop: Header=BB4_6327 Depth=3
	s_or_b32 exec_lo, exec_lo, s22
	s_and_saveexec_b32 s22, s16
	s_cbranch_execz .LBB4_6888
.LBB4_6887:                             ;   in Loop: Header=BB4_6327 Depth=3
	v_bfe_u32 v92, v23, 24, 3
	v_bfe_u32 v95, v23, 27, 4
	v_ffbh_u32_e32 v93, v92
	v_cmp_eq_u32_e32 vcc_lo, 0, v95
	v_min_u32_e32 v93, 32, v93
	v_subrev_nc_u32_e32 v94, 28, v93
	v_sub_nc_u32_e32 v93, 29, v93
	v_lshlrev_b32_sdwa v94, v94, v23 dst_sel:DWORD dst_unused:UNUSED_PAD src0_sel:DWORD src1_sel:BYTE_3
	v_cndmask_b32_e32 v93, v95, v93, vcc_lo
	v_and_b32_e32 v23, 0x80000000, v23
	v_and_b32_e32 v94, 7, v94
	v_lshl_add_u32 v93, v93, 23, 0x3b800000
	v_cndmask_b32_e32 v92, v92, v94, vcc_lo
	v_lshlrev_b32_e32 v92, 20, v92
	v_or3_b32 v92, v23, v93, v92
.LBB4_6888:                             ;   in Loop: Header=BB4_6327 Depth=3
	s_or_b32 exec_lo, exec_lo, s22
	v_cmp_gt_i16_sdwa s22, v19, v117 src0_sel:BYTE_3 src1_sel:DWORD
	s_mov_b32 s16, 0
	s_and_saveexec_b32 s23, s22
	s_xor_b32 s22, exec_lo, s23
	s_cbranch_execz .LBB4_7603
; %bb.6889:                             ;   in Loop: Header=BB4_6327 Depth=3
	v_cmp_eq_u16_sdwa s73, v19, v118 src0_sel:BYTE_3 src1_sel:DWORD
	s_mov_b32 s16, -1
	s_and_saveexec_b32 s23, s73
; %bb.6890:                             ;   in Loop: Header=BB4_6327 Depth=3
	s_xor_b32 s16, exec_lo, -1
; %bb.6891:                             ;   in Loop: Header=BB4_6327 Depth=3
	s_or_b32 exec_lo, exec_lo, s23
	s_and_b32 s16, s16, exec_lo
	s_or_saveexec_b32 s22, s22
	v_mov_b32_e32 v23, 0x7f800001
	s_xor_b32 exec_lo, exec_lo, s22
	s_cbranch_execnz .LBB4_7604
.LBB4_6892:                             ;   in Loop: Header=BB4_6327 Depth=3
	s_or_b32 exec_lo, exec_lo, s22
	s_and_saveexec_b32 s22, s16
	s_cbranch_execz .LBB4_6894
.LBB4_6893:                             ;   in Loop: Header=BB4_6327 Depth=3
	v_bfe_u32 v23, v19, 24, 3
	v_bfe_u32 v95, v19, 27, 4
	v_ffbh_u32_e32 v93, v23
	v_cmp_eq_u32_e32 vcc_lo, 0, v95
	v_min_u32_e32 v93, 32, v93
	v_subrev_nc_u32_e32 v94, 28, v93
	v_sub_nc_u32_e32 v93, 29, v93
	v_lshlrev_b32_sdwa v94, v94, v19 dst_sel:DWORD dst_unused:UNUSED_PAD src0_sel:DWORD src1_sel:BYTE_3
	v_cndmask_b32_e32 v93, v95, v93, vcc_lo
	v_and_b32_e32 v19, 0x80000000, v19
	v_and_b32_e32 v94, 7, v94
	v_lshl_add_u32 v93, v93, 23, 0x3b800000
	v_cndmask_b32_e32 v23, v23, v94, vcc_lo
	v_lshlrev_b32_e32 v23, 20, v23
	v_or3_b32 v23, v19, v93, v23
.LBB4_6894:                             ;   in Loop: Header=BB4_6327 Depth=3
	s_or_b32 exec_lo, exec_lo, s22
	v_max_f32_e32 v19, v23, v23
	v_max_f32_e32 v23, v92, v92
	v_min_f32_e32 v92, v23, v19
.LBB4_6895:                             ;   in Loop: Header=BB4_6327 Depth=3
	v_and_b32_e32 v19, 0x7f800000, v92
	v_cmp_ne_u32_e32 vcc_lo, 0x7f800000, v19
	v_mov_b32_e32 v19, 0x8000
	s_and_saveexec_b32 s22, vcc_lo
	s_cbranch_execz .LBB4_6903
; %bb.6896:                             ;   in Loop: Header=BB4_6327 Depth=3
	v_mov_b32_e32 v19, 0
	s_mov_b32 s23, exec_lo
	v_cmpx_ne_u32_e32 0, v92
	s_cbranch_execz .LBB4_6902
; %bb.6897:                             ;   in Loop: Header=BB4_6327 Depth=3
	v_bfe_u32 v19, v92, 23, 8
	v_and_b32_e32 v23, 0x7fffff, v92
	v_sub_nc_u32_e32 v93, 0x78, v19
	v_cmp_gt_u32_e32 vcc_lo, 0x79, v19
	v_or_b32_e32 v94, 0x800000, v23
	v_cndmask_b32_e32 v93, 0, v93, vcc_lo
	v_cmp_eq_u32_e32 vcc_lo, 0, v19
	v_add_nc_u32_e32 v19, 0xffffff89, v19
	v_cndmask_b32_e64 v93, v93, 0x77, vcc_lo
	v_cndmask_b32_e32 v23, v94, v23, vcc_lo
	v_cndmask_b32_e64 v19, v19, 0xffffff8a, vcc_lo
	v_lshl_add_u32 v94, 0x100000, v93, -1
	v_lshrrev_b32_e32 v95, v93, v23
	v_lshlrev_b32_e64 v105, v93, 0x80000
	v_add_nc_u32_e32 v93, v93, v19
	v_and_b32_e32 v23, v94, v23
	v_bfe_u32 v104, v95, 20, 1
	v_cmp_eq_u32_e64 s16, v23, v105
	v_add_nc_u32_e32 v94, -1, v104
	v_cndmask_b32_e64 v23, 0, v94, s16
	v_lshrrev_b32_e32 v94, 23, v95
	s_mov_b32 s16, exec_lo
	v_add_nc_u32_e32 v23, v23, v95
	v_xor_b32_e32 v94, 1, v94
	v_and_b32_e32 v19, 0xfffff, v23
	v_add_nc_u32_e32 v23, v19, v95
                                        ; implicit-def: $vgpr19
	v_cmpx_ne_u32_e64 v93, v94
	s_xor_b32 s16, exec_lo, s16
; %bb.6898:                             ;   in Loop: Header=BB4_6327 Depth=3
	v_cmp_lt_u32_e32 vcc_lo, 0xffffff, v23
	v_sub_nc_u32_e32 v19, v93, v94
	v_cndmask_b32_e64 v93, 0, 1, vcc_lo
	v_add_co_ci_u32_e64 v19, null, 0, v19, vcc_lo
	v_lshrrev_b32_e32 v23, v93, v23
; %bb.6899:                             ;   in Loop: Header=BB4_6327 Depth=3
	s_andn2_saveexec_b32 s16, s16
; %bb.6900:                             ;   in Loop: Header=BB4_6327 Depth=3
	v_bfe_u32 v19, v23, 23, 1
; %bb.6901:                             ;   in Loop: Header=BB4_6327 Depth=3
	s_or_b32 exec_lo, exec_lo, s16
	v_lshrrev_b32_e32 v23, 20, v23
	v_min_i32_e32 v93, 15, v19
	v_cmp_gt_i32_e32 vcc_lo, 16, v19
	v_and_b32_sdwa v92, v92, v118 dst_sel:DWORD dst_unused:UNUSED_PAD src0_sel:BYTE_3 src1_sel:DWORD
	v_lshlrev_b32_e32 v93, 3, v93
	v_cndmask_b32_e32 v23, 7, v23, vcc_lo
	v_and_b32_e32 v93, 0xf8, v93
	v_and_b32_e32 v94, 7, v23
	v_or_b32_e32 v19, v19, v23
	v_or3_b32 v92, v92, v93, v94
	v_cmp_ne_u32_e32 vcc_lo, 0, v19
	v_lshlrev_b32_e32 v23, 8, v92
	v_cndmask_b32_e32 v19, 0, v23, vcc_lo
.LBB4_6902:                             ;   in Loop: Header=BB4_6327 Depth=3
	s_or_b32 exec_lo, exec_lo, s23
.LBB4_6903:                             ;   in Loop: Header=BB4_6327 Depth=3
	s_or_b32 exec_lo, exec_lo, s22
	v_cmp_gt_i16_sdwa s22, v12, v117 src0_sel:BYTE_0 src1_sel:DWORD
	s_andn2_b32 vcc_lo, exec_lo, s19
	s_mov_b32 s16, -1
                                        ; implicit-def: $vgpr92
	s_cbranch_vccnz .LBB4_6917
; %bb.6904:                             ;   in Loop: Header=BB4_6327 Depth=3
	s_mov_b32 s16, 0
	s_and_saveexec_b32 s23, s22
	s_xor_b32 s22, exec_lo, s23
	s_cbranch_execz .LBB4_7605
; %bb.6905:                             ;   in Loop: Header=BB4_6327 Depth=3
	v_cmp_eq_u16_sdwa s73, v12, v118 src0_sel:BYTE_0 src1_sel:DWORD
	s_mov_b32 s16, -1
	s_and_saveexec_b32 s23, s73
; %bb.6906:                             ;   in Loop: Header=BB4_6327 Depth=3
	s_xor_b32 s16, exec_lo, -1
; %bb.6907:                             ;   in Loop: Header=BB4_6327 Depth=3
	s_or_b32 exec_lo, exec_lo, s23
	s_and_b32 s16, s16, exec_lo
	s_or_saveexec_b32 s22, s22
	v_mov_b32_e32 v23, 0x7f800001
	s_xor_b32 exec_lo, exec_lo, s22
	s_cbranch_execnz .LBB4_7606
.LBB4_6908:                             ;   in Loop: Header=BB4_6327 Depth=3
	s_or_b32 exec_lo, exec_lo, s22
	s_and_saveexec_b32 s22, s16
	s_cbranch_execz .LBB4_6910
.LBB4_6909:                             ;   in Loop: Header=BB4_6327 Depth=3
	v_and_b32_e32 v23, 7, v12
	v_bfe_u32 v94, v12, 3, 4
	v_lshlrev_b32_e32 v95, 24, v12
	v_ffbh_u32_e32 v92, v23
	v_cmp_eq_u32_e32 vcc_lo, 0, v94
	v_min_u32_e32 v92, 32, v92
	v_subrev_nc_u32_e32 v93, 28, v92
	v_sub_nc_u32_e32 v92, 29, v92
	v_lshlrev_b32_e32 v93, v93, v12
	v_cndmask_b32_e32 v92, v94, v92, vcc_lo
	v_and_b32_e32 v93, 7, v93
	v_lshl_add_u32 v92, v92, 23, 0x3b800000
	v_cndmask_b32_e32 v23, v23, v93, vcc_lo
	v_and_b32_e32 v93, 0x80000000, v95
	v_lshlrev_b32_e32 v23, 20, v23
	v_or3_b32 v23, v93, v92, v23
.LBB4_6910:                             ;   in Loop: Header=BB4_6327 Depth=3
	s_or_b32 exec_lo, exec_lo, s22
	s_waitcnt vmcnt(0)
	v_cmp_gt_i16_sdwa s22, v8, v117 src0_sel:BYTE_0 src1_sel:DWORD
	s_mov_b32 s16, 0
	s_and_saveexec_b32 s23, s22
	s_xor_b32 s22, exec_lo, s23
	s_cbranch_execz .LBB4_7607
; %bb.6911:                             ;   in Loop: Header=BB4_6327 Depth=3
	v_cmp_eq_u16_sdwa s73, v8, v118 src0_sel:BYTE_0 src1_sel:DWORD
	s_mov_b32 s16, -1
	s_and_saveexec_b32 s23, s73
; %bb.6912:                             ;   in Loop: Header=BB4_6327 Depth=3
	s_xor_b32 s16, exec_lo, -1
; %bb.6913:                             ;   in Loop: Header=BB4_6327 Depth=3
	s_or_b32 exec_lo, exec_lo, s23
	s_and_b32 s16, s16, exec_lo
	s_or_saveexec_b32 s22, s22
	v_mov_b32_e32 v92, 0x7f800001
	s_xor_b32 exec_lo, exec_lo, s22
	s_cbranch_execnz .LBB4_7608
.LBB4_6914:                             ;   in Loop: Header=BB4_6327 Depth=3
	s_or_b32 exec_lo, exec_lo, s22
	s_and_saveexec_b32 s22, s16
	s_cbranch_execz .LBB4_6916
.LBB4_6915:                             ;   in Loop: Header=BB4_6327 Depth=3
	v_and_b32_e32 v92, 7, v8
	v_bfe_u32 v95, v8, 3, 4
	v_lshlrev_b32_e32 v104, 24, v8
	v_ffbh_u32_e32 v93, v92
	v_cmp_eq_u32_e32 vcc_lo, 0, v95
	v_min_u32_e32 v93, 32, v93
	v_subrev_nc_u32_e32 v94, 28, v93
	v_sub_nc_u32_e32 v93, 29, v93
	v_lshlrev_b32_e32 v94, v94, v8
	v_cndmask_b32_e32 v93, v95, v93, vcc_lo
	v_and_b32_e32 v94, 7, v94
	v_lshl_add_u32 v93, v93, 23, 0x3b800000
	v_cndmask_b32_e32 v92, v92, v94, vcc_lo
	v_and_b32_e32 v94, 0x80000000, v104
	v_lshlrev_b32_e32 v92, 20, v92
	v_or3_b32 v92, v94, v93, v92
.LBB4_6916:                             ;   in Loop: Header=BB4_6327 Depth=3
	s_or_b32 exec_lo, exec_lo, s22
	v_max_f32_e32 v92, v92, v92
	v_max_f32_e32 v23, v23, v23
	s_mov_b32 s16, 0
	v_max_f32_e32 v92, v23, v92
.LBB4_6917:                             ;   in Loop: Header=BB4_6327 Depth=3
	s_and_b32 vcc_lo, exec_lo, s16
	s_cbranch_vccz .LBB4_6931
; %bb.6918:                             ;   in Loop: Header=BB4_6327 Depth=3
	v_cmp_gt_i16_sdwa s22, v12, v117 src0_sel:BYTE_0 src1_sel:DWORD
	s_mov_b32 s16, 0
	s_and_saveexec_b32 s23, s22
	s_xor_b32 s22, exec_lo, s23
	s_cbranch_execz .LBB4_7609
; %bb.6919:                             ;   in Loop: Header=BB4_6327 Depth=3
	v_cmp_eq_u16_sdwa s73, v12, v118 src0_sel:BYTE_0 src1_sel:DWORD
	s_mov_b32 s16, -1
	s_and_saveexec_b32 s23, s73
; %bb.6920:                             ;   in Loop: Header=BB4_6327 Depth=3
	s_xor_b32 s16, exec_lo, -1
; %bb.6921:                             ;   in Loop: Header=BB4_6327 Depth=3
	s_or_b32 exec_lo, exec_lo, s23
	s_and_b32 s16, s16, exec_lo
	s_or_saveexec_b32 s22, s22
	v_mov_b32_e32 v23, 0x7f800001
	s_xor_b32 exec_lo, exec_lo, s22
	s_cbranch_execnz .LBB4_7610
.LBB4_6922:                             ;   in Loop: Header=BB4_6327 Depth=3
	s_or_b32 exec_lo, exec_lo, s22
	s_and_saveexec_b32 s22, s16
	s_cbranch_execz .LBB4_6924
.LBB4_6923:                             ;   in Loop: Header=BB4_6327 Depth=3
	v_and_b32_e32 v23, 7, v12
	v_bfe_u32 v94, v12, 3, 4
	v_lshlrev_b32_e32 v95, 24, v12
	v_ffbh_u32_e32 v92, v23
	v_cmp_eq_u32_e32 vcc_lo, 0, v94
	v_min_u32_e32 v92, 32, v92
	v_subrev_nc_u32_e32 v93, 28, v92
	v_sub_nc_u32_e32 v92, 29, v92
	v_lshlrev_b32_e32 v93, v93, v12
	v_cndmask_b32_e32 v92, v94, v92, vcc_lo
	v_and_b32_e32 v93, 7, v93
	v_lshl_add_u32 v92, v92, 23, 0x3b800000
	v_cndmask_b32_e32 v23, v23, v93, vcc_lo
	v_and_b32_e32 v93, 0x80000000, v95
	v_lshlrev_b32_e32 v23, 20, v23
	v_or3_b32 v23, v93, v92, v23
.LBB4_6924:                             ;   in Loop: Header=BB4_6327 Depth=3
	s_or_b32 exec_lo, exec_lo, s22
	s_waitcnt vmcnt(0)
	v_cmp_gt_i16_sdwa s22, v8, v117 src0_sel:BYTE_0 src1_sel:DWORD
	s_mov_b32 s16, 0
	s_and_saveexec_b32 s23, s22
	s_xor_b32 s22, exec_lo, s23
	s_cbranch_execz .LBB4_7611
; %bb.6925:                             ;   in Loop: Header=BB4_6327 Depth=3
	v_cmp_eq_u16_sdwa s73, v8, v118 src0_sel:BYTE_0 src1_sel:DWORD
	s_mov_b32 s16, -1
	s_and_saveexec_b32 s23, s73
; %bb.6926:                             ;   in Loop: Header=BB4_6327 Depth=3
	s_xor_b32 s16, exec_lo, -1
; %bb.6927:                             ;   in Loop: Header=BB4_6327 Depth=3
	s_or_b32 exec_lo, exec_lo, s23
	s_and_b32 s16, s16, exec_lo
	s_or_saveexec_b32 s22, s22
	v_mov_b32_e32 v92, 0x7f800001
	s_xor_b32 exec_lo, exec_lo, s22
	s_cbranch_execnz .LBB4_7612
.LBB4_6928:                             ;   in Loop: Header=BB4_6327 Depth=3
	s_or_b32 exec_lo, exec_lo, s22
	s_and_saveexec_b32 s22, s16
	s_cbranch_execz .LBB4_6930
.LBB4_6929:                             ;   in Loop: Header=BB4_6327 Depth=3
	v_and_b32_e32 v92, 7, v8
	v_bfe_u32 v95, v8, 3, 4
	v_lshlrev_b32_e32 v104, 24, v8
	v_ffbh_u32_e32 v93, v92
	v_cmp_eq_u32_e32 vcc_lo, 0, v95
	v_min_u32_e32 v93, 32, v93
	v_subrev_nc_u32_e32 v94, 28, v93
	v_sub_nc_u32_e32 v93, 29, v93
	v_lshlrev_b32_e32 v94, v94, v8
	v_cndmask_b32_e32 v93, v95, v93, vcc_lo
	v_and_b32_e32 v94, 7, v94
	v_lshl_add_u32 v93, v93, 23, 0x3b800000
	v_cndmask_b32_e32 v92, v92, v94, vcc_lo
	v_and_b32_e32 v94, 0x80000000, v104
	v_lshlrev_b32_e32 v92, 20, v92
	v_or3_b32 v92, v94, v93, v92
.LBB4_6930:                             ;   in Loop: Header=BB4_6327 Depth=3
	s_or_b32 exec_lo, exec_lo, s22
	v_max_f32_e32 v92, v92, v92
	v_max_f32_e32 v23, v23, v23
	v_min_f32_e32 v92, v23, v92
.LBB4_6931:                             ;   in Loop: Header=BB4_6327 Depth=3
	v_and_b32_e32 v23, 0x7f800000, v92
	v_cmp_ne_u32_e32 vcc_lo, 0x7f800000, v23
	v_mov_b32_e32 v23, 0x80
	s_and_saveexec_b32 s22, vcc_lo
	s_cbranch_execz .LBB4_6939
; %bb.6932:                             ;   in Loop: Header=BB4_6327 Depth=3
	v_mov_b32_e32 v23, 0
	s_mov_b32 s23, exec_lo
	v_cmpx_ne_u32_e32 0, v92
	s_cbranch_execz .LBB4_6938
; %bb.6933:                             ;   in Loop: Header=BB4_6327 Depth=3
	v_bfe_u32 v23, v92, 23, 8
	v_and_b32_e32 v93, 0x7fffff, v92
	v_sub_nc_u32_e32 v94, 0x78, v23
	v_cmp_gt_u32_e32 vcc_lo, 0x79, v23
	v_or_b32_e32 v95, 0x800000, v93
	v_cndmask_b32_e32 v94, 0, v94, vcc_lo
	v_cmp_eq_u32_e32 vcc_lo, 0, v23
	v_add_nc_u32_e32 v23, 0xffffff89, v23
	v_cndmask_b32_e64 v94, v94, 0x77, vcc_lo
	v_cndmask_b32_e32 v93, v95, v93, vcc_lo
	v_cndmask_b32_e64 v23, v23, 0xffffff8a, vcc_lo
	v_lshl_add_u32 v95, 0x100000, v94, -1
	v_lshrrev_b32_e32 v104, v94, v93
	v_lshlrev_b32_e64 v106, v94, 0x80000
	v_add_nc_u32_e32 v94, v94, v23
	v_and_b32_e32 v93, v95, v93
	v_bfe_u32 v105, v104, 20, 1
	v_cmp_eq_u32_e64 s16, v93, v106
	v_add_nc_u32_e32 v95, -1, v105
	v_cndmask_b32_e64 v93, 0, v95, s16
	v_lshrrev_b32_e32 v95, 23, v104
	s_mov_b32 s16, exec_lo
	v_add_nc_u32_e32 v93, v93, v104
	v_xor_b32_e32 v95, 1, v95
	v_and_b32_e32 v23, 0xfffff, v93
	v_add_nc_u32_e32 v93, v23, v104
                                        ; implicit-def: $vgpr23
	v_cmpx_ne_u32_e64 v94, v95
	s_xor_b32 s16, exec_lo, s16
; %bb.6934:                             ;   in Loop: Header=BB4_6327 Depth=3
	v_cmp_lt_u32_e32 vcc_lo, 0xffffff, v93
	v_sub_nc_u32_e32 v23, v94, v95
	v_cndmask_b32_e64 v94, 0, 1, vcc_lo
	v_add_co_ci_u32_e64 v23, null, 0, v23, vcc_lo
	v_lshrrev_b32_e32 v93, v94, v93
; %bb.6935:                             ;   in Loop: Header=BB4_6327 Depth=3
	s_andn2_saveexec_b32 s16, s16
; %bb.6936:                             ;   in Loop: Header=BB4_6327 Depth=3
	v_bfe_u32 v23, v93, 23, 1
; %bb.6937:                             ;   in Loop: Header=BB4_6327 Depth=3
	s_or_b32 exec_lo, exec_lo, s16
	v_lshrrev_b32_e32 v93, 20, v93
	v_min_i32_e32 v94, 15, v23
	v_cmp_gt_i32_e32 vcc_lo, 16, v23
	v_and_b32_sdwa v92, v92, v118 dst_sel:DWORD dst_unused:UNUSED_PAD src0_sel:BYTE_3 src1_sel:DWORD
	v_lshlrev_b32_e32 v94, 3, v94
	v_cndmask_b32_e32 v93, 7, v93, vcc_lo
	v_and_b32_e32 v94, 0xf8, v94
	v_and_b32_e32 v95, 7, v93
	v_or_b32_e32 v23, v23, v93
	v_or3_b32 v92, v94, v92, v95
	v_cmp_ne_u32_e32 vcc_lo, 0, v23
	v_cndmask_b32_e32 v23, 0, v92, vcc_lo
.LBB4_6938:                             ;   in Loop: Header=BB4_6327 Depth=3
	s_or_b32 exec_lo, exec_lo, s23
.LBB4_6939:                             ;   in Loop: Header=BB4_6327 Depth=3
	s_or_b32 exec_lo, exec_lo, s22
	v_cmp_gt_i16_sdwa s22, v12, v117 src0_sel:BYTE_1 src1_sel:DWORD
	s_andn2_b32 vcc_lo, exec_lo, s19
	s_mov_b32 s16, -1
                                        ; implicit-def: $vgpr93
	s_cbranch_vccnz .LBB4_6953
; %bb.6940:                             ;   in Loop: Header=BB4_6327 Depth=3
	s_mov_b32 s16, 0
	s_and_saveexec_b32 s23, s22
	s_xor_b32 s22, exec_lo, s23
	s_cbranch_execz .LBB4_7613
; %bb.6941:                             ;   in Loop: Header=BB4_6327 Depth=3
	v_cmp_eq_u16_sdwa s73, v12, v118 src0_sel:BYTE_1 src1_sel:DWORD
	s_mov_b32 s16, -1
	s_and_saveexec_b32 s23, s73
; %bb.6942:                             ;   in Loop: Header=BB4_6327 Depth=3
	s_xor_b32 s16, exec_lo, -1
; %bb.6943:                             ;   in Loop: Header=BB4_6327 Depth=3
	s_or_b32 exec_lo, exec_lo, s23
	s_and_b32 s16, s16, exec_lo
	s_or_saveexec_b32 s22, s22
	v_mov_b32_e32 v92, 0x7f800001
	s_xor_b32 exec_lo, exec_lo, s22
	s_cbranch_execnz .LBB4_7614
.LBB4_6944:                             ;   in Loop: Header=BB4_6327 Depth=3
	s_or_b32 exec_lo, exec_lo, s22
	s_and_saveexec_b32 s22, s16
	s_cbranch_execz .LBB4_6946
.LBB4_6945:                             ;   in Loop: Header=BB4_6327 Depth=3
	v_and_b32_sdwa v92, v119, v12 dst_sel:DWORD dst_unused:UNUSED_PAD src0_sel:DWORD src1_sel:BYTE_1
	v_and_b32_e32 v93, 7, v92
	v_bfe_u32 v104, v92, 3, 4
	v_ffbh_u32_e32 v94, v93
	v_cmp_eq_u32_e32 vcc_lo, 0, v104
	v_min_u32_e32 v94, 32, v94
	v_subrev_nc_u32_e32 v95, 28, v94
	v_sub_nc_u32_e32 v94, 29, v94
	v_lshlrev_b32_e32 v92, v95, v92
	v_lshlrev_b32_e32 v95, 16, v12
	v_cndmask_b32_e32 v94, v104, v94, vcc_lo
	v_and_b32_e32 v92, 7, v92
	v_lshl_add_u32 v94, v94, 23, 0x3b800000
	v_cndmask_b32_e32 v92, v93, v92, vcc_lo
	v_and_b32_e32 v93, 0x80000000, v95
	v_lshlrev_b32_e32 v92, 20, v92
	v_or3_b32 v92, v93, v94, v92
.LBB4_6946:                             ;   in Loop: Header=BB4_6327 Depth=3
	s_or_b32 exec_lo, exec_lo, s22
	s_waitcnt vmcnt(0)
	v_cmp_gt_i16_sdwa s22, v8, v117 src0_sel:BYTE_1 src1_sel:DWORD
	s_mov_b32 s16, 0
	s_and_saveexec_b32 s23, s22
	s_xor_b32 s22, exec_lo, s23
	s_cbranch_execz .LBB4_7615
; %bb.6947:                             ;   in Loop: Header=BB4_6327 Depth=3
	v_cmp_eq_u16_sdwa s73, v8, v118 src0_sel:BYTE_1 src1_sel:DWORD
	s_mov_b32 s16, -1
	s_and_saveexec_b32 s23, s73
; %bb.6948:                             ;   in Loop: Header=BB4_6327 Depth=3
	s_xor_b32 s16, exec_lo, -1
; %bb.6949:                             ;   in Loop: Header=BB4_6327 Depth=3
	s_or_b32 exec_lo, exec_lo, s23
	s_and_b32 s16, s16, exec_lo
	s_or_saveexec_b32 s22, s22
	v_mov_b32_e32 v93, 0x7f800001
	s_xor_b32 exec_lo, exec_lo, s22
	s_cbranch_execnz .LBB4_7616
.LBB4_6950:                             ;   in Loop: Header=BB4_6327 Depth=3
	s_or_b32 exec_lo, exec_lo, s22
	s_and_saveexec_b32 s22, s16
	s_cbranch_execz .LBB4_6952
.LBB4_6951:                             ;   in Loop: Header=BB4_6327 Depth=3
	v_and_b32_sdwa v93, v119, v8 dst_sel:DWORD dst_unused:UNUSED_PAD src0_sel:DWORD src1_sel:BYTE_1
	v_and_b32_e32 v94, 7, v93
	v_bfe_u32 v105, v93, 3, 4
	v_ffbh_u32_e32 v95, v94
	v_cmp_eq_u32_e32 vcc_lo, 0, v105
	v_min_u32_e32 v95, 32, v95
	v_subrev_nc_u32_e32 v104, 28, v95
	v_sub_nc_u32_e32 v95, 29, v95
	v_lshlrev_b32_e32 v93, v104, v93
	v_lshlrev_b32_e32 v104, 16, v8
	v_cndmask_b32_e32 v95, v105, v95, vcc_lo
	v_and_b32_e32 v93, 7, v93
	v_lshl_add_u32 v95, v95, 23, 0x3b800000
	v_cndmask_b32_e32 v93, v94, v93, vcc_lo
	v_and_b32_e32 v94, 0x80000000, v104
	v_lshlrev_b32_e32 v93, 20, v93
	v_or3_b32 v93, v94, v95, v93
.LBB4_6952:                             ;   in Loop: Header=BB4_6327 Depth=3
	s_or_b32 exec_lo, exec_lo, s22
	v_max_f32_e32 v93, v93, v93
	v_max_f32_e32 v92, v92, v92
	s_mov_b32 s16, 0
	v_max_f32_e32 v93, v92, v93
.LBB4_6953:                             ;   in Loop: Header=BB4_6327 Depth=3
	s_and_b32 vcc_lo, exec_lo, s16
	s_cbranch_vccz .LBB4_6967
; %bb.6954:                             ;   in Loop: Header=BB4_6327 Depth=3
	v_cmp_gt_i16_sdwa s22, v12, v117 src0_sel:BYTE_1 src1_sel:DWORD
	s_mov_b32 s16, 0
	s_and_saveexec_b32 s23, s22
	s_xor_b32 s22, exec_lo, s23
	s_cbranch_execz .LBB4_7617
; %bb.6955:                             ;   in Loop: Header=BB4_6327 Depth=3
	v_cmp_eq_u16_sdwa s73, v12, v118 src0_sel:BYTE_1 src1_sel:DWORD
	s_mov_b32 s16, -1
	s_and_saveexec_b32 s23, s73
; %bb.6956:                             ;   in Loop: Header=BB4_6327 Depth=3
	s_xor_b32 s16, exec_lo, -1
; %bb.6957:                             ;   in Loop: Header=BB4_6327 Depth=3
	s_or_b32 exec_lo, exec_lo, s23
	s_and_b32 s16, s16, exec_lo
	s_or_saveexec_b32 s22, s22
	v_mov_b32_e32 v92, 0x7f800001
	s_xor_b32 exec_lo, exec_lo, s22
	s_cbranch_execnz .LBB4_7618
.LBB4_6958:                             ;   in Loop: Header=BB4_6327 Depth=3
	s_or_b32 exec_lo, exec_lo, s22
	s_and_saveexec_b32 s22, s16
	s_cbranch_execz .LBB4_6960
.LBB4_6959:                             ;   in Loop: Header=BB4_6327 Depth=3
	v_and_b32_sdwa v92, v119, v12 dst_sel:DWORD dst_unused:UNUSED_PAD src0_sel:DWORD src1_sel:BYTE_1
	v_and_b32_e32 v93, 7, v92
	v_bfe_u32 v104, v92, 3, 4
	v_ffbh_u32_e32 v94, v93
	v_cmp_eq_u32_e32 vcc_lo, 0, v104
	v_min_u32_e32 v94, 32, v94
	v_subrev_nc_u32_e32 v95, 28, v94
	v_sub_nc_u32_e32 v94, 29, v94
	v_lshlrev_b32_e32 v92, v95, v92
	v_lshlrev_b32_e32 v95, 16, v12
	v_cndmask_b32_e32 v94, v104, v94, vcc_lo
	v_and_b32_e32 v92, 7, v92
	v_lshl_add_u32 v94, v94, 23, 0x3b800000
	v_cndmask_b32_e32 v92, v93, v92, vcc_lo
	v_and_b32_e32 v93, 0x80000000, v95
	v_lshlrev_b32_e32 v92, 20, v92
	v_or3_b32 v92, v93, v94, v92
.LBB4_6960:                             ;   in Loop: Header=BB4_6327 Depth=3
	s_or_b32 exec_lo, exec_lo, s22
	s_waitcnt vmcnt(0)
	v_cmp_gt_i16_sdwa s22, v8, v117 src0_sel:BYTE_1 src1_sel:DWORD
	s_mov_b32 s16, 0
	s_and_saveexec_b32 s23, s22
	s_xor_b32 s22, exec_lo, s23
	s_cbranch_execz .LBB4_7619
; %bb.6961:                             ;   in Loop: Header=BB4_6327 Depth=3
	v_cmp_eq_u16_sdwa s73, v8, v118 src0_sel:BYTE_1 src1_sel:DWORD
	s_mov_b32 s16, -1
	s_and_saveexec_b32 s23, s73
; %bb.6962:                             ;   in Loop: Header=BB4_6327 Depth=3
	s_xor_b32 s16, exec_lo, -1
; %bb.6963:                             ;   in Loop: Header=BB4_6327 Depth=3
	s_or_b32 exec_lo, exec_lo, s23
	s_and_b32 s16, s16, exec_lo
	s_or_saveexec_b32 s22, s22
	v_mov_b32_e32 v93, 0x7f800001
	s_xor_b32 exec_lo, exec_lo, s22
	s_cbranch_execnz .LBB4_7620
.LBB4_6964:                             ;   in Loop: Header=BB4_6327 Depth=3
	s_or_b32 exec_lo, exec_lo, s22
	s_and_saveexec_b32 s22, s16
	s_cbranch_execz .LBB4_6966
.LBB4_6965:                             ;   in Loop: Header=BB4_6327 Depth=3
	v_and_b32_sdwa v93, v119, v8 dst_sel:DWORD dst_unused:UNUSED_PAD src0_sel:DWORD src1_sel:BYTE_1
	v_and_b32_e32 v94, 7, v93
	v_bfe_u32 v105, v93, 3, 4
	v_ffbh_u32_e32 v95, v94
	v_cmp_eq_u32_e32 vcc_lo, 0, v105
	v_min_u32_e32 v95, 32, v95
	v_subrev_nc_u32_e32 v104, 28, v95
	v_sub_nc_u32_e32 v95, 29, v95
	v_lshlrev_b32_e32 v93, v104, v93
	v_lshlrev_b32_e32 v104, 16, v8
	v_cndmask_b32_e32 v95, v105, v95, vcc_lo
	v_and_b32_e32 v93, 7, v93
	v_lshl_add_u32 v95, v95, 23, 0x3b800000
	v_cndmask_b32_e32 v93, v94, v93, vcc_lo
	v_and_b32_e32 v94, 0x80000000, v104
	v_lshlrev_b32_e32 v93, 20, v93
	v_or3_b32 v93, v94, v95, v93
.LBB4_6966:                             ;   in Loop: Header=BB4_6327 Depth=3
	s_or_b32 exec_lo, exec_lo, s22
	v_max_f32_e32 v93, v93, v93
	v_max_f32_e32 v92, v92, v92
	v_min_f32_e32 v93, v92, v93
.LBB4_6967:                             ;   in Loop: Header=BB4_6327 Depth=3
	v_and_b32_e32 v92, 0x7f800000, v93
	v_cmp_ne_u32_e32 vcc_lo, 0x7f800000, v92
	v_mov_b32_e32 v92, 0x8000
	s_and_saveexec_b32 s22, vcc_lo
	s_cbranch_execz .LBB4_6975
; %bb.6968:                             ;   in Loop: Header=BB4_6327 Depth=3
	v_mov_b32_e32 v92, 0
	s_mov_b32 s23, exec_lo
	v_cmpx_ne_u32_e32 0, v93
	s_cbranch_execz .LBB4_6974
; %bb.6969:                             ;   in Loop: Header=BB4_6327 Depth=3
	v_bfe_u32 v92, v93, 23, 8
	v_and_b32_e32 v94, 0x7fffff, v93
	v_sub_nc_u32_e32 v95, 0x78, v92
	v_cmp_gt_u32_e32 vcc_lo, 0x79, v92
	v_or_b32_e32 v104, 0x800000, v94
	v_cndmask_b32_e32 v95, 0, v95, vcc_lo
	v_cmp_eq_u32_e32 vcc_lo, 0, v92
	v_add_nc_u32_e32 v92, 0xffffff89, v92
	v_cndmask_b32_e64 v95, v95, 0x77, vcc_lo
	v_cndmask_b32_e32 v94, v104, v94, vcc_lo
	v_cndmask_b32_e64 v92, v92, 0xffffff8a, vcc_lo
	v_lshl_add_u32 v104, 0x100000, v95, -1
	v_lshrrev_b32_e32 v105, v95, v94
	v_lshlrev_b32_e64 v107, v95, 0x80000
	v_add_nc_u32_e32 v95, v95, v92
	v_and_b32_e32 v94, v104, v94
	v_bfe_u32 v106, v105, 20, 1
	v_cmp_eq_u32_e64 s16, v94, v107
	v_add_nc_u32_e32 v104, -1, v106
	v_cndmask_b32_e64 v94, 0, v104, s16
	v_lshrrev_b32_e32 v104, 23, v105
	s_mov_b32 s16, exec_lo
	v_add_nc_u32_e32 v94, v94, v105
	v_xor_b32_e32 v104, 1, v104
	v_and_b32_e32 v92, 0xfffff, v94
	v_add_nc_u32_e32 v94, v92, v105
                                        ; implicit-def: $vgpr92
	v_cmpx_ne_u32_e64 v95, v104
	s_xor_b32 s16, exec_lo, s16
; %bb.6970:                             ;   in Loop: Header=BB4_6327 Depth=3
	v_cmp_lt_u32_e32 vcc_lo, 0xffffff, v94
	v_sub_nc_u32_e32 v92, v95, v104
	v_cndmask_b32_e64 v95, 0, 1, vcc_lo
	v_add_co_ci_u32_e64 v92, null, 0, v92, vcc_lo
	v_lshrrev_b32_e32 v94, v95, v94
; %bb.6971:                             ;   in Loop: Header=BB4_6327 Depth=3
	s_andn2_saveexec_b32 s16, s16
; %bb.6972:                             ;   in Loop: Header=BB4_6327 Depth=3
	v_bfe_u32 v92, v94, 23, 1
; %bb.6973:                             ;   in Loop: Header=BB4_6327 Depth=3
	s_or_b32 exec_lo, exec_lo, s16
	v_lshrrev_b32_e32 v94, 20, v94
	v_min_i32_e32 v95, 15, v92
	v_cmp_gt_i32_e32 vcc_lo, 16, v92
	v_and_b32_sdwa v93, v93, v118 dst_sel:DWORD dst_unused:UNUSED_PAD src0_sel:BYTE_3 src1_sel:DWORD
	v_lshlrev_b32_e32 v95, 3, v95
	v_cndmask_b32_e32 v94, 7, v94, vcc_lo
	v_and_b32_e32 v95, 0xf8, v95
	v_and_b32_e32 v104, 7, v94
	v_or_b32_e32 v92, v92, v94
	v_or3_b32 v93, v93, v95, v104
	v_cmp_ne_u32_e32 vcc_lo, 0, v92
	v_lshlrev_b32_e32 v93, 8, v93
	v_cndmask_b32_e32 v92, 0, v93, vcc_lo
.LBB4_6974:                             ;   in Loop: Header=BB4_6327 Depth=3
	s_or_b32 exec_lo, exec_lo, s23
.LBB4_6975:                             ;   in Loop: Header=BB4_6327 Depth=3
	s_or_b32 exec_lo, exec_lo, s22
	v_and_b32_sdwa v93, v12, v40 dst_sel:DWORD dst_unused:UNUSED_PAD src0_sel:WORD_1 src1_sel:DWORD
	s_andn2_b32 vcc_lo, exec_lo, s19
	s_mov_b32 s22, -1
                                        ; implicit-def: $vgpr94
	v_cmp_lt_i16_e64 s16, 0x7f, v93
	s_cbranch_vccnz .LBB4_6989
; %bb.6976:                             ;   in Loop: Header=BB4_6327 Depth=3
	s_mov_b32 s22, 0
	s_and_saveexec_b32 s23, s16
	s_xor_b32 s16, exec_lo, s23
	s_cbranch_execz .LBB4_7621
; %bb.6977:                             ;   in Loop: Header=BB4_6327 Depth=3
	s_mov_b32 s22, -1
	s_mov_b32 s23, exec_lo
	v_cmpx_eq_u16_e32 0x80, v93
; %bb.6978:                             ;   in Loop: Header=BB4_6327 Depth=3
	s_xor_b32 s22, exec_lo, -1
; %bb.6979:                             ;   in Loop: Header=BB4_6327 Depth=3
	s_or_b32 exec_lo, exec_lo, s23
	s_and_b32 s22, s22, exec_lo
	s_or_saveexec_b32 s16, s16
	v_mov_b32_e32 v94, 0x7f800001
	s_xor_b32 exec_lo, exec_lo, s16
	s_cbranch_execnz .LBB4_7622
.LBB4_6980:                             ;   in Loop: Header=BB4_6327 Depth=3
	s_or_b32 exec_lo, exec_lo, s16
	s_and_saveexec_b32 s16, s22
	s_cbranch_execz .LBB4_6982
.LBB4_6981:                             ;   in Loop: Header=BB4_6327 Depth=3
	v_bfe_u32 v94, v12, 16, 3
	v_bfe_u32 v105, v12, 19, 4
	v_lshlrev_b32_sdwa v106, v41, v12 dst_sel:DWORD dst_unused:UNUSED_PAD src0_sel:DWORD src1_sel:WORD_1
	v_ffbh_u32_e32 v95, v94
	v_cmp_eq_u32_e32 vcc_lo, 0, v105
	v_min_u32_e32 v95, 32, v95
	v_subrev_nc_u32_e32 v104, 28, v95
	v_sub_nc_u32_e32 v95, 29, v95
	v_lshlrev_b32_sdwa v104, v104, v12 dst_sel:DWORD dst_unused:UNUSED_PAD src0_sel:DWORD src1_sel:WORD_1
	v_cndmask_b32_e32 v95, v105, v95, vcc_lo
	v_and_b32_e32 v104, 7, v104
	v_lshl_add_u32 v95, v95, 23, 0x3b800000
	v_cndmask_b32_e32 v94, v94, v104, vcc_lo
	v_and_b32_e32 v104, 0x80000000, v106
	v_lshlrev_b32_e32 v94, 20, v94
	v_or3_b32 v94, v104, v95, v94
.LBB4_6982:                             ;   in Loop: Header=BB4_6327 Depth=3
	s_or_b32 exec_lo, exec_lo, s16
	s_waitcnt vmcnt(0)
	v_and_b32_sdwa v104, v8, v40 dst_sel:DWORD dst_unused:UNUSED_PAD src0_sel:WORD_1 src1_sel:DWORD
	s_mov_b32 s16, 0
	s_mov_b32 s22, exec_lo
	v_cmpx_lt_i16_e32 0x7f, v104
	s_xor_b32 s22, exec_lo, s22
	s_cbranch_execz .LBB4_7623
; %bb.6983:                             ;   in Loop: Header=BB4_6327 Depth=3
	s_mov_b32 s16, -1
	s_mov_b32 s23, exec_lo
	v_cmpx_eq_u16_e32 0x80, v104
; %bb.6984:                             ;   in Loop: Header=BB4_6327 Depth=3
	s_xor_b32 s16, exec_lo, -1
; %bb.6985:                             ;   in Loop: Header=BB4_6327 Depth=3
	s_or_b32 exec_lo, exec_lo, s23
	s_and_b32 s16, s16, exec_lo
                                        ; implicit-def: $vgpr104
	s_or_saveexec_b32 s22, s22
	v_mov_b32_e32 v95, 0x7f800001
	s_xor_b32 exec_lo, exec_lo, s22
	s_cbranch_execnz .LBB4_7624
.LBB4_6986:                             ;   in Loop: Header=BB4_6327 Depth=3
	s_or_b32 exec_lo, exec_lo, s22
	s_and_saveexec_b32 s22, s16
	s_cbranch_execz .LBB4_6988
.LBB4_6987:                             ;   in Loop: Header=BB4_6327 Depth=3
	v_bfe_u32 v95, v8, 16, 3
	v_bfe_u32 v106, v8, 19, 4
	v_lshlrev_b32_sdwa v107, v41, v8 dst_sel:DWORD dst_unused:UNUSED_PAD src0_sel:DWORD src1_sel:WORD_1
	v_ffbh_u32_e32 v104, v95
	v_cmp_eq_u32_e32 vcc_lo, 0, v106
	v_min_u32_e32 v104, 32, v104
	v_subrev_nc_u32_e32 v105, 28, v104
	v_sub_nc_u32_e32 v104, 29, v104
	v_lshlrev_b32_sdwa v105, v105, v8 dst_sel:DWORD dst_unused:UNUSED_PAD src0_sel:DWORD src1_sel:WORD_1
	v_cndmask_b32_e32 v104, v106, v104, vcc_lo
	v_and_b32_e32 v105, 7, v105
	v_lshl_add_u32 v104, v104, 23, 0x3b800000
	v_cndmask_b32_e32 v95, v95, v105, vcc_lo
	v_and_b32_e32 v105, 0x80000000, v107
	v_lshlrev_b32_e32 v95, 20, v95
	v_or3_b32 v95, v105, v104, v95
.LBB4_6988:                             ;   in Loop: Header=BB4_6327 Depth=3
	s_or_b32 exec_lo, exec_lo, s22
	v_max_f32_e32 v95, v95, v95
	v_max_f32_e32 v94, v94, v94
	s_mov_b32 s22, 0
	v_max_f32_e32 v94, v94, v95
.LBB4_6989:                             ;   in Loop: Header=BB4_6327 Depth=3
	s_and_b32 vcc_lo, exec_lo, s22
	s_cbranch_vccz .LBB4_7003
; %bb.6990:                             ;   in Loop: Header=BB4_6327 Depth=3
	s_mov_b32 s16, 0
	s_mov_b32 s22, exec_lo
	v_cmpx_lt_i16_e32 0x7f, v93
	s_xor_b32 s22, exec_lo, s22
	s_cbranch_execz .LBB4_7625
; %bb.6991:                             ;   in Loop: Header=BB4_6327 Depth=3
	s_mov_b32 s16, -1
	s_mov_b32 s23, exec_lo
	v_cmpx_eq_u16_e32 0x80, v93
; %bb.6992:                             ;   in Loop: Header=BB4_6327 Depth=3
	s_xor_b32 s16, exec_lo, -1
; %bb.6993:                             ;   in Loop: Header=BB4_6327 Depth=3
	s_or_b32 exec_lo, exec_lo, s23
	s_and_b32 s16, s16, exec_lo
                                        ; implicit-def: $vgpr93
	s_or_saveexec_b32 s22, s22
	v_mov_b32_e32 v94, 0x7f800001
	s_xor_b32 exec_lo, exec_lo, s22
	s_cbranch_execnz .LBB4_7626
.LBB4_6994:                             ;   in Loop: Header=BB4_6327 Depth=3
	s_or_b32 exec_lo, exec_lo, s22
	s_and_saveexec_b32 s22, s16
	s_cbranch_execz .LBB4_6996
.LBB4_6995:                             ;   in Loop: Header=BB4_6327 Depth=3
	v_bfe_u32 v93, v12, 16, 3
	v_bfe_u32 v104, v12, 19, 4
	v_lshlrev_b32_sdwa v105, v41, v12 dst_sel:DWORD dst_unused:UNUSED_PAD src0_sel:DWORD src1_sel:WORD_1
	v_ffbh_u32_e32 v94, v93
	v_cmp_eq_u32_e32 vcc_lo, 0, v104
	v_min_u32_e32 v94, 32, v94
	v_subrev_nc_u32_e32 v95, 28, v94
	v_sub_nc_u32_e32 v94, 29, v94
	v_lshlrev_b32_sdwa v95, v95, v12 dst_sel:DWORD dst_unused:UNUSED_PAD src0_sel:DWORD src1_sel:WORD_1
	v_cndmask_b32_e32 v94, v104, v94, vcc_lo
	v_and_b32_e32 v95, 7, v95
	v_lshl_add_u32 v94, v94, 23, 0x3b800000
	v_cndmask_b32_e32 v93, v93, v95, vcc_lo
	v_and_b32_e32 v95, 0x80000000, v105
	v_lshlrev_b32_e32 v93, 20, v93
	v_or3_b32 v94, v95, v94, v93
.LBB4_6996:                             ;   in Loop: Header=BB4_6327 Depth=3
	s_or_b32 exec_lo, exec_lo, s22
	s_waitcnt vmcnt(0)
	v_and_b32_sdwa v95, v8, v40 dst_sel:DWORD dst_unused:UNUSED_PAD src0_sel:WORD_1 src1_sel:DWORD
	s_mov_b32 s16, 0
	s_mov_b32 s22, exec_lo
	v_cmpx_lt_i16_e32 0x7f, v95
	s_xor_b32 s22, exec_lo, s22
	s_cbranch_execz .LBB4_7627
; %bb.6997:                             ;   in Loop: Header=BB4_6327 Depth=3
	s_mov_b32 s16, -1
	s_mov_b32 s23, exec_lo
	v_cmpx_eq_u16_e32 0x80, v95
; %bb.6998:                             ;   in Loop: Header=BB4_6327 Depth=3
	s_xor_b32 s16, exec_lo, -1
; %bb.6999:                             ;   in Loop: Header=BB4_6327 Depth=3
	s_or_b32 exec_lo, exec_lo, s23
	s_and_b32 s16, s16, exec_lo
                                        ; implicit-def: $vgpr95
	s_or_saveexec_b32 s22, s22
	v_mov_b32_e32 v93, 0x7f800001
	s_xor_b32 exec_lo, exec_lo, s22
	s_cbranch_execnz .LBB4_7628
.LBB4_7000:                             ;   in Loop: Header=BB4_6327 Depth=3
	s_or_b32 exec_lo, exec_lo, s22
	s_and_saveexec_b32 s22, s16
	s_cbranch_execz .LBB4_7002
.LBB4_7001:                             ;   in Loop: Header=BB4_6327 Depth=3
	v_bfe_u32 v93, v8, 16, 3
	v_bfe_u32 v105, v8, 19, 4
	v_lshlrev_b32_sdwa v106, v41, v8 dst_sel:DWORD dst_unused:UNUSED_PAD src0_sel:DWORD src1_sel:WORD_1
	v_ffbh_u32_e32 v95, v93
	v_cmp_eq_u32_e32 vcc_lo, 0, v105
	v_min_u32_e32 v95, 32, v95
	v_subrev_nc_u32_e32 v104, 28, v95
	v_sub_nc_u32_e32 v95, 29, v95
	v_lshlrev_b32_sdwa v104, v104, v8 dst_sel:DWORD dst_unused:UNUSED_PAD src0_sel:DWORD src1_sel:WORD_1
	v_cndmask_b32_e32 v95, v105, v95, vcc_lo
	v_and_b32_e32 v104, 7, v104
	v_lshl_add_u32 v95, v95, 23, 0x3b800000
	v_cndmask_b32_e32 v93, v93, v104, vcc_lo
	v_and_b32_e32 v104, 0x80000000, v106
	v_lshlrev_b32_e32 v93, 20, v93
	v_or3_b32 v93, v104, v95, v93
.LBB4_7002:                             ;   in Loop: Header=BB4_6327 Depth=3
	s_or_b32 exec_lo, exec_lo, s22
	v_max_f32_e32 v93, v93, v93
	v_max_f32_e32 v94, v94, v94
	v_min_f32_e32 v94, v94, v93
.LBB4_7003:                             ;   in Loop: Header=BB4_6327 Depth=3
	v_and_b32_e32 v93, 0x7f800000, v94
	v_cmp_ne_u32_e32 vcc_lo, 0x7f800000, v93
	v_mov_b32_e32 v93, 0x80
	s_and_saveexec_b32 s22, vcc_lo
	s_cbranch_execz .LBB4_7011
; %bb.7004:                             ;   in Loop: Header=BB4_6327 Depth=3
	v_mov_b32_e32 v93, 0
	s_mov_b32 s23, exec_lo
	v_cmpx_ne_u32_e32 0, v94
	s_cbranch_execz .LBB4_7010
; %bb.7005:                             ;   in Loop: Header=BB4_6327 Depth=3
	v_bfe_u32 v93, v94, 23, 8
	v_and_b32_e32 v95, 0x7fffff, v94
	v_sub_nc_u32_e32 v104, 0x78, v93
	v_cmp_gt_u32_e32 vcc_lo, 0x79, v93
	v_or_b32_e32 v105, 0x800000, v95
	v_cndmask_b32_e32 v104, 0, v104, vcc_lo
	v_cmp_eq_u32_e32 vcc_lo, 0, v93
	v_add_nc_u32_e32 v93, 0xffffff89, v93
	v_cndmask_b32_e64 v104, v104, 0x77, vcc_lo
	v_cndmask_b32_e32 v95, v105, v95, vcc_lo
	v_cndmask_b32_e64 v93, v93, 0xffffff8a, vcc_lo
	v_lshl_add_u32 v105, 0x100000, v104, -1
	v_lshrrev_b32_e32 v106, v104, v95
	v_lshlrev_b32_e64 v108, v104, 0x80000
	v_add_nc_u32_e32 v104, v104, v93
	v_and_b32_e32 v95, v105, v95
	v_bfe_u32 v107, v106, 20, 1
	v_cmp_eq_u32_e64 s16, v95, v108
	v_add_nc_u32_e32 v105, -1, v107
	v_cndmask_b32_e64 v95, 0, v105, s16
	v_lshrrev_b32_e32 v105, 23, v106
	s_mov_b32 s16, exec_lo
	v_add_nc_u32_e32 v95, v95, v106
	v_xor_b32_e32 v105, 1, v105
	v_and_b32_e32 v93, 0xfffff, v95
	v_add_nc_u32_e32 v95, v93, v106
                                        ; implicit-def: $vgpr93
	v_cmpx_ne_u32_e64 v104, v105
	s_xor_b32 s16, exec_lo, s16
; %bb.7006:                             ;   in Loop: Header=BB4_6327 Depth=3
	v_cmp_lt_u32_e32 vcc_lo, 0xffffff, v95
	v_sub_nc_u32_e32 v93, v104, v105
	v_cndmask_b32_e64 v104, 0, 1, vcc_lo
	v_add_co_ci_u32_e64 v93, null, 0, v93, vcc_lo
	v_lshrrev_b32_e32 v95, v104, v95
; %bb.7007:                             ;   in Loop: Header=BB4_6327 Depth=3
	s_andn2_saveexec_b32 s16, s16
; %bb.7008:                             ;   in Loop: Header=BB4_6327 Depth=3
	v_bfe_u32 v93, v95, 23, 1
; %bb.7009:                             ;   in Loop: Header=BB4_6327 Depth=3
	s_or_b32 exec_lo, exec_lo, s16
	v_lshrrev_b32_e32 v95, 20, v95
	v_min_i32_e32 v104, 15, v93
	v_cmp_gt_i32_e32 vcc_lo, 16, v93
	v_and_b32_sdwa v94, v94, v118 dst_sel:DWORD dst_unused:UNUSED_PAD src0_sel:BYTE_3 src1_sel:DWORD
	v_lshlrev_b32_e32 v104, 3, v104
	v_cndmask_b32_e32 v95, 7, v95, vcc_lo
	v_and_b32_e32 v104, 0xf8, v104
	v_and_b32_e32 v105, 7, v95
	v_or_b32_e32 v93, v93, v95
	v_or3_b32 v94, v104, v94, v105
	v_cmp_ne_u32_e32 vcc_lo, 0, v93
	v_cndmask_b32_e32 v93, 0, v94, vcc_lo
.LBB4_7010:                             ;   in Loop: Header=BB4_6327 Depth=3
	s_or_b32 exec_lo, exec_lo, s23
.LBB4_7011:                             ;   in Loop: Header=BB4_6327 Depth=3
	s_or_b32 exec_lo, exec_lo, s22
	v_cmp_gt_i16_sdwa s22, v12, v117 src0_sel:BYTE_3 src1_sel:DWORD
	s_andn2_b32 vcc_lo, exec_lo, s19
	s_mov_b32 s16, -1
                                        ; implicit-def: $vgpr94
	s_cbranch_vccnz .LBB4_7025
; %bb.7012:                             ;   in Loop: Header=BB4_6327 Depth=3
	s_mov_b32 s16, 0
	s_and_saveexec_b32 s23, s22
	s_xor_b32 s22, exec_lo, s23
	s_cbranch_execz .LBB4_7629
; %bb.7013:                             ;   in Loop: Header=BB4_6327 Depth=3
	v_cmp_eq_u16_sdwa s73, v12, v118 src0_sel:BYTE_3 src1_sel:DWORD
	s_mov_b32 s16, -1
	s_and_saveexec_b32 s23, s73
; %bb.7014:                             ;   in Loop: Header=BB4_6327 Depth=3
	s_xor_b32 s16, exec_lo, -1
; %bb.7015:                             ;   in Loop: Header=BB4_6327 Depth=3
	s_or_b32 exec_lo, exec_lo, s23
	s_and_b32 s16, s16, exec_lo
	s_or_saveexec_b32 s22, s22
	v_mov_b32_e32 v94, 0x7f800001
	s_xor_b32 exec_lo, exec_lo, s22
	s_cbranch_execnz .LBB4_7630
.LBB4_7016:                             ;   in Loop: Header=BB4_6327 Depth=3
	s_or_b32 exec_lo, exec_lo, s22
	s_and_saveexec_b32 s22, s16
	s_cbranch_execz .LBB4_7018
.LBB4_7017:                             ;   in Loop: Header=BB4_6327 Depth=3
	v_bfe_u32 v94, v12, 24, 3
	v_bfe_u32 v105, v12, 27, 4
	v_ffbh_u32_e32 v95, v94
	v_cmp_eq_u32_e32 vcc_lo, 0, v105
	v_min_u32_e32 v95, 32, v95
	v_subrev_nc_u32_e32 v104, 28, v95
	v_sub_nc_u32_e32 v95, 29, v95
	v_lshlrev_b32_sdwa v104, v104, v12 dst_sel:DWORD dst_unused:UNUSED_PAD src0_sel:DWORD src1_sel:BYTE_3
	v_cndmask_b32_e32 v95, v105, v95, vcc_lo
	v_and_b32_e32 v104, 7, v104
	v_lshl_add_u32 v95, v95, 23, 0x3b800000
	v_cndmask_b32_e32 v94, v94, v104, vcc_lo
	v_and_b32_e32 v104, 0x80000000, v12
	v_lshlrev_b32_e32 v94, 20, v94
	v_or3_b32 v94, v104, v95, v94
.LBB4_7018:                             ;   in Loop: Header=BB4_6327 Depth=3
	s_or_b32 exec_lo, exec_lo, s22
	s_waitcnt vmcnt(0)
	v_cmp_gt_i16_sdwa s22, v8, v117 src0_sel:BYTE_3 src1_sel:DWORD
	s_mov_b32 s16, 0
	s_and_saveexec_b32 s23, s22
	s_xor_b32 s22, exec_lo, s23
	s_cbranch_execz .LBB4_7631
; %bb.7019:                             ;   in Loop: Header=BB4_6327 Depth=3
	v_cmp_eq_u16_sdwa s73, v8, v118 src0_sel:BYTE_3 src1_sel:DWORD
	s_mov_b32 s16, -1
	s_and_saveexec_b32 s23, s73
; %bb.7020:                             ;   in Loop: Header=BB4_6327 Depth=3
	s_xor_b32 s16, exec_lo, -1
; %bb.7021:                             ;   in Loop: Header=BB4_6327 Depth=3
	s_or_b32 exec_lo, exec_lo, s23
	s_and_b32 s16, s16, exec_lo
	s_or_saveexec_b32 s22, s22
	v_mov_b32_e32 v95, 0x7f800001
	s_xor_b32 exec_lo, exec_lo, s22
	s_cbranch_execnz .LBB4_7632
.LBB4_7022:                             ;   in Loop: Header=BB4_6327 Depth=3
	s_or_b32 exec_lo, exec_lo, s22
	s_and_saveexec_b32 s22, s16
	s_cbranch_execz .LBB4_7024
.LBB4_7023:                             ;   in Loop: Header=BB4_6327 Depth=3
	v_bfe_u32 v95, v8, 24, 3
	v_bfe_u32 v106, v8, 27, 4
	v_ffbh_u32_e32 v104, v95
	v_cmp_eq_u32_e32 vcc_lo, 0, v106
	v_min_u32_e32 v104, 32, v104
	v_subrev_nc_u32_e32 v105, 28, v104
	v_sub_nc_u32_e32 v104, 29, v104
	v_lshlrev_b32_sdwa v105, v105, v8 dst_sel:DWORD dst_unused:UNUSED_PAD src0_sel:DWORD src1_sel:BYTE_3
	v_cndmask_b32_e32 v104, v106, v104, vcc_lo
	v_and_b32_e32 v105, 7, v105
	v_lshl_add_u32 v104, v104, 23, 0x3b800000
	v_cndmask_b32_e32 v95, v95, v105, vcc_lo
	v_and_b32_e32 v105, 0x80000000, v8
	v_lshlrev_b32_e32 v95, 20, v95
	v_or3_b32 v95, v105, v104, v95
.LBB4_7024:                             ;   in Loop: Header=BB4_6327 Depth=3
	s_or_b32 exec_lo, exec_lo, s22
	v_max_f32_e32 v95, v95, v95
	v_max_f32_e32 v94, v94, v94
	s_mov_b32 s16, 0
	v_max_f32_e32 v94, v94, v95
.LBB4_7025:                             ;   in Loop: Header=BB4_6327 Depth=3
	s_and_b32 vcc_lo, exec_lo, s16
	s_cbranch_vccz .LBB4_7039
; %bb.7026:                             ;   in Loop: Header=BB4_6327 Depth=3
	v_cmp_gt_i16_sdwa s22, v12, v117 src0_sel:BYTE_3 src1_sel:DWORD
	s_mov_b32 s16, 0
	s_and_saveexec_b32 s23, s22
	s_xor_b32 s22, exec_lo, s23
	s_cbranch_execz .LBB4_7633
; %bb.7027:                             ;   in Loop: Header=BB4_6327 Depth=3
	v_cmp_eq_u16_sdwa s73, v12, v118 src0_sel:BYTE_3 src1_sel:DWORD
	s_mov_b32 s16, -1
	s_and_saveexec_b32 s23, s73
; %bb.7028:                             ;   in Loop: Header=BB4_6327 Depth=3
	s_xor_b32 s16, exec_lo, -1
; %bb.7029:                             ;   in Loop: Header=BB4_6327 Depth=3
	s_or_b32 exec_lo, exec_lo, s23
	s_and_b32 s16, s16, exec_lo
	s_or_saveexec_b32 s22, s22
	v_mov_b32_e32 v94, 0x7f800001
	s_xor_b32 exec_lo, exec_lo, s22
	s_cbranch_execnz .LBB4_7634
.LBB4_7030:                             ;   in Loop: Header=BB4_6327 Depth=3
	s_or_b32 exec_lo, exec_lo, s22
	s_and_saveexec_b32 s22, s16
	s_cbranch_execz .LBB4_7032
.LBB4_7031:                             ;   in Loop: Header=BB4_6327 Depth=3
	v_bfe_u32 v94, v12, 24, 3
	v_bfe_u32 v105, v12, 27, 4
	v_ffbh_u32_e32 v95, v94
	v_cmp_eq_u32_e32 vcc_lo, 0, v105
	v_min_u32_e32 v95, 32, v95
	v_subrev_nc_u32_e32 v104, 28, v95
	v_sub_nc_u32_e32 v95, 29, v95
	v_lshlrev_b32_sdwa v104, v104, v12 dst_sel:DWORD dst_unused:UNUSED_PAD src0_sel:DWORD src1_sel:BYTE_3
	v_cndmask_b32_e32 v95, v105, v95, vcc_lo
	v_and_b32_e32 v12, 0x80000000, v12
	v_and_b32_e32 v104, 7, v104
	v_lshl_add_u32 v95, v95, 23, 0x3b800000
	v_cndmask_b32_e32 v94, v94, v104, vcc_lo
	v_lshlrev_b32_e32 v94, 20, v94
	v_or3_b32 v94, v12, v95, v94
.LBB4_7032:                             ;   in Loop: Header=BB4_6327 Depth=3
	s_or_b32 exec_lo, exec_lo, s22
	s_waitcnt vmcnt(0)
	v_cmp_gt_i16_sdwa s22, v8, v117 src0_sel:BYTE_3 src1_sel:DWORD
	s_mov_b32 s16, 0
	s_and_saveexec_b32 s23, s22
	s_xor_b32 s22, exec_lo, s23
	s_cbranch_execz .LBB4_7635
; %bb.7033:                             ;   in Loop: Header=BB4_6327 Depth=3
	v_cmp_eq_u16_sdwa s73, v8, v118 src0_sel:BYTE_3 src1_sel:DWORD
	s_mov_b32 s16, -1
	s_and_saveexec_b32 s23, s73
; %bb.7034:                             ;   in Loop: Header=BB4_6327 Depth=3
	s_xor_b32 s16, exec_lo, -1
; %bb.7035:                             ;   in Loop: Header=BB4_6327 Depth=3
	s_or_b32 exec_lo, exec_lo, s23
	s_and_b32 s16, s16, exec_lo
	s_or_saveexec_b32 s22, s22
	v_mov_b32_e32 v12, 0x7f800001
	s_xor_b32 exec_lo, exec_lo, s22
	s_cbranch_execnz .LBB4_7636
.LBB4_7036:                             ;   in Loop: Header=BB4_6327 Depth=3
	s_or_b32 exec_lo, exec_lo, s22
	s_and_saveexec_b32 s22, s16
	s_cbranch_execz .LBB4_7038
.LBB4_7037:                             ;   in Loop: Header=BB4_6327 Depth=3
	v_bfe_u32 v12, v8, 24, 3
	v_bfe_u32 v105, v8, 27, 4
	v_ffbh_u32_e32 v95, v12
	v_cmp_eq_u32_e32 vcc_lo, 0, v105
	v_min_u32_e32 v95, 32, v95
	v_subrev_nc_u32_e32 v104, 28, v95
	v_sub_nc_u32_e32 v95, 29, v95
	v_lshlrev_b32_sdwa v104, v104, v8 dst_sel:DWORD dst_unused:UNUSED_PAD src0_sel:DWORD src1_sel:BYTE_3
	v_cndmask_b32_e32 v95, v105, v95, vcc_lo
	v_and_b32_e32 v8, 0x80000000, v8
	v_and_b32_e32 v104, 7, v104
	v_lshl_add_u32 v95, v95, 23, 0x3b800000
	v_cndmask_b32_e32 v12, v12, v104, vcc_lo
	v_lshlrev_b32_e32 v12, 20, v12
	v_or3_b32 v12, v8, v95, v12
.LBB4_7038:                             ;   in Loop: Header=BB4_6327 Depth=3
	s_or_b32 exec_lo, exec_lo, s22
	v_max_f32_e32 v8, v12, v12
	v_max_f32_e32 v12, v94, v94
	v_min_f32_e32 v94, v12, v8
.LBB4_7039:                             ;   in Loop: Header=BB4_6327 Depth=3
	s_waitcnt vmcnt(0)
	v_and_b32_e32 v8, 0x7f800000, v94
	v_cmp_ne_u32_e32 vcc_lo, 0x7f800000, v8
	v_mov_b32_e32 v8, 0x8000
	s_and_saveexec_b32 s22, vcc_lo
	s_cbranch_execz .LBB4_7047
; %bb.7040:                             ;   in Loop: Header=BB4_6327 Depth=3
	v_mov_b32_e32 v8, 0
	s_mov_b32 s23, exec_lo
	v_cmpx_ne_u32_e32 0, v94
	s_cbranch_execz .LBB4_7046
; %bb.7041:                             ;   in Loop: Header=BB4_6327 Depth=3
	v_bfe_u32 v8, v94, 23, 8
	v_and_b32_e32 v12, 0x7fffff, v94
	v_sub_nc_u32_e32 v95, 0x78, v8
	v_cmp_gt_u32_e32 vcc_lo, 0x79, v8
	v_or_b32_e32 v104, 0x800000, v12
	v_cndmask_b32_e32 v95, 0, v95, vcc_lo
	v_cmp_eq_u32_e32 vcc_lo, 0, v8
	v_add_nc_u32_e32 v8, 0xffffff89, v8
	v_cndmask_b32_e64 v95, v95, 0x77, vcc_lo
	v_cndmask_b32_e32 v12, v104, v12, vcc_lo
	v_cndmask_b32_e64 v8, v8, 0xffffff8a, vcc_lo
	v_lshl_add_u32 v104, 0x100000, v95, -1
	v_lshrrev_b32_e32 v105, v95, v12
	v_lshlrev_b32_e64 v107, v95, 0x80000
	v_add_nc_u32_e32 v95, v95, v8
	v_and_b32_e32 v12, v104, v12
	v_bfe_u32 v106, v105, 20, 1
	v_cmp_eq_u32_e64 s16, v12, v107
	v_add_nc_u32_e32 v104, -1, v106
	v_cndmask_b32_e64 v12, 0, v104, s16
	v_lshrrev_b32_e32 v104, 23, v105
	s_mov_b32 s16, exec_lo
	v_add_nc_u32_e32 v12, v12, v105
	v_xor_b32_e32 v104, 1, v104
	v_and_b32_e32 v8, 0xfffff, v12
	v_add_nc_u32_e32 v12, v8, v105
                                        ; implicit-def: $vgpr8
	v_cmpx_ne_u32_e64 v95, v104
	s_xor_b32 s16, exec_lo, s16
; %bb.7042:                             ;   in Loop: Header=BB4_6327 Depth=3
	v_cmp_lt_u32_e32 vcc_lo, 0xffffff, v12
	v_sub_nc_u32_e32 v8, v95, v104
	v_cndmask_b32_e64 v95, 0, 1, vcc_lo
	v_add_co_ci_u32_e64 v8, null, 0, v8, vcc_lo
	v_lshrrev_b32_e32 v12, v95, v12
; %bb.7043:                             ;   in Loop: Header=BB4_6327 Depth=3
	s_andn2_saveexec_b32 s16, s16
; %bb.7044:                             ;   in Loop: Header=BB4_6327 Depth=3
	v_bfe_u32 v8, v12, 23, 1
; %bb.7045:                             ;   in Loop: Header=BB4_6327 Depth=3
	s_or_b32 exec_lo, exec_lo, s16
	v_lshrrev_b32_e32 v12, 20, v12
	v_min_i32_e32 v95, 15, v8
	v_cmp_gt_i32_e32 vcc_lo, 16, v8
	v_and_b32_sdwa v94, v94, v118 dst_sel:DWORD dst_unused:UNUSED_PAD src0_sel:BYTE_3 src1_sel:DWORD
	v_lshlrev_b32_e32 v95, 3, v95
	v_cndmask_b32_e32 v12, 7, v12, vcc_lo
	v_and_b32_e32 v95, 0xf8, v95
	v_and_b32_e32 v104, 7, v12
	v_or_b32_e32 v8, v8, v12
	v_or3_b32 v94, v94, v95, v104
	v_cmp_ne_u32_e32 vcc_lo, 0, v8
	v_lshlrev_b32_e32 v12, 8, v94
	v_cndmask_b32_e32 v8, 0, v12, vcc_lo
.LBB4_7046:                             ;   in Loop: Header=BB4_6327 Depth=3
	s_or_b32 exec_lo, exec_lo, s23
.LBB4_7047:                             ;   in Loop: Header=BB4_6327 Depth=3
	s_or_b32 exec_lo, exec_lo, s22
	v_cmp_gt_i16_sdwa s22, v13, v117 src0_sel:BYTE_0 src1_sel:DWORD
	s_andn2_b32 vcc_lo, exec_lo, s19
	s_mov_b32 s16, -1
                                        ; implicit-def: $vgpr94
	s_cbranch_vccnz .LBB4_7061
; %bb.7048:                             ;   in Loop: Header=BB4_6327 Depth=3
	s_mov_b32 s16, 0
	s_and_saveexec_b32 s23, s22
	s_xor_b32 s22, exec_lo, s23
	s_cbranch_execz .LBB4_7637
; %bb.7049:                             ;   in Loop: Header=BB4_6327 Depth=3
	v_cmp_eq_u16_sdwa s73, v13, v118 src0_sel:BYTE_0 src1_sel:DWORD
	s_mov_b32 s16, -1
	s_and_saveexec_b32 s23, s73
; %bb.7050:                             ;   in Loop: Header=BB4_6327 Depth=3
	s_xor_b32 s16, exec_lo, -1
; %bb.7051:                             ;   in Loop: Header=BB4_6327 Depth=3
	s_or_b32 exec_lo, exec_lo, s23
	s_and_b32 s16, s16, exec_lo
	s_or_saveexec_b32 s22, s22
	v_mov_b32_e32 v12, 0x7f800001
	s_xor_b32 exec_lo, exec_lo, s22
	s_cbranch_execnz .LBB4_7638
.LBB4_7052:                             ;   in Loop: Header=BB4_6327 Depth=3
	s_or_b32 exec_lo, exec_lo, s22
	s_and_saveexec_b32 s22, s16
	s_cbranch_execz .LBB4_7054
.LBB4_7053:                             ;   in Loop: Header=BB4_6327 Depth=3
	v_and_b32_e32 v12, 7, v13
	v_bfe_u32 v104, v13, 3, 4
	v_lshlrev_b32_e32 v105, 24, v13
	v_ffbh_u32_e32 v94, v12
	v_cmp_eq_u32_e32 vcc_lo, 0, v104
	v_min_u32_e32 v94, 32, v94
	v_subrev_nc_u32_e32 v95, 28, v94
	v_sub_nc_u32_e32 v94, 29, v94
	v_lshlrev_b32_e32 v95, v95, v13
	v_cndmask_b32_e32 v94, v104, v94, vcc_lo
	v_and_b32_e32 v95, 7, v95
	v_lshl_add_u32 v94, v94, 23, 0x3b800000
	v_cndmask_b32_e32 v12, v12, v95, vcc_lo
	v_and_b32_e32 v95, 0x80000000, v105
	v_lshlrev_b32_e32 v12, 20, v12
	v_or3_b32 v12, v95, v94, v12
.LBB4_7054:                             ;   in Loop: Header=BB4_6327 Depth=3
	s_or_b32 exec_lo, exec_lo, s22
	v_cmp_gt_i16_sdwa s22, v9, v117 src0_sel:BYTE_0 src1_sel:DWORD
	s_mov_b32 s16, 0
	s_and_saveexec_b32 s23, s22
	s_xor_b32 s22, exec_lo, s23
	s_cbranch_execz .LBB4_7639
; %bb.7055:                             ;   in Loop: Header=BB4_6327 Depth=3
	v_cmp_eq_u16_sdwa s73, v9, v118 src0_sel:BYTE_0 src1_sel:DWORD
	s_mov_b32 s16, -1
	s_and_saveexec_b32 s23, s73
; %bb.7056:                             ;   in Loop: Header=BB4_6327 Depth=3
	s_xor_b32 s16, exec_lo, -1
; %bb.7057:                             ;   in Loop: Header=BB4_6327 Depth=3
	s_or_b32 exec_lo, exec_lo, s23
	s_and_b32 s16, s16, exec_lo
	s_or_saveexec_b32 s22, s22
	v_mov_b32_e32 v94, 0x7f800001
	s_xor_b32 exec_lo, exec_lo, s22
	s_cbranch_execnz .LBB4_7640
.LBB4_7058:                             ;   in Loop: Header=BB4_6327 Depth=3
	s_or_b32 exec_lo, exec_lo, s22
	s_and_saveexec_b32 s22, s16
	s_cbranch_execz .LBB4_7060
.LBB4_7059:                             ;   in Loop: Header=BB4_6327 Depth=3
	v_and_b32_e32 v94, 7, v9
	v_bfe_u32 v105, v9, 3, 4
	v_lshlrev_b32_e32 v106, 24, v9
	v_ffbh_u32_e32 v95, v94
	v_cmp_eq_u32_e32 vcc_lo, 0, v105
	v_min_u32_e32 v95, 32, v95
	v_subrev_nc_u32_e32 v104, 28, v95
	v_sub_nc_u32_e32 v95, 29, v95
	v_lshlrev_b32_e32 v104, v104, v9
	v_cndmask_b32_e32 v95, v105, v95, vcc_lo
	v_and_b32_e32 v104, 7, v104
	v_lshl_add_u32 v95, v95, 23, 0x3b800000
	v_cndmask_b32_e32 v94, v94, v104, vcc_lo
	v_and_b32_e32 v104, 0x80000000, v106
	v_lshlrev_b32_e32 v94, 20, v94
	v_or3_b32 v94, v104, v95, v94
.LBB4_7060:                             ;   in Loop: Header=BB4_6327 Depth=3
	s_or_b32 exec_lo, exec_lo, s22
	v_max_f32_e32 v94, v94, v94
	v_max_f32_e32 v12, v12, v12
	s_mov_b32 s16, 0
	v_max_f32_e32 v94, v12, v94
.LBB4_7061:                             ;   in Loop: Header=BB4_6327 Depth=3
	s_and_b32 vcc_lo, exec_lo, s16
	s_cbranch_vccz .LBB4_7075
; %bb.7062:                             ;   in Loop: Header=BB4_6327 Depth=3
	v_cmp_gt_i16_sdwa s22, v13, v117 src0_sel:BYTE_0 src1_sel:DWORD
	s_mov_b32 s16, 0
	s_and_saveexec_b32 s23, s22
	s_xor_b32 s22, exec_lo, s23
	s_cbranch_execz .LBB4_7641
; %bb.7063:                             ;   in Loop: Header=BB4_6327 Depth=3
	v_cmp_eq_u16_sdwa s73, v13, v118 src0_sel:BYTE_0 src1_sel:DWORD
	s_mov_b32 s16, -1
	s_and_saveexec_b32 s23, s73
; %bb.7064:                             ;   in Loop: Header=BB4_6327 Depth=3
	s_xor_b32 s16, exec_lo, -1
; %bb.7065:                             ;   in Loop: Header=BB4_6327 Depth=3
	s_or_b32 exec_lo, exec_lo, s23
	s_and_b32 s16, s16, exec_lo
	s_or_saveexec_b32 s22, s22
	v_mov_b32_e32 v12, 0x7f800001
	s_xor_b32 exec_lo, exec_lo, s22
	s_cbranch_execnz .LBB4_7642
.LBB4_7066:                             ;   in Loop: Header=BB4_6327 Depth=3
	s_or_b32 exec_lo, exec_lo, s22
	s_and_saveexec_b32 s22, s16
	s_cbranch_execz .LBB4_7068
.LBB4_7067:                             ;   in Loop: Header=BB4_6327 Depth=3
	v_and_b32_e32 v12, 7, v13
	v_bfe_u32 v104, v13, 3, 4
	v_lshlrev_b32_e32 v105, 24, v13
	v_ffbh_u32_e32 v94, v12
	v_cmp_eq_u32_e32 vcc_lo, 0, v104
	v_min_u32_e32 v94, 32, v94
	v_subrev_nc_u32_e32 v95, 28, v94
	v_sub_nc_u32_e32 v94, 29, v94
	v_lshlrev_b32_e32 v95, v95, v13
	v_cndmask_b32_e32 v94, v104, v94, vcc_lo
	v_and_b32_e32 v95, 7, v95
	v_lshl_add_u32 v94, v94, 23, 0x3b800000
	v_cndmask_b32_e32 v12, v12, v95, vcc_lo
	v_and_b32_e32 v95, 0x80000000, v105
	v_lshlrev_b32_e32 v12, 20, v12
	v_or3_b32 v12, v95, v94, v12
.LBB4_7068:                             ;   in Loop: Header=BB4_6327 Depth=3
	s_or_b32 exec_lo, exec_lo, s22
	v_cmp_gt_i16_sdwa s22, v9, v117 src0_sel:BYTE_0 src1_sel:DWORD
	s_mov_b32 s16, 0
	s_and_saveexec_b32 s23, s22
	s_xor_b32 s22, exec_lo, s23
	s_cbranch_execz .LBB4_7643
; %bb.7069:                             ;   in Loop: Header=BB4_6327 Depth=3
	v_cmp_eq_u16_sdwa s73, v9, v118 src0_sel:BYTE_0 src1_sel:DWORD
	s_mov_b32 s16, -1
	s_and_saveexec_b32 s23, s73
; %bb.7070:                             ;   in Loop: Header=BB4_6327 Depth=3
	s_xor_b32 s16, exec_lo, -1
; %bb.7071:                             ;   in Loop: Header=BB4_6327 Depth=3
	s_or_b32 exec_lo, exec_lo, s23
	s_and_b32 s16, s16, exec_lo
	s_or_saveexec_b32 s22, s22
	v_mov_b32_e32 v94, 0x7f800001
	s_xor_b32 exec_lo, exec_lo, s22
	s_cbranch_execnz .LBB4_7644
.LBB4_7072:                             ;   in Loop: Header=BB4_6327 Depth=3
	s_or_b32 exec_lo, exec_lo, s22
	s_and_saveexec_b32 s22, s16
	s_cbranch_execz .LBB4_7074
.LBB4_7073:                             ;   in Loop: Header=BB4_6327 Depth=3
	v_and_b32_e32 v94, 7, v9
	v_bfe_u32 v105, v9, 3, 4
	v_lshlrev_b32_e32 v106, 24, v9
	v_ffbh_u32_e32 v95, v94
	v_cmp_eq_u32_e32 vcc_lo, 0, v105
	v_min_u32_e32 v95, 32, v95
	v_subrev_nc_u32_e32 v104, 28, v95
	v_sub_nc_u32_e32 v95, 29, v95
	v_lshlrev_b32_e32 v104, v104, v9
	v_cndmask_b32_e32 v95, v105, v95, vcc_lo
	v_and_b32_e32 v104, 7, v104
	v_lshl_add_u32 v95, v95, 23, 0x3b800000
	v_cndmask_b32_e32 v94, v94, v104, vcc_lo
	v_and_b32_e32 v104, 0x80000000, v106
	v_lshlrev_b32_e32 v94, 20, v94
	v_or3_b32 v94, v104, v95, v94
.LBB4_7074:                             ;   in Loop: Header=BB4_6327 Depth=3
	s_or_b32 exec_lo, exec_lo, s22
	v_max_f32_e32 v94, v94, v94
	v_max_f32_e32 v12, v12, v12
	v_min_f32_e32 v94, v12, v94
.LBB4_7075:                             ;   in Loop: Header=BB4_6327 Depth=3
	v_and_b32_e32 v12, 0x7f800000, v94
	v_cmp_ne_u32_e32 vcc_lo, 0x7f800000, v12
	v_mov_b32_e32 v12, 0x80
	s_and_saveexec_b32 s22, vcc_lo
	s_cbranch_execz .LBB4_7083
; %bb.7076:                             ;   in Loop: Header=BB4_6327 Depth=3
	v_mov_b32_e32 v12, 0
	s_mov_b32 s23, exec_lo
	v_cmpx_ne_u32_e32 0, v94
	s_cbranch_execz .LBB4_7082
; %bb.7077:                             ;   in Loop: Header=BB4_6327 Depth=3
	v_bfe_u32 v12, v94, 23, 8
	v_and_b32_e32 v95, 0x7fffff, v94
	v_sub_nc_u32_e32 v104, 0x78, v12
	v_cmp_gt_u32_e32 vcc_lo, 0x79, v12
	v_or_b32_e32 v105, 0x800000, v95
	v_cndmask_b32_e32 v104, 0, v104, vcc_lo
	v_cmp_eq_u32_e32 vcc_lo, 0, v12
	v_add_nc_u32_e32 v12, 0xffffff89, v12
	v_cndmask_b32_e64 v104, v104, 0x77, vcc_lo
	v_cndmask_b32_e32 v95, v105, v95, vcc_lo
	v_cndmask_b32_e64 v12, v12, 0xffffff8a, vcc_lo
	v_lshl_add_u32 v105, 0x100000, v104, -1
	v_lshrrev_b32_e32 v106, v104, v95
	v_lshlrev_b32_e64 v108, v104, 0x80000
	v_add_nc_u32_e32 v104, v104, v12
	v_and_b32_e32 v95, v105, v95
	v_bfe_u32 v107, v106, 20, 1
	v_cmp_eq_u32_e64 s16, v95, v108
	v_add_nc_u32_e32 v105, -1, v107
	v_cndmask_b32_e64 v95, 0, v105, s16
	v_lshrrev_b32_e32 v105, 23, v106
	s_mov_b32 s16, exec_lo
	v_add_nc_u32_e32 v95, v95, v106
	v_xor_b32_e32 v105, 1, v105
	v_and_b32_e32 v12, 0xfffff, v95
	v_add_nc_u32_e32 v95, v12, v106
                                        ; implicit-def: $vgpr12
	v_cmpx_ne_u32_e64 v104, v105
	s_xor_b32 s16, exec_lo, s16
; %bb.7078:                             ;   in Loop: Header=BB4_6327 Depth=3
	v_cmp_lt_u32_e32 vcc_lo, 0xffffff, v95
	v_sub_nc_u32_e32 v12, v104, v105
	v_cndmask_b32_e64 v104, 0, 1, vcc_lo
	v_add_co_ci_u32_e64 v12, null, 0, v12, vcc_lo
	v_lshrrev_b32_e32 v95, v104, v95
; %bb.7079:                             ;   in Loop: Header=BB4_6327 Depth=3
	s_andn2_saveexec_b32 s16, s16
; %bb.7080:                             ;   in Loop: Header=BB4_6327 Depth=3
	v_bfe_u32 v12, v95, 23, 1
; %bb.7081:                             ;   in Loop: Header=BB4_6327 Depth=3
	s_or_b32 exec_lo, exec_lo, s16
	v_lshrrev_b32_e32 v95, 20, v95
	v_min_i32_e32 v104, 15, v12
	v_cmp_gt_i32_e32 vcc_lo, 16, v12
	v_and_b32_sdwa v94, v94, v118 dst_sel:DWORD dst_unused:UNUSED_PAD src0_sel:BYTE_3 src1_sel:DWORD
	v_lshlrev_b32_e32 v104, 3, v104
	v_cndmask_b32_e32 v95, 7, v95, vcc_lo
	v_and_b32_e32 v104, 0xf8, v104
	v_and_b32_e32 v105, 7, v95
	v_or_b32_e32 v12, v12, v95
	v_or3_b32 v94, v104, v94, v105
	v_cmp_ne_u32_e32 vcc_lo, 0, v12
	v_cndmask_b32_e32 v12, 0, v94, vcc_lo
.LBB4_7082:                             ;   in Loop: Header=BB4_6327 Depth=3
	s_or_b32 exec_lo, exec_lo, s23
.LBB4_7083:                             ;   in Loop: Header=BB4_6327 Depth=3
	s_or_b32 exec_lo, exec_lo, s22
	v_cmp_gt_i16_sdwa s22, v13, v117 src0_sel:BYTE_1 src1_sel:DWORD
	s_andn2_b32 vcc_lo, exec_lo, s19
	s_mov_b32 s16, -1
                                        ; implicit-def: $vgpr95
	s_cbranch_vccnz .LBB4_7097
; %bb.7084:                             ;   in Loop: Header=BB4_6327 Depth=3
	s_mov_b32 s16, 0
	s_and_saveexec_b32 s23, s22
	s_xor_b32 s22, exec_lo, s23
	s_cbranch_execz .LBB4_7645
; %bb.7085:                             ;   in Loop: Header=BB4_6327 Depth=3
	v_cmp_eq_u16_sdwa s73, v13, v118 src0_sel:BYTE_1 src1_sel:DWORD
	s_mov_b32 s16, -1
	s_and_saveexec_b32 s23, s73
; %bb.7086:                             ;   in Loop: Header=BB4_6327 Depth=3
	s_xor_b32 s16, exec_lo, -1
; %bb.7087:                             ;   in Loop: Header=BB4_6327 Depth=3
	s_or_b32 exec_lo, exec_lo, s23
	s_and_b32 s16, s16, exec_lo
	s_or_saveexec_b32 s22, s22
	v_mov_b32_e32 v94, 0x7f800001
	s_xor_b32 exec_lo, exec_lo, s22
	s_cbranch_execnz .LBB4_7646
.LBB4_7088:                             ;   in Loop: Header=BB4_6327 Depth=3
	s_or_b32 exec_lo, exec_lo, s22
	s_and_saveexec_b32 s22, s16
	s_cbranch_execz .LBB4_7090
.LBB4_7089:                             ;   in Loop: Header=BB4_6327 Depth=3
	v_and_b32_sdwa v94, v119, v13 dst_sel:DWORD dst_unused:UNUSED_PAD src0_sel:DWORD src1_sel:BYTE_1
	v_and_b32_e32 v95, 7, v94
	v_bfe_u32 v106, v94, 3, 4
	v_ffbh_u32_e32 v104, v95
	v_cmp_eq_u32_e32 vcc_lo, 0, v106
	v_min_u32_e32 v104, 32, v104
	v_subrev_nc_u32_e32 v105, 28, v104
	v_sub_nc_u32_e32 v104, 29, v104
	v_lshlrev_b32_e32 v94, v105, v94
	v_lshlrev_b32_e32 v105, 16, v13
	v_cndmask_b32_e32 v104, v106, v104, vcc_lo
	v_and_b32_e32 v94, 7, v94
	v_lshl_add_u32 v104, v104, 23, 0x3b800000
	v_cndmask_b32_e32 v94, v95, v94, vcc_lo
	v_and_b32_e32 v95, 0x80000000, v105
	v_lshlrev_b32_e32 v94, 20, v94
	v_or3_b32 v94, v95, v104, v94
.LBB4_7090:                             ;   in Loop: Header=BB4_6327 Depth=3
	s_or_b32 exec_lo, exec_lo, s22
	v_cmp_gt_i16_sdwa s22, v9, v117 src0_sel:BYTE_1 src1_sel:DWORD
	s_mov_b32 s16, 0
	s_and_saveexec_b32 s23, s22
	s_xor_b32 s22, exec_lo, s23
	s_cbranch_execz .LBB4_7647
; %bb.7091:                             ;   in Loop: Header=BB4_6327 Depth=3
	v_cmp_eq_u16_sdwa s73, v9, v118 src0_sel:BYTE_1 src1_sel:DWORD
	s_mov_b32 s16, -1
	s_and_saveexec_b32 s23, s73
; %bb.7092:                             ;   in Loop: Header=BB4_6327 Depth=3
	s_xor_b32 s16, exec_lo, -1
; %bb.7093:                             ;   in Loop: Header=BB4_6327 Depth=3
	s_or_b32 exec_lo, exec_lo, s23
	s_and_b32 s16, s16, exec_lo
	s_or_saveexec_b32 s22, s22
	v_mov_b32_e32 v95, 0x7f800001
	s_xor_b32 exec_lo, exec_lo, s22
	s_cbranch_execnz .LBB4_7648
.LBB4_7094:                             ;   in Loop: Header=BB4_6327 Depth=3
	s_or_b32 exec_lo, exec_lo, s22
	s_and_saveexec_b32 s22, s16
	s_cbranch_execz .LBB4_7096
.LBB4_7095:                             ;   in Loop: Header=BB4_6327 Depth=3
	v_and_b32_sdwa v95, v119, v9 dst_sel:DWORD dst_unused:UNUSED_PAD src0_sel:DWORD src1_sel:BYTE_1
	v_and_b32_e32 v104, 7, v95
	v_bfe_u32 v107, v95, 3, 4
	v_ffbh_u32_e32 v105, v104
	v_cmp_eq_u32_e32 vcc_lo, 0, v107
	v_min_u32_e32 v105, 32, v105
	v_subrev_nc_u32_e32 v106, 28, v105
	v_sub_nc_u32_e32 v105, 29, v105
	v_lshlrev_b32_e32 v95, v106, v95
	v_lshlrev_b32_e32 v106, 16, v9
	v_cndmask_b32_e32 v105, v107, v105, vcc_lo
	v_and_b32_e32 v95, 7, v95
	v_lshl_add_u32 v105, v105, 23, 0x3b800000
	v_cndmask_b32_e32 v95, v104, v95, vcc_lo
	v_and_b32_e32 v104, 0x80000000, v106
	v_lshlrev_b32_e32 v95, 20, v95
	v_or3_b32 v95, v104, v105, v95
.LBB4_7096:                             ;   in Loop: Header=BB4_6327 Depth=3
	s_or_b32 exec_lo, exec_lo, s22
	v_max_f32_e32 v95, v95, v95
	v_max_f32_e32 v94, v94, v94
	s_mov_b32 s16, 0
	v_max_f32_e32 v95, v94, v95
.LBB4_7097:                             ;   in Loop: Header=BB4_6327 Depth=3
	s_and_b32 vcc_lo, exec_lo, s16
	s_cbranch_vccz .LBB4_7111
; %bb.7098:                             ;   in Loop: Header=BB4_6327 Depth=3
	v_cmp_gt_i16_sdwa s22, v13, v117 src0_sel:BYTE_1 src1_sel:DWORD
	s_mov_b32 s16, 0
	s_and_saveexec_b32 s23, s22
	s_xor_b32 s22, exec_lo, s23
	s_cbranch_execz .LBB4_7649
; %bb.7099:                             ;   in Loop: Header=BB4_6327 Depth=3
	v_cmp_eq_u16_sdwa s73, v13, v118 src0_sel:BYTE_1 src1_sel:DWORD
	s_mov_b32 s16, -1
	s_and_saveexec_b32 s23, s73
; %bb.7100:                             ;   in Loop: Header=BB4_6327 Depth=3
	s_xor_b32 s16, exec_lo, -1
; %bb.7101:                             ;   in Loop: Header=BB4_6327 Depth=3
	s_or_b32 exec_lo, exec_lo, s23
	s_and_b32 s16, s16, exec_lo
	s_or_saveexec_b32 s22, s22
	v_mov_b32_e32 v94, 0x7f800001
	s_xor_b32 exec_lo, exec_lo, s22
	s_cbranch_execnz .LBB4_7650
.LBB4_7102:                             ;   in Loop: Header=BB4_6327 Depth=3
	s_or_b32 exec_lo, exec_lo, s22
	s_and_saveexec_b32 s22, s16
	s_cbranch_execz .LBB4_7104
.LBB4_7103:                             ;   in Loop: Header=BB4_6327 Depth=3
	v_and_b32_sdwa v94, v119, v13 dst_sel:DWORD dst_unused:UNUSED_PAD src0_sel:DWORD src1_sel:BYTE_1
	v_and_b32_e32 v95, 7, v94
	v_bfe_u32 v106, v94, 3, 4
	v_ffbh_u32_e32 v104, v95
	v_cmp_eq_u32_e32 vcc_lo, 0, v106
	v_min_u32_e32 v104, 32, v104
	v_subrev_nc_u32_e32 v105, 28, v104
	v_sub_nc_u32_e32 v104, 29, v104
	v_lshlrev_b32_e32 v94, v105, v94
	v_lshlrev_b32_e32 v105, 16, v13
	v_cndmask_b32_e32 v104, v106, v104, vcc_lo
	v_and_b32_e32 v94, 7, v94
	v_lshl_add_u32 v104, v104, 23, 0x3b800000
	v_cndmask_b32_e32 v94, v95, v94, vcc_lo
	v_and_b32_e32 v95, 0x80000000, v105
	v_lshlrev_b32_e32 v94, 20, v94
	v_or3_b32 v94, v95, v104, v94
.LBB4_7104:                             ;   in Loop: Header=BB4_6327 Depth=3
	s_or_b32 exec_lo, exec_lo, s22
	v_cmp_gt_i16_sdwa s22, v9, v117 src0_sel:BYTE_1 src1_sel:DWORD
	s_mov_b32 s16, 0
	s_and_saveexec_b32 s23, s22
	s_xor_b32 s22, exec_lo, s23
	s_cbranch_execz .LBB4_7651
; %bb.7105:                             ;   in Loop: Header=BB4_6327 Depth=3
	v_cmp_eq_u16_sdwa s73, v9, v118 src0_sel:BYTE_1 src1_sel:DWORD
	s_mov_b32 s16, -1
	s_and_saveexec_b32 s23, s73
; %bb.7106:                             ;   in Loop: Header=BB4_6327 Depth=3
	s_xor_b32 s16, exec_lo, -1
; %bb.7107:                             ;   in Loop: Header=BB4_6327 Depth=3
	s_or_b32 exec_lo, exec_lo, s23
	s_and_b32 s16, s16, exec_lo
	s_or_saveexec_b32 s22, s22
	v_mov_b32_e32 v95, 0x7f800001
	s_xor_b32 exec_lo, exec_lo, s22
	s_cbranch_execnz .LBB4_7652
.LBB4_7108:                             ;   in Loop: Header=BB4_6327 Depth=3
	s_or_b32 exec_lo, exec_lo, s22
	s_and_saveexec_b32 s22, s16
	s_cbranch_execz .LBB4_7110
.LBB4_7109:                             ;   in Loop: Header=BB4_6327 Depth=3
	v_and_b32_sdwa v95, v119, v9 dst_sel:DWORD dst_unused:UNUSED_PAD src0_sel:DWORD src1_sel:BYTE_1
	v_and_b32_e32 v104, 7, v95
	v_bfe_u32 v107, v95, 3, 4
	v_ffbh_u32_e32 v105, v104
	v_cmp_eq_u32_e32 vcc_lo, 0, v107
	v_min_u32_e32 v105, 32, v105
	v_subrev_nc_u32_e32 v106, 28, v105
	v_sub_nc_u32_e32 v105, 29, v105
	v_lshlrev_b32_e32 v95, v106, v95
	v_lshlrev_b32_e32 v106, 16, v9
	v_cndmask_b32_e32 v105, v107, v105, vcc_lo
	v_and_b32_e32 v95, 7, v95
	v_lshl_add_u32 v105, v105, 23, 0x3b800000
	v_cndmask_b32_e32 v95, v104, v95, vcc_lo
	v_and_b32_e32 v104, 0x80000000, v106
	v_lshlrev_b32_e32 v95, 20, v95
	v_or3_b32 v95, v104, v105, v95
.LBB4_7110:                             ;   in Loop: Header=BB4_6327 Depth=3
	s_or_b32 exec_lo, exec_lo, s22
	v_max_f32_e32 v95, v95, v95
	v_max_f32_e32 v94, v94, v94
	v_min_f32_e32 v95, v94, v95
.LBB4_7111:                             ;   in Loop: Header=BB4_6327 Depth=3
	v_and_b32_e32 v94, 0x7f800000, v95
	v_cmp_ne_u32_e32 vcc_lo, 0x7f800000, v94
	v_mov_b32_e32 v94, 0x8000
	s_and_saveexec_b32 s22, vcc_lo
	s_cbranch_execz .LBB4_7119
; %bb.7112:                             ;   in Loop: Header=BB4_6327 Depth=3
	v_mov_b32_e32 v94, 0
	s_mov_b32 s23, exec_lo
	v_cmpx_ne_u32_e32 0, v95
	s_cbranch_execz .LBB4_7118
; %bb.7113:                             ;   in Loop: Header=BB4_6327 Depth=3
	v_bfe_u32 v94, v95, 23, 8
	v_and_b32_e32 v104, 0x7fffff, v95
	v_sub_nc_u32_e32 v105, 0x78, v94
	v_cmp_gt_u32_e32 vcc_lo, 0x79, v94
	v_or_b32_e32 v106, 0x800000, v104
	v_cndmask_b32_e32 v105, 0, v105, vcc_lo
	v_cmp_eq_u32_e32 vcc_lo, 0, v94
	v_add_nc_u32_e32 v94, 0xffffff89, v94
	v_cndmask_b32_e64 v105, v105, 0x77, vcc_lo
	v_cndmask_b32_e32 v104, v106, v104, vcc_lo
	v_cndmask_b32_e64 v94, v94, 0xffffff8a, vcc_lo
	v_lshl_add_u32 v106, 0x100000, v105, -1
	v_lshrrev_b32_e32 v107, v105, v104
	v_lshlrev_b32_e64 v109, v105, 0x80000
	v_add_nc_u32_e32 v105, v105, v94
	v_and_b32_e32 v104, v106, v104
	v_bfe_u32 v108, v107, 20, 1
	v_cmp_eq_u32_e64 s16, v104, v109
	v_add_nc_u32_e32 v106, -1, v108
	v_cndmask_b32_e64 v104, 0, v106, s16
	v_lshrrev_b32_e32 v106, 23, v107
	s_mov_b32 s16, exec_lo
	v_add_nc_u32_e32 v104, v104, v107
	v_xor_b32_e32 v106, 1, v106
	v_and_b32_e32 v94, 0xfffff, v104
	v_add_nc_u32_e32 v104, v94, v107
                                        ; implicit-def: $vgpr94
	v_cmpx_ne_u32_e64 v105, v106
	s_xor_b32 s16, exec_lo, s16
; %bb.7114:                             ;   in Loop: Header=BB4_6327 Depth=3
	v_cmp_lt_u32_e32 vcc_lo, 0xffffff, v104
	v_sub_nc_u32_e32 v94, v105, v106
	v_cndmask_b32_e64 v105, 0, 1, vcc_lo
	v_add_co_ci_u32_e64 v94, null, 0, v94, vcc_lo
	v_lshrrev_b32_e32 v104, v105, v104
; %bb.7115:                             ;   in Loop: Header=BB4_6327 Depth=3
	s_andn2_saveexec_b32 s16, s16
; %bb.7116:                             ;   in Loop: Header=BB4_6327 Depth=3
	v_bfe_u32 v94, v104, 23, 1
; %bb.7117:                             ;   in Loop: Header=BB4_6327 Depth=3
	s_or_b32 exec_lo, exec_lo, s16
	v_lshrrev_b32_e32 v104, 20, v104
	v_min_i32_e32 v105, 15, v94
	v_cmp_gt_i32_e32 vcc_lo, 16, v94
	v_and_b32_sdwa v95, v95, v118 dst_sel:DWORD dst_unused:UNUSED_PAD src0_sel:BYTE_3 src1_sel:DWORD
	v_lshlrev_b32_e32 v105, 3, v105
	v_cndmask_b32_e32 v104, 7, v104, vcc_lo
	v_and_b32_e32 v105, 0xf8, v105
	v_and_b32_e32 v106, 7, v104
	v_or_b32_e32 v94, v94, v104
	v_or3_b32 v95, v95, v105, v106
	v_cmp_ne_u32_e32 vcc_lo, 0, v94
	v_lshlrev_b32_e32 v95, 8, v95
	v_cndmask_b32_e32 v94, 0, v95, vcc_lo
.LBB4_7118:                             ;   in Loop: Header=BB4_6327 Depth=3
	s_or_b32 exec_lo, exec_lo, s23
.LBB4_7119:                             ;   in Loop: Header=BB4_6327 Depth=3
	s_or_b32 exec_lo, exec_lo, s22
	v_and_b32_sdwa v95, v13, v40 dst_sel:DWORD dst_unused:UNUSED_PAD src0_sel:WORD_1 src1_sel:DWORD
	s_andn2_b32 vcc_lo, exec_lo, s19
	s_mov_b32 s22, -1
                                        ; implicit-def: $vgpr104
	v_cmp_lt_i16_e64 s16, 0x7f, v95
	s_cbranch_vccnz .LBB4_7133
; %bb.7120:                             ;   in Loop: Header=BB4_6327 Depth=3
	s_mov_b32 s22, 0
	s_and_saveexec_b32 s23, s16
	s_xor_b32 s16, exec_lo, s23
	s_cbranch_execz .LBB4_7653
; %bb.7121:                             ;   in Loop: Header=BB4_6327 Depth=3
	s_mov_b32 s22, -1
	s_mov_b32 s23, exec_lo
	v_cmpx_eq_u16_e32 0x80, v95
; %bb.7122:                             ;   in Loop: Header=BB4_6327 Depth=3
	s_xor_b32 s22, exec_lo, -1
; %bb.7123:                             ;   in Loop: Header=BB4_6327 Depth=3
	s_or_b32 exec_lo, exec_lo, s23
	s_and_b32 s22, s22, exec_lo
	s_or_saveexec_b32 s16, s16
	v_mov_b32_e32 v104, 0x7f800001
	s_xor_b32 exec_lo, exec_lo, s16
	s_cbranch_execnz .LBB4_7654
.LBB4_7124:                             ;   in Loop: Header=BB4_6327 Depth=3
	s_or_b32 exec_lo, exec_lo, s16
	s_and_saveexec_b32 s16, s22
	s_cbranch_execz .LBB4_7126
.LBB4_7125:                             ;   in Loop: Header=BB4_6327 Depth=3
	v_bfe_u32 v104, v13, 16, 3
	v_bfe_u32 v107, v13, 19, 4
	v_lshlrev_b32_sdwa v108, v41, v13 dst_sel:DWORD dst_unused:UNUSED_PAD src0_sel:DWORD src1_sel:WORD_1
	v_ffbh_u32_e32 v105, v104
	v_cmp_eq_u32_e32 vcc_lo, 0, v107
	v_min_u32_e32 v105, 32, v105
	v_subrev_nc_u32_e32 v106, 28, v105
	v_sub_nc_u32_e32 v105, 29, v105
	v_lshlrev_b32_sdwa v106, v106, v13 dst_sel:DWORD dst_unused:UNUSED_PAD src0_sel:DWORD src1_sel:WORD_1
	v_cndmask_b32_e32 v105, v107, v105, vcc_lo
	v_and_b32_e32 v106, 7, v106
	v_lshl_add_u32 v105, v105, 23, 0x3b800000
	v_cndmask_b32_e32 v104, v104, v106, vcc_lo
	v_and_b32_e32 v106, 0x80000000, v108
	v_lshlrev_b32_e32 v104, 20, v104
	v_or3_b32 v104, v106, v105, v104
.LBB4_7126:                             ;   in Loop: Header=BB4_6327 Depth=3
	s_or_b32 exec_lo, exec_lo, s16
	v_and_b32_sdwa v106, v9, v40 dst_sel:DWORD dst_unused:UNUSED_PAD src0_sel:WORD_1 src1_sel:DWORD
	s_mov_b32 s16, 0
	s_mov_b32 s22, exec_lo
	v_cmpx_lt_i16_e32 0x7f, v106
	s_xor_b32 s22, exec_lo, s22
	s_cbranch_execz .LBB4_7655
; %bb.7127:                             ;   in Loop: Header=BB4_6327 Depth=3
	s_mov_b32 s16, -1
	s_mov_b32 s23, exec_lo
	v_cmpx_eq_u16_e32 0x80, v106
; %bb.7128:                             ;   in Loop: Header=BB4_6327 Depth=3
	s_xor_b32 s16, exec_lo, -1
; %bb.7129:                             ;   in Loop: Header=BB4_6327 Depth=3
	s_or_b32 exec_lo, exec_lo, s23
	s_and_b32 s16, s16, exec_lo
                                        ; implicit-def: $vgpr106
	s_or_saveexec_b32 s22, s22
	v_mov_b32_e32 v105, 0x7f800001
	s_xor_b32 exec_lo, exec_lo, s22
	s_cbranch_execnz .LBB4_7656
.LBB4_7130:                             ;   in Loop: Header=BB4_6327 Depth=3
	s_or_b32 exec_lo, exec_lo, s22
	s_and_saveexec_b32 s22, s16
	s_cbranch_execz .LBB4_7132
.LBB4_7131:                             ;   in Loop: Header=BB4_6327 Depth=3
	v_bfe_u32 v105, v9, 16, 3
	v_bfe_u32 v108, v9, 19, 4
	v_lshlrev_b32_sdwa v109, v41, v9 dst_sel:DWORD dst_unused:UNUSED_PAD src0_sel:DWORD src1_sel:WORD_1
	v_ffbh_u32_e32 v106, v105
	v_cmp_eq_u32_e32 vcc_lo, 0, v108
	v_min_u32_e32 v106, 32, v106
	v_subrev_nc_u32_e32 v107, 28, v106
	v_sub_nc_u32_e32 v106, 29, v106
	v_lshlrev_b32_sdwa v107, v107, v9 dst_sel:DWORD dst_unused:UNUSED_PAD src0_sel:DWORD src1_sel:WORD_1
	v_cndmask_b32_e32 v106, v108, v106, vcc_lo
	v_and_b32_e32 v107, 7, v107
	v_lshl_add_u32 v106, v106, 23, 0x3b800000
	v_cndmask_b32_e32 v105, v105, v107, vcc_lo
	v_and_b32_e32 v107, 0x80000000, v109
	v_lshlrev_b32_e32 v105, 20, v105
	v_or3_b32 v105, v107, v106, v105
.LBB4_7132:                             ;   in Loop: Header=BB4_6327 Depth=3
	s_or_b32 exec_lo, exec_lo, s22
	v_max_f32_e32 v105, v105, v105
	v_max_f32_e32 v104, v104, v104
	s_mov_b32 s22, 0
	v_max_f32_e32 v104, v104, v105
.LBB4_7133:                             ;   in Loop: Header=BB4_6327 Depth=3
	s_and_b32 vcc_lo, exec_lo, s22
	s_cbranch_vccz .LBB4_7147
; %bb.7134:                             ;   in Loop: Header=BB4_6327 Depth=3
	s_mov_b32 s16, 0
	s_mov_b32 s22, exec_lo
	v_cmpx_lt_i16_e32 0x7f, v95
	s_xor_b32 s22, exec_lo, s22
	s_cbranch_execz .LBB4_7657
; %bb.7135:                             ;   in Loop: Header=BB4_6327 Depth=3
	s_mov_b32 s16, -1
	s_mov_b32 s23, exec_lo
	v_cmpx_eq_u16_e32 0x80, v95
; %bb.7136:                             ;   in Loop: Header=BB4_6327 Depth=3
	s_xor_b32 s16, exec_lo, -1
; %bb.7137:                             ;   in Loop: Header=BB4_6327 Depth=3
	s_or_b32 exec_lo, exec_lo, s23
	s_and_b32 s16, s16, exec_lo
                                        ; implicit-def: $vgpr95
	s_or_saveexec_b32 s22, s22
	v_mov_b32_e32 v104, 0x7f800001
	s_xor_b32 exec_lo, exec_lo, s22
	s_cbranch_execnz .LBB4_7658
.LBB4_7138:                             ;   in Loop: Header=BB4_6327 Depth=3
	s_or_b32 exec_lo, exec_lo, s22
	s_and_saveexec_b32 s22, s16
	s_cbranch_execz .LBB4_7140
.LBB4_7139:                             ;   in Loop: Header=BB4_6327 Depth=3
	v_bfe_u32 v95, v13, 16, 3
	v_bfe_u32 v106, v13, 19, 4
	v_lshlrev_b32_sdwa v107, v41, v13 dst_sel:DWORD dst_unused:UNUSED_PAD src0_sel:DWORD src1_sel:WORD_1
	v_ffbh_u32_e32 v104, v95
	v_cmp_eq_u32_e32 vcc_lo, 0, v106
	v_min_u32_e32 v104, 32, v104
	v_subrev_nc_u32_e32 v105, 28, v104
	v_sub_nc_u32_e32 v104, 29, v104
	v_lshlrev_b32_sdwa v105, v105, v13 dst_sel:DWORD dst_unused:UNUSED_PAD src0_sel:DWORD src1_sel:WORD_1
	v_cndmask_b32_e32 v104, v106, v104, vcc_lo
	v_and_b32_e32 v105, 7, v105
	v_lshl_add_u32 v104, v104, 23, 0x3b800000
	v_cndmask_b32_e32 v95, v95, v105, vcc_lo
	v_and_b32_e32 v105, 0x80000000, v107
	v_lshlrev_b32_e32 v95, 20, v95
	v_or3_b32 v104, v105, v104, v95
.LBB4_7140:                             ;   in Loop: Header=BB4_6327 Depth=3
	s_or_b32 exec_lo, exec_lo, s22
	v_and_b32_sdwa v105, v9, v40 dst_sel:DWORD dst_unused:UNUSED_PAD src0_sel:WORD_1 src1_sel:DWORD
	s_mov_b32 s16, 0
	s_mov_b32 s22, exec_lo
	v_cmpx_lt_i16_e32 0x7f, v105
	s_xor_b32 s22, exec_lo, s22
	s_cbranch_execz .LBB4_7659
; %bb.7141:                             ;   in Loop: Header=BB4_6327 Depth=3
	s_mov_b32 s16, -1
	s_mov_b32 s23, exec_lo
	v_cmpx_eq_u16_e32 0x80, v105
; %bb.7142:                             ;   in Loop: Header=BB4_6327 Depth=3
	s_xor_b32 s16, exec_lo, -1
; %bb.7143:                             ;   in Loop: Header=BB4_6327 Depth=3
	s_or_b32 exec_lo, exec_lo, s23
	s_and_b32 s16, s16, exec_lo
                                        ; implicit-def: $vgpr105
	s_or_saveexec_b32 s22, s22
	v_mov_b32_e32 v95, 0x7f800001
	s_xor_b32 exec_lo, exec_lo, s22
	s_cbranch_execnz .LBB4_7660
.LBB4_7144:                             ;   in Loop: Header=BB4_6327 Depth=3
	s_or_b32 exec_lo, exec_lo, s22
	s_and_saveexec_b32 s22, s16
	s_cbranch_execz .LBB4_7146
.LBB4_7145:                             ;   in Loop: Header=BB4_6327 Depth=3
	v_bfe_u32 v95, v9, 16, 3
	v_bfe_u32 v107, v9, 19, 4
	v_lshlrev_b32_sdwa v108, v41, v9 dst_sel:DWORD dst_unused:UNUSED_PAD src0_sel:DWORD src1_sel:WORD_1
	v_ffbh_u32_e32 v105, v95
	v_cmp_eq_u32_e32 vcc_lo, 0, v107
	v_min_u32_e32 v105, 32, v105
	v_subrev_nc_u32_e32 v106, 28, v105
	v_sub_nc_u32_e32 v105, 29, v105
	v_lshlrev_b32_sdwa v106, v106, v9 dst_sel:DWORD dst_unused:UNUSED_PAD src0_sel:DWORD src1_sel:WORD_1
	v_cndmask_b32_e32 v105, v107, v105, vcc_lo
	v_and_b32_e32 v106, 7, v106
	v_lshl_add_u32 v105, v105, 23, 0x3b800000
	v_cndmask_b32_e32 v95, v95, v106, vcc_lo
	v_and_b32_e32 v106, 0x80000000, v108
	v_lshlrev_b32_e32 v95, 20, v95
	v_or3_b32 v95, v106, v105, v95
.LBB4_7146:                             ;   in Loop: Header=BB4_6327 Depth=3
	s_or_b32 exec_lo, exec_lo, s22
	v_max_f32_e32 v95, v95, v95
	v_max_f32_e32 v104, v104, v104
	v_min_f32_e32 v104, v104, v95
.LBB4_7147:                             ;   in Loop: Header=BB4_6327 Depth=3
	v_and_b32_e32 v95, 0x7f800000, v104
	v_cmp_ne_u32_e32 vcc_lo, 0x7f800000, v95
	v_mov_b32_e32 v95, 0x80
	s_and_saveexec_b32 s22, vcc_lo
	s_cbranch_execz .LBB4_7155
; %bb.7148:                             ;   in Loop: Header=BB4_6327 Depth=3
	v_mov_b32_e32 v95, 0
	s_mov_b32 s23, exec_lo
	v_cmpx_ne_u32_e32 0, v104
	s_cbranch_execz .LBB4_7154
; %bb.7149:                             ;   in Loop: Header=BB4_6327 Depth=3
	v_bfe_u32 v95, v104, 23, 8
	v_and_b32_e32 v105, 0x7fffff, v104
	v_sub_nc_u32_e32 v106, 0x78, v95
	v_cmp_gt_u32_e32 vcc_lo, 0x79, v95
	v_or_b32_e32 v107, 0x800000, v105
	v_cndmask_b32_e32 v106, 0, v106, vcc_lo
	v_cmp_eq_u32_e32 vcc_lo, 0, v95
	v_add_nc_u32_e32 v95, 0xffffff89, v95
	v_cndmask_b32_e64 v106, v106, 0x77, vcc_lo
	v_cndmask_b32_e32 v105, v107, v105, vcc_lo
	v_cndmask_b32_e64 v95, v95, 0xffffff8a, vcc_lo
	v_lshl_add_u32 v107, 0x100000, v106, -1
	v_lshrrev_b32_e32 v108, v106, v105
	v_lshlrev_b32_e64 v110, v106, 0x80000
	v_add_nc_u32_e32 v106, v106, v95
	v_and_b32_e32 v105, v107, v105
	v_bfe_u32 v109, v108, 20, 1
	v_cmp_eq_u32_e64 s16, v105, v110
	v_add_nc_u32_e32 v107, -1, v109
	v_cndmask_b32_e64 v105, 0, v107, s16
	v_lshrrev_b32_e32 v107, 23, v108
	s_mov_b32 s16, exec_lo
	v_add_nc_u32_e32 v105, v105, v108
	v_xor_b32_e32 v107, 1, v107
	v_and_b32_e32 v95, 0xfffff, v105
	v_add_nc_u32_e32 v105, v95, v108
                                        ; implicit-def: $vgpr95
	v_cmpx_ne_u32_e64 v106, v107
	s_xor_b32 s16, exec_lo, s16
; %bb.7150:                             ;   in Loop: Header=BB4_6327 Depth=3
	v_cmp_lt_u32_e32 vcc_lo, 0xffffff, v105
	v_sub_nc_u32_e32 v95, v106, v107
	v_cndmask_b32_e64 v106, 0, 1, vcc_lo
	v_add_co_ci_u32_e64 v95, null, 0, v95, vcc_lo
	v_lshrrev_b32_e32 v105, v106, v105
; %bb.7151:                             ;   in Loop: Header=BB4_6327 Depth=3
	s_andn2_saveexec_b32 s16, s16
; %bb.7152:                             ;   in Loop: Header=BB4_6327 Depth=3
	v_bfe_u32 v95, v105, 23, 1
; %bb.7153:                             ;   in Loop: Header=BB4_6327 Depth=3
	s_or_b32 exec_lo, exec_lo, s16
	v_lshrrev_b32_e32 v105, 20, v105
	v_min_i32_e32 v106, 15, v95
	v_cmp_gt_i32_e32 vcc_lo, 16, v95
	v_and_b32_sdwa v104, v104, v118 dst_sel:DWORD dst_unused:UNUSED_PAD src0_sel:BYTE_3 src1_sel:DWORD
	v_lshlrev_b32_e32 v106, 3, v106
	v_cndmask_b32_e32 v105, 7, v105, vcc_lo
	v_and_b32_e32 v106, 0xf8, v106
	v_and_b32_e32 v107, 7, v105
	v_or_b32_e32 v95, v95, v105
	v_or3_b32 v104, v106, v104, v107
	v_cmp_ne_u32_e32 vcc_lo, 0, v95
	v_cndmask_b32_e32 v95, 0, v104, vcc_lo
.LBB4_7154:                             ;   in Loop: Header=BB4_6327 Depth=3
	s_or_b32 exec_lo, exec_lo, s23
.LBB4_7155:                             ;   in Loop: Header=BB4_6327 Depth=3
	s_or_b32 exec_lo, exec_lo, s22
	v_cmp_gt_i16_sdwa s22, v13, v117 src0_sel:BYTE_3 src1_sel:DWORD
	s_andn2_b32 vcc_lo, exec_lo, s19
	s_mov_b32 s16, -1
                                        ; implicit-def: $vgpr104
	s_cbranch_vccnz .LBB4_7169
; %bb.7156:                             ;   in Loop: Header=BB4_6327 Depth=3
	s_mov_b32 s16, 0
	s_and_saveexec_b32 s23, s22
	s_xor_b32 s22, exec_lo, s23
	s_cbranch_execz .LBB4_7661
; %bb.7157:                             ;   in Loop: Header=BB4_6327 Depth=3
	v_cmp_eq_u16_sdwa s73, v13, v118 src0_sel:BYTE_3 src1_sel:DWORD
	s_mov_b32 s16, -1
	s_and_saveexec_b32 s23, s73
; %bb.7158:                             ;   in Loop: Header=BB4_6327 Depth=3
	s_xor_b32 s16, exec_lo, -1
; %bb.7159:                             ;   in Loop: Header=BB4_6327 Depth=3
	s_or_b32 exec_lo, exec_lo, s23
	s_and_b32 s16, s16, exec_lo
	s_or_saveexec_b32 s22, s22
	v_mov_b32_e32 v104, 0x7f800001
	s_xor_b32 exec_lo, exec_lo, s22
	s_cbranch_execnz .LBB4_7662
.LBB4_7160:                             ;   in Loop: Header=BB4_6327 Depth=3
	s_or_b32 exec_lo, exec_lo, s22
	s_and_saveexec_b32 s22, s16
	s_cbranch_execz .LBB4_7162
.LBB4_7161:                             ;   in Loop: Header=BB4_6327 Depth=3
	v_bfe_u32 v104, v13, 24, 3
	v_bfe_u32 v107, v13, 27, 4
	v_ffbh_u32_e32 v105, v104
	v_cmp_eq_u32_e32 vcc_lo, 0, v107
	v_min_u32_e32 v105, 32, v105
	v_subrev_nc_u32_e32 v106, 28, v105
	v_sub_nc_u32_e32 v105, 29, v105
	v_lshlrev_b32_sdwa v106, v106, v13 dst_sel:DWORD dst_unused:UNUSED_PAD src0_sel:DWORD src1_sel:BYTE_3
	v_cndmask_b32_e32 v105, v107, v105, vcc_lo
	v_and_b32_e32 v106, 7, v106
	v_lshl_add_u32 v105, v105, 23, 0x3b800000
	v_cndmask_b32_e32 v104, v104, v106, vcc_lo
	v_and_b32_e32 v106, 0x80000000, v13
	v_lshlrev_b32_e32 v104, 20, v104
	v_or3_b32 v104, v106, v105, v104
.LBB4_7162:                             ;   in Loop: Header=BB4_6327 Depth=3
	s_or_b32 exec_lo, exec_lo, s22
	v_cmp_gt_i16_sdwa s22, v9, v117 src0_sel:BYTE_3 src1_sel:DWORD
	s_mov_b32 s16, 0
	s_and_saveexec_b32 s23, s22
	s_xor_b32 s22, exec_lo, s23
	s_cbranch_execz .LBB4_7663
; %bb.7163:                             ;   in Loop: Header=BB4_6327 Depth=3
	v_cmp_eq_u16_sdwa s73, v9, v118 src0_sel:BYTE_3 src1_sel:DWORD
	s_mov_b32 s16, -1
	s_and_saveexec_b32 s23, s73
; %bb.7164:                             ;   in Loop: Header=BB4_6327 Depth=3
	s_xor_b32 s16, exec_lo, -1
; %bb.7165:                             ;   in Loop: Header=BB4_6327 Depth=3
	s_or_b32 exec_lo, exec_lo, s23
	s_and_b32 s16, s16, exec_lo
	s_or_saveexec_b32 s22, s22
	v_mov_b32_e32 v105, 0x7f800001
	s_xor_b32 exec_lo, exec_lo, s22
	s_cbranch_execnz .LBB4_7664
.LBB4_7166:                             ;   in Loop: Header=BB4_6327 Depth=3
	s_or_b32 exec_lo, exec_lo, s22
	s_and_saveexec_b32 s22, s16
	s_cbranch_execz .LBB4_7168
.LBB4_7167:                             ;   in Loop: Header=BB4_6327 Depth=3
	v_bfe_u32 v105, v9, 24, 3
	v_bfe_u32 v108, v9, 27, 4
	v_ffbh_u32_e32 v106, v105
	v_cmp_eq_u32_e32 vcc_lo, 0, v108
	v_min_u32_e32 v106, 32, v106
	v_subrev_nc_u32_e32 v107, 28, v106
	v_sub_nc_u32_e32 v106, 29, v106
	v_lshlrev_b32_sdwa v107, v107, v9 dst_sel:DWORD dst_unused:UNUSED_PAD src0_sel:DWORD src1_sel:BYTE_3
	v_cndmask_b32_e32 v106, v108, v106, vcc_lo
	v_and_b32_e32 v107, 7, v107
	v_lshl_add_u32 v106, v106, 23, 0x3b800000
	v_cndmask_b32_e32 v105, v105, v107, vcc_lo
	v_and_b32_e32 v107, 0x80000000, v9
	v_lshlrev_b32_e32 v105, 20, v105
	v_or3_b32 v105, v107, v106, v105
.LBB4_7168:                             ;   in Loop: Header=BB4_6327 Depth=3
	s_or_b32 exec_lo, exec_lo, s22
	v_max_f32_e32 v105, v105, v105
	v_max_f32_e32 v104, v104, v104
	s_mov_b32 s16, 0
	v_max_f32_e32 v104, v104, v105
.LBB4_7169:                             ;   in Loop: Header=BB4_6327 Depth=3
	s_and_b32 vcc_lo, exec_lo, s16
	s_cbranch_vccz .LBB4_7183
; %bb.7170:                             ;   in Loop: Header=BB4_6327 Depth=3
	v_cmp_gt_i16_sdwa s22, v13, v117 src0_sel:BYTE_3 src1_sel:DWORD
	s_mov_b32 s16, 0
	s_and_saveexec_b32 s23, s22
	s_xor_b32 s22, exec_lo, s23
	s_cbranch_execz .LBB4_7665
; %bb.7171:                             ;   in Loop: Header=BB4_6327 Depth=3
	v_cmp_eq_u16_sdwa s73, v13, v118 src0_sel:BYTE_3 src1_sel:DWORD
	s_mov_b32 s16, -1
	s_and_saveexec_b32 s23, s73
; %bb.7172:                             ;   in Loop: Header=BB4_6327 Depth=3
	s_xor_b32 s16, exec_lo, -1
; %bb.7173:                             ;   in Loop: Header=BB4_6327 Depth=3
	s_or_b32 exec_lo, exec_lo, s23
	s_and_b32 s16, s16, exec_lo
	s_or_saveexec_b32 s22, s22
	v_mov_b32_e32 v104, 0x7f800001
	s_xor_b32 exec_lo, exec_lo, s22
	s_cbranch_execnz .LBB4_7666
.LBB4_7174:                             ;   in Loop: Header=BB4_6327 Depth=3
	s_or_b32 exec_lo, exec_lo, s22
	s_and_saveexec_b32 s22, s16
	s_cbranch_execz .LBB4_7176
.LBB4_7175:                             ;   in Loop: Header=BB4_6327 Depth=3
	v_bfe_u32 v104, v13, 24, 3
	v_bfe_u32 v107, v13, 27, 4
	v_ffbh_u32_e32 v105, v104
	v_cmp_eq_u32_e32 vcc_lo, 0, v107
	v_min_u32_e32 v105, 32, v105
	v_subrev_nc_u32_e32 v106, 28, v105
	v_sub_nc_u32_e32 v105, 29, v105
	v_lshlrev_b32_sdwa v106, v106, v13 dst_sel:DWORD dst_unused:UNUSED_PAD src0_sel:DWORD src1_sel:BYTE_3
	v_cndmask_b32_e32 v105, v107, v105, vcc_lo
	v_and_b32_e32 v13, 0x80000000, v13
	v_and_b32_e32 v106, 7, v106
	v_lshl_add_u32 v105, v105, 23, 0x3b800000
	v_cndmask_b32_e32 v104, v104, v106, vcc_lo
	v_lshlrev_b32_e32 v104, 20, v104
	v_or3_b32 v104, v13, v105, v104
.LBB4_7176:                             ;   in Loop: Header=BB4_6327 Depth=3
	s_or_b32 exec_lo, exec_lo, s22
	v_cmp_gt_i16_sdwa s22, v9, v117 src0_sel:BYTE_3 src1_sel:DWORD
	s_mov_b32 s16, 0
	s_and_saveexec_b32 s23, s22
	s_xor_b32 s22, exec_lo, s23
	s_cbranch_execz .LBB4_7667
; %bb.7177:                             ;   in Loop: Header=BB4_6327 Depth=3
	v_cmp_eq_u16_sdwa s73, v9, v118 src0_sel:BYTE_3 src1_sel:DWORD
	s_mov_b32 s16, -1
	s_and_saveexec_b32 s23, s73
; %bb.7178:                             ;   in Loop: Header=BB4_6327 Depth=3
	s_xor_b32 s16, exec_lo, -1
; %bb.7179:                             ;   in Loop: Header=BB4_6327 Depth=3
	s_or_b32 exec_lo, exec_lo, s23
	s_and_b32 s16, s16, exec_lo
	s_or_saveexec_b32 s22, s22
	v_mov_b32_e32 v13, 0x7f800001
	s_xor_b32 exec_lo, exec_lo, s22
	s_cbranch_execnz .LBB4_7668
.LBB4_7180:                             ;   in Loop: Header=BB4_6327 Depth=3
	s_or_b32 exec_lo, exec_lo, s22
	s_and_saveexec_b32 s22, s16
	s_cbranch_execz .LBB4_7182
.LBB4_7181:                             ;   in Loop: Header=BB4_6327 Depth=3
	v_bfe_u32 v13, v9, 24, 3
	v_bfe_u32 v107, v9, 27, 4
	v_ffbh_u32_e32 v105, v13
	v_cmp_eq_u32_e32 vcc_lo, 0, v107
	v_min_u32_e32 v105, 32, v105
	v_subrev_nc_u32_e32 v106, 28, v105
	v_sub_nc_u32_e32 v105, 29, v105
	v_lshlrev_b32_sdwa v106, v106, v9 dst_sel:DWORD dst_unused:UNUSED_PAD src0_sel:DWORD src1_sel:BYTE_3
	v_cndmask_b32_e32 v105, v107, v105, vcc_lo
	v_and_b32_e32 v9, 0x80000000, v9
	v_and_b32_e32 v106, 7, v106
	v_lshl_add_u32 v105, v105, 23, 0x3b800000
	v_cndmask_b32_e32 v13, v13, v106, vcc_lo
	v_lshlrev_b32_e32 v13, 20, v13
	v_or3_b32 v13, v9, v105, v13
.LBB4_7182:                             ;   in Loop: Header=BB4_6327 Depth=3
	s_or_b32 exec_lo, exec_lo, s22
	v_max_f32_e32 v9, v13, v13
	v_max_f32_e32 v13, v104, v104
	v_min_f32_e32 v104, v13, v9
.LBB4_7183:                             ;   in Loop: Header=BB4_6327 Depth=3
	v_and_b32_e32 v9, 0x7f800000, v104
	v_cmp_ne_u32_e32 vcc_lo, 0x7f800000, v9
	v_mov_b32_e32 v9, 0x8000
	s_and_saveexec_b32 s22, vcc_lo
	s_cbranch_execz .LBB4_7191
; %bb.7184:                             ;   in Loop: Header=BB4_6327 Depth=3
	v_mov_b32_e32 v9, 0
	s_mov_b32 s23, exec_lo
	v_cmpx_ne_u32_e32 0, v104
	s_cbranch_execz .LBB4_7190
; %bb.7185:                             ;   in Loop: Header=BB4_6327 Depth=3
	v_bfe_u32 v9, v104, 23, 8
	v_and_b32_e32 v13, 0x7fffff, v104
	v_sub_nc_u32_e32 v105, 0x78, v9
	v_cmp_gt_u32_e32 vcc_lo, 0x79, v9
	v_or_b32_e32 v106, 0x800000, v13
	v_cndmask_b32_e32 v105, 0, v105, vcc_lo
	v_cmp_eq_u32_e32 vcc_lo, 0, v9
	v_add_nc_u32_e32 v9, 0xffffff89, v9
	v_cndmask_b32_e64 v105, v105, 0x77, vcc_lo
	v_cndmask_b32_e32 v13, v106, v13, vcc_lo
	v_cndmask_b32_e64 v9, v9, 0xffffff8a, vcc_lo
	v_lshl_add_u32 v106, 0x100000, v105, -1
	v_lshrrev_b32_e32 v107, v105, v13
	v_lshlrev_b32_e64 v109, v105, 0x80000
	v_add_nc_u32_e32 v105, v105, v9
	v_and_b32_e32 v13, v106, v13
	v_bfe_u32 v108, v107, 20, 1
	v_cmp_eq_u32_e64 s16, v13, v109
	v_add_nc_u32_e32 v106, -1, v108
	v_cndmask_b32_e64 v13, 0, v106, s16
	v_lshrrev_b32_e32 v106, 23, v107
	s_mov_b32 s16, exec_lo
	v_add_nc_u32_e32 v13, v13, v107
	v_xor_b32_e32 v106, 1, v106
	v_and_b32_e32 v9, 0xfffff, v13
	v_add_nc_u32_e32 v13, v9, v107
                                        ; implicit-def: $vgpr9
	v_cmpx_ne_u32_e64 v105, v106
	s_xor_b32 s16, exec_lo, s16
; %bb.7186:                             ;   in Loop: Header=BB4_6327 Depth=3
	v_cmp_lt_u32_e32 vcc_lo, 0xffffff, v13
	v_sub_nc_u32_e32 v9, v105, v106
	v_cndmask_b32_e64 v105, 0, 1, vcc_lo
	v_add_co_ci_u32_e64 v9, null, 0, v9, vcc_lo
	v_lshrrev_b32_e32 v13, v105, v13
; %bb.7187:                             ;   in Loop: Header=BB4_6327 Depth=3
	s_andn2_saveexec_b32 s16, s16
; %bb.7188:                             ;   in Loop: Header=BB4_6327 Depth=3
	v_bfe_u32 v9, v13, 23, 1
; %bb.7189:                             ;   in Loop: Header=BB4_6327 Depth=3
	s_or_b32 exec_lo, exec_lo, s16
	v_lshrrev_b32_e32 v13, 20, v13
	v_min_i32_e32 v105, 15, v9
	v_cmp_gt_i32_e32 vcc_lo, 16, v9
	v_and_b32_sdwa v104, v104, v118 dst_sel:DWORD dst_unused:UNUSED_PAD src0_sel:BYTE_3 src1_sel:DWORD
	v_lshlrev_b32_e32 v105, 3, v105
	v_cndmask_b32_e32 v13, 7, v13, vcc_lo
	v_and_b32_e32 v105, 0xf8, v105
	v_and_b32_e32 v106, 7, v13
	v_or_b32_e32 v9, v9, v13
	v_or3_b32 v104, v104, v105, v106
	v_cmp_ne_u32_e32 vcc_lo, 0, v9
	v_lshlrev_b32_e32 v13, 8, v104
	v_cndmask_b32_e32 v9, 0, v13, vcc_lo
.LBB4_7190:                             ;   in Loop: Header=BB4_6327 Depth=3
	s_or_b32 exec_lo, exec_lo, s23
.LBB4_7191:                             ;   in Loop: Header=BB4_6327 Depth=3
	s_or_b32 exec_lo, exec_lo, s22
	v_cmp_gt_i16_sdwa s22, v14, v117 src0_sel:BYTE_0 src1_sel:DWORD
	s_andn2_b32 vcc_lo, exec_lo, s19
	s_mov_b32 s16, -1
                                        ; implicit-def: $vgpr104
	s_cbranch_vccnz .LBB4_7205
; %bb.7192:                             ;   in Loop: Header=BB4_6327 Depth=3
	s_mov_b32 s16, 0
	s_and_saveexec_b32 s23, s22
	s_xor_b32 s22, exec_lo, s23
	s_cbranch_execz .LBB4_7669
; %bb.7193:                             ;   in Loop: Header=BB4_6327 Depth=3
	v_cmp_eq_u16_sdwa s73, v14, v118 src0_sel:BYTE_0 src1_sel:DWORD
	s_mov_b32 s16, -1
	s_and_saveexec_b32 s23, s73
; %bb.7194:                             ;   in Loop: Header=BB4_6327 Depth=3
	s_xor_b32 s16, exec_lo, -1
; %bb.7195:                             ;   in Loop: Header=BB4_6327 Depth=3
	s_or_b32 exec_lo, exec_lo, s23
	s_and_b32 s16, s16, exec_lo
	s_or_saveexec_b32 s22, s22
	v_mov_b32_e32 v13, 0x7f800001
	s_xor_b32 exec_lo, exec_lo, s22
	s_cbranch_execnz .LBB4_7670
.LBB4_7196:                             ;   in Loop: Header=BB4_6327 Depth=3
	s_or_b32 exec_lo, exec_lo, s22
	s_and_saveexec_b32 s22, s16
	s_cbranch_execz .LBB4_7198
.LBB4_7197:                             ;   in Loop: Header=BB4_6327 Depth=3
	v_and_b32_e32 v13, 7, v14
	v_bfe_u32 v106, v14, 3, 4
	v_lshlrev_b32_e32 v107, 24, v14
	v_ffbh_u32_e32 v104, v13
	v_cmp_eq_u32_e32 vcc_lo, 0, v106
	v_min_u32_e32 v104, 32, v104
	v_subrev_nc_u32_e32 v105, 28, v104
	v_sub_nc_u32_e32 v104, 29, v104
	v_lshlrev_b32_e32 v105, v105, v14
	v_cndmask_b32_e32 v104, v106, v104, vcc_lo
	v_and_b32_e32 v105, 7, v105
	v_lshl_add_u32 v104, v104, 23, 0x3b800000
	v_cndmask_b32_e32 v13, v13, v105, vcc_lo
	v_and_b32_e32 v105, 0x80000000, v107
	v_lshlrev_b32_e32 v13, 20, v13
	v_or3_b32 v13, v105, v104, v13
.LBB4_7198:                             ;   in Loop: Header=BB4_6327 Depth=3
	s_or_b32 exec_lo, exec_lo, s22
	v_cmp_gt_i16_sdwa s22, v10, v117 src0_sel:BYTE_0 src1_sel:DWORD
	s_mov_b32 s16, 0
	s_and_saveexec_b32 s23, s22
	s_xor_b32 s22, exec_lo, s23
	s_cbranch_execz .LBB4_7671
; %bb.7199:                             ;   in Loop: Header=BB4_6327 Depth=3
	v_cmp_eq_u16_sdwa s73, v10, v118 src0_sel:BYTE_0 src1_sel:DWORD
	s_mov_b32 s16, -1
	s_and_saveexec_b32 s23, s73
; %bb.7200:                             ;   in Loop: Header=BB4_6327 Depth=3
	s_xor_b32 s16, exec_lo, -1
; %bb.7201:                             ;   in Loop: Header=BB4_6327 Depth=3
	s_or_b32 exec_lo, exec_lo, s23
	s_and_b32 s16, s16, exec_lo
	s_or_saveexec_b32 s22, s22
	v_mov_b32_e32 v104, 0x7f800001
	s_xor_b32 exec_lo, exec_lo, s22
	s_cbranch_execnz .LBB4_7672
.LBB4_7202:                             ;   in Loop: Header=BB4_6327 Depth=3
	s_or_b32 exec_lo, exec_lo, s22
	s_and_saveexec_b32 s22, s16
	s_cbranch_execz .LBB4_7204
.LBB4_7203:                             ;   in Loop: Header=BB4_6327 Depth=3
	v_and_b32_e32 v104, 7, v10
	v_bfe_u32 v107, v10, 3, 4
	v_lshlrev_b32_e32 v108, 24, v10
	v_ffbh_u32_e32 v105, v104
	v_cmp_eq_u32_e32 vcc_lo, 0, v107
	v_min_u32_e32 v105, 32, v105
	v_subrev_nc_u32_e32 v106, 28, v105
	v_sub_nc_u32_e32 v105, 29, v105
	v_lshlrev_b32_e32 v106, v106, v10
	v_cndmask_b32_e32 v105, v107, v105, vcc_lo
	v_and_b32_e32 v106, 7, v106
	v_lshl_add_u32 v105, v105, 23, 0x3b800000
	v_cndmask_b32_e32 v104, v104, v106, vcc_lo
	v_and_b32_e32 v106, 0x80000000, v108
	v_lshlrev_b32_e32 v104, 20, v104
	v_or3_b32 v104, v106, v105, v104
.LBB4_7204:                             ;   in Loop: Header=BB4_6327 Depth=3
	s_or_b32 exec_lo, exec_lo, s22
	v_max_f32_e32 v104, v104, v104
	v_max_f32_e32 v13, v13, v13
	s_mov_b32 s16, 0
	v_max_f32_e32 v104, v13, v104
.LBB4_7205:                             ;   in Loop: Header=BB4_6327 Depth=3
	s_and_b32 vcc_lo, exec_lo, s16
	s_cbranch_vccz .LBB4_7219
; %bb.7206:                             ;   in Loop: Header=BB4_6327 Depth=3
	v_cmp_gt_i16_sdwa s22, v14, v117 src0_sel:BYTE_0 src1_sel:DWORD
	s_mov_b32 s16, 0
	s_and_saveexec_b32 s23, s22
	s_xor_b32 s22, exec_lo, s23
	s_cbranch_execz .LBB4_7673
; %bb.7207:                             ;   in Loop: Header=BB4_6327 Depth=3
	v_cmp_eq_u16_sdwa s73, v14, v118 src0_sel:BYTE_0 src1_sel:DWORD
	s_mov_b32 s16, -1
	s_and_saveexec_b32 s23, s73
; %bb.7208:                             ;   in Loop: Header=BB4_6327 Depth=3
	s_xor_b32 s16, exec_lo, -1
; %bb.7209:                             ;   in Loop: Header=BB4_6327 Depth=3
	s_or_b32 exec_lo, exec_lo, s23
	s_and_b32 s16, s16, exec_lo
	s_or_saveexec_b32 s22, s22
	v_mov_b32_e32 v13, 0x7f800001
	s_xor_b32 exec_lo, exec_lo, s22
	s_cbranch_execnz .LBB4_7674
.LBB4_7210:                             ;   in Loop: Header=BB4_6327 Depth=3
	s_or_b32 exec_lo, exec_lo, s22
	s_and_saveexec_b32 s22, s16
	s_cbranch_execz .LBB4_7212
.LBB4_7211:                             ;   in Loop: Header=BB4_6327 Depth=3
	v_and_b32_e32 v13, 7, v14
	v_bfe_u32 v106, v14, 3, 4
	v_lshlrev_b32_e32 v107, 24, v14
	v_ffbh_u32_e32 v104, v13
	v_cmp_eq_u32_e32 vcc_lo, 0, v106
	v_min_u32_e32 v104, 32, v104
	v_subrev_nc_u32_e32 v105, 28, v104
	v_sub_nc_u32_e32 v104, 29, v104
	v_lshlrev_b32_e32 v105, v105, v14
	v_cndmask_b32_e32 v104, v106, v104, vcc_lo
	v_and_b32_e32 v105, 7, v105
	v_lshl_add_u32 v104, v104, 23, 0x3b800000
	v_cndmask_b32_e32 v13, v13, v105, vcc_lo
	v_and_b32_e32 v105, 0x80000000, v107
	v_lshlrev_b32_e32 v13, 20, v13
	v_or3_b32 v13, v105, v104, v13
.LBB4_7212:                             ;   in Loop: Header=BB4_6327 Depth=3
	s_or_b32 exec_lo, exec_lo, s22
	v_cmp_gt_i16_sdwa s22, v10, v117 src0_sel:BYTE_0 src1_sel:DWORD
	s_mov_b32 s16, 0
	s_and_saveexec_b32 s23, s22
	s_xor_b32 s22, exec_lo, s23
	s_cbranch_execz .LBB4_7675
; %bb.7213:                             ;   in Loop: Header=BB4_6327 Depth=3
	v_cmp_eq_u16_sdwa s73, v10, v118 src0_sel:BYTE_0 src1_sel:DWORD
	s_mov_b32 s16, -1
	s_and_saveexec_b32 s23, s73
; %bb.7214:                             ;   in Loop: Header=BB4_6327 Depth=3
	s_xor_b32 s16, exec_lo, -1
; %bb.7215:                             ;   in Loop: Header=BB4_6327 Depth=3
	s_or_b32 exec_lo, exec_lo, s23
	s_and_b32 s16, s16, exec_lo
	s_or_saveexec_b32 s22, s22
	v_mov_b32_e32 v104, 0x7f800001
	s_xor_b32 exec_lo, exec_lo, s22
	s_cbranch_execnz .LBB4_7676
.LBB4_7216:                             ;   in Loop: Header=BB4_6327 Depth=3
	s_or_b32 exec_lo, exec_lo, s22
	s_and_saveexec_b32 s22, s16
	s_cbranch_execz .LBB4_7218
.LBB4_7217:                             ;   in Loop: Header=BB4_6327 Depth=3
	v_and_b32_e32 v104, 7, v10
	v_bfe_u32 v107, v10, 3, 4
	v_lshlrev_b32_e32 v108, 24, v10
	v_ffbh_u32_e32 v105, v104
	v_cmp_eq_u32_e32 vcc_lo, 0, v107
	v_min_u32_e32 v105, 32, v105
	v_subrev_nc_u32_e32 v106, 28, v105
	v_sub_nc_u32_e32 v105, 29, v105
	v_lshlrev_b32_e32 v106, v106, v10
	v_cndmask_b32_e32 v105, v107, v105, vcc_lo
	v_and_b32_e32 v106, 7, v106
	v_lshl_add_u32 v105, v105, 23, 0x3b800000
	v_cndmask_b32_e32 v104, v104, v106, vcc_lo
	v_and_b32_e32 v106, 0x80000000, v108
	v_lshlrev_b32_e32 v104, 20, v104
	v_or3_b32 v104, v106, v105, v104
.LBB4_7218:                             ;   in Loop: Header=BB4_6327 Depth=3
	s_or_b32 exec_lo, exec_lo, s22
	v_max_f32_e32 v104, v104, v104
	v_max_f32_e32 v13, v13, v13
	v_min_f32_e32 v104, v13, v104
.LBB4_7219:                             ;   in Loop: Header=BB4_6327 Depth=3
	v_and_b32_e32 v13, 0x7f800000, v104
	v_cmp_ne_u32_e32 vcc_lo, 0x7f800000, v13
	v_mov_b32_e32 v13, 0x80
	s_and_saveexec_b32 s22, vcc_lo
	s_cbranch_execz .LBB4_7227
; %bb.7220:                             ;   in Loop: Header=BB4_6327 Depth=3
	v_mov_b32_e32 v13, 0
	s_mov_b32 s23, exec_lo
	v_cmpx_ne_u32_e32 0, v104
	s_cbranch_execz .LBB4_7226
; %bb.7221:                             ;   in Loop: Header=BB4_6327 Depth=3
	v_bfe_u32 v13, v104, 23, 8
	v_and_b32_e32 v105, 0x7fffff, v104
	v_sub_nc_u32_e32 v106, 0x78, v13
	v_cmp_gt_u32_e32 vcc_lo, 0x79, v13
	v_or_b32_e32 v107, 0x800000, v105
	v_cndmask_b32_e32 v106, 0, v106, vcc_lo
	v_cmp_eq_u32_e32 vcc_lo, 0, v13
	v_add_nc_u32_e32 v13, 0xffffff89, v13
	v_cndmask_b32_e64 v106, v106, 0x77, vcc_lo
	v_cndmask_b32_e32 v105, v107, v105, vcc_lo
	v_cndmask_b32_e64 v13, v13, 0xffffff8a, vcc_lo
	v_lshl_add_u32 v107, 0x100000, v106, -1
	v_lshrrev_b32_e32 v108, v106, v105
	v_lshlrev_b32_e64 v110, v106, 0x80000
	v_add_nc_u32_e32 v106, v106, v13
	v_and_b32_e32 v105, v107, v105
	v_bfe_u32 v109, v108, 20, 1
	v_cmp_eq_u32_e64 s16, v105, v110
	v_add_nc_u32_e32 v107, -1, v109
	v_cndmask_b32_e64 v105, 0, v107, s16
	v_lshrrev_b32_e32 v107, 23, v108
	s_mov_b32 s16, exec_lo
	v_add_nc_u32_e32 v105, v105, v108
	v_xor_b32_e32 v107, 1, v107
	v_and_b32_e32 v13, 0xfffff, v105
	v_add_nc_u32_e32 v105, v13, v108
                                        ; implicit-def: $vgpr13
	v_cmpx_ne_u32_e64 v106, v107
	s_xor_b32 s16, exec_lo, s16
; %bb.7222:                             ;   in Loop: Header=BB4_6327 Depth=3
	v_cmp_lt_u32_e32 vcc_lo, 0xffffff, v105
	v_sub_nc_u32_e32 v13, v106, v107
	v_cndmask_b32_e64 v106, 0, 1, vcc_lo
	v_add_co_ci_u32_e64 v13, null, 0, v13, vcc_lo
	v_lshrrev_b32_e32 v105, v106, v105
; %bb.7223:                             ;   in Loop: Header=BB4_6327 Depth=3
	s_andn2_saveexec_b32 s16, s16
; %bb.7224:                             ;   in Loop: Header=BB4_6327 Depth=3
	v_bfe_u32 v13, v105, 23, 1
; %bb.7225:                             ;   in Loop: Header=BB4_6327 Depth=3
	s_or_b32 exec_lo, exec_lo, s16
	v_lshrrev_b32_e32 v105, 20, v105
	v_min_i32_e32 v106, 15, v13
	v_cmp_gt_i32_e32 vcc_lo, 16, v13
	v_and_b32_sdwa v104, v104, v118 dst_sel:DWORD dst_unused:UNUSED_PAD src0_sel:BYTE_3 src1_sel:DWORD
	v_lshlrev_b32_e32 v106, 3, v106
	v_cndmask_b32_e32 v105, 7, v105, vcc_lo
	v_and_b32_e32 v106, 0xf8, v106
	v_and_b32_e32 v107, 7, v105
	v_or_b32_e32 v13, v13, v105
	v_or3_b32 v104, v106, v104, v107
	v_cmp_ne_u32_e32 vcc_lo, 0, v13
	v_cndmask_b32_e32 v13, 0, v104, vcc_lo
.LBB4_7226:                             ;   in Loop: Header=BB4_6327 Depth=3
	s_or_b32 exec_lo, exec_lo, s23
.LBB4_7227:                             ;   in Loop: Header=BB4_6327 Depth=3
	s_or_b32 exec_lo, exec_lo, s22
	v_cmp_gt_i16_sdwa s22, v14, v117 src0_sel:BYTE_1 src1_sel:DWORD
	s_andn2_b32 vcc_lo, exec_lo, s19
	s_mov_b32 s16, -1
                                        ; implicit-def: $vgpr105
	s_cbranch_vccnz .LBB4_7241
; %bb.7228:                             ;   in Loop: Header=BB4_6327 Depth=3
	s_mov_b32 s16, 0
	s_and_saveexec_b32 s23, s22
	s_xor_b32 s22, exec_lo, s23
	s_cbranch_execz .LBB4_7677
; %bb.7229:                             ;   in Loop: Header=BB4_6327 Depth=3
	v_cmp_eq_u16_sdwa s73, v14, v118 src0_sel:BYTE_1 src1_sel:DWORD
	s_mov_b32 s16, -1
	s_and_saveexec_b32 s23, s73
; %bb.7230:                             ;   in Loop: Header=BB4_6327 Depth=3
	s_xor_b32 s16, exec_lo, -1
; %bb.7231:                             ;   in Loop: Header=BB4_6327 Depth=3
	s_or_b32 exec_lo, exec_lo, s23
	s_and_b32 s16, s16, exec_lo
	s_or_saveexec_b32 s22, s22
	v_mov_b32_e32 v104, 0x7f800001
	s_xor_b32 exec_lo, exec_lo, s22
	s_cbranch_execnz .LBB4_7678
.LBB4_7232:                             ;   in Loop: Header=BB4_6327 Depth=3
	s_or_b32 exec_lo, exec_lo, s22
	s_and_saveexec_b32 s22, s16
	s_cbranch_execz .LBB4_7234
.LBB4_7233:                             ;   in Loop: Header=BB4_6327 Depth=3
	v_and_b32_sdwa v104, v119, v14 dst_sel:DWORD dst_unused:UNUSED_PAD src0_sel:DWORD src1_sel:BYTE_1
	v_and_b32_e32 v105, 7, v104
	v_bfe_u32 v108, v104, 3, 4
	v_ffbh_u32_e32 v106, v105
	v_cmp_eq_u32_e32 vcc_lo, 0, v108
	v_min_u32_e32 v106, 32, v106
	v_subrev_nc_u32_e32 v107, 28, v106
	v_sub_nc_u32_e32 v106, 29, v106
	v_lshlrev_b32_e32 v104, v107, v104
	v_lshlrev_b32_e32 v107, 16, v14
	v_cndmask_b32_e32 v106, v108, v106, vcc_lo
	v_and_b32_e32 v104, 7, v104
	v_lshl_add_u32 v106, v106, 23, 0x3b800000
	v_cndmask_b32_e32 v104, v105, v104, vcc_lo
	v_and_b32_e32 v105, 0x80000000, v107
	v_lshlrev_b32_e32 v104, 20, v104
	v_or3_b32 v104, v105, v106, v104
.LBB4_7234:                             ;   in Loop: Header=BB4_6327 Depth=3
	s_or_b32 exec_lo, exec_lo, s22
	v_cmp_gt_i16_sdwa s22, v10, v117 src0_sel:BYTE_1 src1_sel:DWORD
	s_mov_b32 s16, 0
	s_and_saveexec_b32 s23, s22
	s_xor_b32 s22, exec_lo, s23
	s_cbranch_execz .LBB4_7679
; %bb.7235:                             ;   in Loop: Header=BB4_6327 Depth=3
	v_cmp_eq_u16_sdwa s73, v10, v118 src0_sel:BYTE_1 src1_sel:DWORD
	s_mov_b32 s16, -1
	s_and_saveexec_b32 s23, s73
; %bb.7236:                             ;   in Loop: Header=BB4_6327 Depth=3
	s_xor_b32 s16, exec_lo, -1
; %bb.7237:                             ;   in Loop: Header=BB4_6327 Depth=3
	s_or_b32 exec_lo, exec_lo, s23
	s_and_b32 s16, s16, exec_lo
	s_or_saveexec_b32 s22, s22
	v_mov_b32_e32 v105, 0x7f800001
	s_xor_b32 exec_lo, exec_lo, s22
	s_cbranch_execnz .LBB4_7680
.LBB4_7238:                             ;   in Loop: Header=BB4_6327 Depth=3
	s_or_b32 exec_lo, exec_lo, s22
	s_and_saveexec_b32 s22, s16
	s_cbranch_execz .LBB4_7240
.LBB4_7239:                             ;   in Loop: Header=BB4_6327 Depth=3
	v_and_b32_sdwa v105, v119, v10 dst_sel:DWORD dst_unused:UNUSED_PAD src0_sel:DWORD src1_sel:BYTE_1
	v_and_b32_e32 v106, 7, v105
	v_bfe_u32 v109, v105, 3, 4
	v_ffbh_u32_e32 v107, v106
	v_cmp_eq_u32_e32 vcc_lo, 0, v109
	v_min_u32_e32 v107, 32, v107
	v_subrev_nc_u32_e32 v108, 28, v107
	v_sub_nc_u32_e32 v107, 29, v107
	v_lshlrev_b32_e32 v105, v108, v105
	v_lshlrev_b32_e32 v108, 16, v10
	v_cndmask_b32_e32 v107, v109, v107, vcc_lo
	v_and_b32_e32 v105, 7, v105
	v_lshl_add_u32 v107, v107, 23, 0x3b800000
	v_cndmask_b32_e32 v105, v106, v105, vcc_lo
	v_and_b32_e32 v106, 0x80000000, v108
	v_lshlrev_b32_e32 v105, 20, v105
	v_or3_b32 v105, v106, v107, v105
.LBB4_7240:                             ;   in Loop: Header=BB4_6327 Depth=3
	s_or_b32 exec_lo, exec_lo, s22
	v_max_f32_e32 v105, v105, v105
	v_max_f32_e32 v104, v104, v104
	s_mov_b32 s16, 0
	v_max_f32_e32 v105, v104, v105
.LBB4_7241:                             ;   in Loop: Header=BB4_6327 Depth=3
	s_and_b32 vcc_lo, exec_lo, s16
	s_cbranch_vccz .LBB4_7255
; %bb.7242:                             ;   in Loop: Header=BB4_6327 Depth=3
	v_cmp_gt_i16_sdwa s22, v14, v117 src0_sel:BYTE_1 src1_sel:DWORD
	s_mov_b32 s16, 0
	s_and_saveexec_b32 s23, s22
	s_xor_b32 s22, exec_lo, s23
	s_cbranch_execz .LBB4_7681
; %bb.7243:                             ;   in Loop: Header=BB4_6327 Depth=3
	v_cmp_eq_u16_sdwa s73, v14, v118 src0_sel:BYTE_1 src1_sel:DWORD
	s_mov_b32 s16, -1
	s_and_saveexec_b32 s23, s73
; %bb.7244:                             ;   in Loop: Header=BB4_6327 Depth=3
	s_xor_b32 s16, exec_lo, -1
; %bb.7245:                             ;   in Loop: Header=BB4_6327 Depth=3
	s_or_b32 exec_lo, exec_lo, s23
	s_and_b32 s16, s16, exec_lo
	s_or_saveexec_b32 s22, s22
	v_mov_b32_e32 v104, 0x7f800001
	s_xor_b32 exec_lo, exec_lo, s22
	s_cbranch_execnz .LBB4_7682
.LBB4_7246:                             ;   in Loop: Header=BB4_6327 Depth=3
	s_or_b32 exec_lo, exec_lo, s22
	s_and_saveexec_b32 s22, s16
	s_cbranch_execz .LBB4_7248
.LBB4_7247:                             ;   in Loop: Header=BB4_6327 Depth=3
	v_and_b32_sdwa v104, v119, v14 dst_sel:DWORD dst_unused:UNUSED_PAD src0_sel:DWORD src1_sel:BYTE_1
	v_and_b32_e32 v105, 7, v104
	v_bfe_u32 v108, v104, 3, 4
	v_ffbh_u32_e32 v106, v105
	v_cmp_eq_u32_e32 vcc_lo, 0, v108
	v_min_u32_e32 v106, 32, v106
	v_subrev_nc_u32_e32 v107, 28, v106
	v_sub_nc_u32_e32 v106, 29, v106
	v_lshlrev_b32_e32 v104, v107, v104
	v_lshlrev_b32_e32 v107, 16, v14
	v_cndmask_b32_e32 v106, v108, v106, vcc_lo
	v_and_b32_e32 v104, 7, v104
	v_lshl_add_u32 v106, v106, 23, 0x3b800000
	v_cndmask_b32_e32 v104, v105, v104, vcc_lo
	v_and_b32_e32 v105, 0x80000000, v107
	v_lshlrev_b32_e32 v104, 20, v104
	v_or3_b32 v104, v105, v106, v104
.LBB4_7248:                             ;   in Loop: Header=BB4_6327 Depth=3
	s_or_b32 exec_lo, exec_lo, s22
	v_cmp_gt_i16_sdwa s22, v10, v117 src0_sel:BYTE_1 src1_sel:DWORD
	s_mov_b32 s16, 0
	s_and_saveexec_b32 s23, s22
	s_xor_b32 s22, exec_lo, s23
	s_cbranch_execz .LBB4_7683
; %bb.7249:                             ;   in Loop: Header=BB4_6327 Depth=3
	v_cmp_eq_u16_sdwa s73, v10, v118 src0_sel:BYTE_1 src1_sel:DWORD
	s_mov_b32 s16, -1
	s_and_saveexec_b32 s23, s73
; %bb.7250:                             ;   in Loop: Header=BB4_6327 Depth=3
	s_xor_b32 s16, exec_lo, -1
; %bb.7251:                             ;   in Loop: Header=BB4_6327 Depth=3
	s_or_b32 exec_lo, exec_lo, s23
	s_and_b32 s16, s16, exec_lo
	s_or_saveexec_b32 s22, s22
	v_mov_b32_e32 v105, 0x7f800001
	s_xor_b32 exec_lo, exec_lo, s22
	s_cbranch_execnz .LBB4_7684
.LBB4_7252:                             ;   in Loop: Header=BB4_6327 Depth=3
	s_or_b32 exec_lo, exec_lo, s22
	s_and_saveexec_b32 s22, s16
	s_cbranch_execz .LBB4_7254
.LBB4_7253:                             ;   in Loop: Header=BB4_6327 Depth=3
	v_and_b32_sdwa v105, v119, v10 dst_sel:DWORD dst_unused:UNUSED_PAD src0_sel:DWORD src1_sel:BYTE_1
	v_and_b32_e32 v106, 7, v105
	v_bfe_u32 v109, v105, 3, 4
	v_ffbh_u32_e32 v107, v106
	v_cmp_eq_u32_e32 vcc_lo, 0, v109
	v_min_u32_e32 v107, 32, v107
	v_subrev_nc_u32_e32 v108, 28, v107
	v_sub_nc_u32_e32 v107, 29, v107
	v_lshlrev_b32_e32 v105, v108, v105
	v_lshlrev_b32_e32 v108, 16, v10
	v_cndmask_b32_e32 v107, v109, v107, vcc_lo
	v_and_b32_e32 v105, 7, v105
	v_lshl_add_u32 v107, v107, 23, 0x3b800000
	v_cndmask_b32_e32 v105, v106, v105, vcc_lo
	v_and_b32_e32 v106, 0x80000000, v108
	v_lshlrev_b32_e32 v105, 20, v105
	v_or3_b32 v105, v106, v107, v105
.LBB4_7254:                             ;   in Loop: Header=BB4_6327 Depth=3
	s_or_b32 exec_lo, exec_lo, s22
	v_max_f32_e32 v105, v105, v105
	v_max_f32_e32 v104, v104, v104
	v_min_f32_e32 v105, v104, v105
.LBB4_7255:                             ;   in Loop: Header=BB4_6327 Depth=3
	v_and_b32_e32 v104, 0x7f800000, v105
	v_cmp_ne_u32_e32 vcc_lo, 0x7f800000, v104
	v_mov_b32_e32 v104, 0x8000
	s_and_saveexec_b32 s22, vcc_lo
	s_cbranch_execz .LBB4_7263
; %bb.7256:                             ;   in Loop: Header=BB4_6327 Depth=3
	v_mov_b32_e32 v104, 0
	s_mov_b32 s23, exec_lo
	v_cmpx_ne_u32_e32 0, v105
	s_cbranch_execz .LBB4_7262
; %bb.7257:                             ;   in Loop: Header=BB4_6327 Depth=3
	v_bfe_u32 v104, v105, 23, 8
	v_and_b32_e32 v106, 0x7fffff, v105
	v_sub_nc_u32_e32 v107, 0x78, v104
	v_cmp_gt_u32_e32 vcc_lo, 0x79, v104
	v_or_b32_e32 v108, 0x800000, v106
	v_cndmask_b32_e32 v107, 0, v107, vcc_lo
	v_cmp_eq_u32_e32 vcc_lo, 0, v104
	v_add_nc_u32_e32 v104, 0xffffff89, v104
	v_cndmask_b32_e64 v107, v107, 0x77, vcc_lo
	v_cndmask_b32_e32 v106, v108, v106, vcc_lo
	v_cndmask_b32_e64 v104, v104, 0xffffff8a, vcc_lo
	v_lshl_add_u32 v108, 0x100000, v107, -1
	v_lshrrev_b32_e32 v109, v107, v106
	v_lshlrev_b32_e64 v111, v107, 0x80000
	v_add_nc_u32_e32 v107, v107, v104
	v_and_b32_e32 v106, v108, v106
	v_bfe_u32 v110, v109, 20, 1
	v_cmp_eq_u32_e64 s16, v106, v111
	v_add_nc_u32_e32 v108, -1, v110
	v_cndmask_b32_e64 v106, 0, v108, s16
	v_lshrrev_b32_e32 v108, 23, v109
	s_mov_b32 s16, exec_lo
	v_add_nc_u32_e32 v106, v106, v109
	v_xor_b32_e32 v108, 1, v108
	v_and_b32_e32 v104, 0xfffff, v106
	v_add_nc_u32_e32 v106, v104, v109
                                        ; implicit-def: $vgpr104
	v_cmpx_ne_u32_e64 v107, v108
	s_xor_b32 s16, exec_lo, s16
; %bb.7258:                             ;   in Loop: Header=BB4_6327 Depth=3
	v_cmp_lt_u32_e32 vcc_lo, 0xffffff, v106
	v_sub_nc_u32_e32 v104, v107, v108
	v_cndmask_b32_e64 v107, 0, 1, vcc_lo
	v_add_co_ci_u32_e64 v104, null, 0, v104, vcc_lo
	v_lshrrev_b32_e32 v106, v107, v106
; %bb.7259:                             ;   in Loop: Header=BB4_6327 Depth=3
	s_andn2_saveexec_b32 s16, s16
; %bb.7260:                             ;   in Loop: Header=BB4_6327 Depth=3
	v_bfe_u32 v104, v106, 23, 1
; %bb.7261:                             ;   in Loop: Header=BB4_6327 Depth=3
	s_or_b32 exec_lo, exec_lo, s16
	v_lshrrev_b32_e32 v106, 20, v106
	v_min_i32_e32 v107, 15, v104
	v_cmp_gt_i32_e32 vcc_lo, 16, v104
	v_and_b32_sdwa v105, v105, v118 dst_sel:DWORD dst_unused:UNUSED_PAD src0_sel:BYTE_3 src1_sel:DWORD
	v_lshlrev_b32_e32 v107, 3, v107
	v_cndmask_b32_e32 v106, 7, v106, vcc_lo
	v_and_b32_e32 v107, 0xf8, v107
	v_and_b32_e32 v108, 7, v106
	v_or_b32_e32 v104, v104, v106
	v_or3_b32 v105, v105, v107, v108
	v_cmp_ne_u32_e32 vcc_lo, 0, v104
	v_lshlrev_b32_e32 v105, 8, v105
	v_cndmask_b32_e32 v104, 0, v105, vcc_lo
.LBB4_7262:                             ;   in Loop: Header=BB4_6327 Depth=3
	s_or_b32 exec_lo, exec_lo, s23
.LBB4_7263:                             ;   in Loop: Header=BB4_6327 Depth=3
	s_or_b32 exec_lo, exec_lo, s22
	v_and_b32_sdwa v105, v14, v40 dst_sel:DWORD dst_unused:UNUSED_PAD src0_sel:WORD_1 src1_sel:DWORD
	s_andn2_b32 vcc_lo, exec_lo, s19
	s_mov_b32 s22, -1
                                        ; implicit-def: $vgpr106
	v_cmp_lt_i16_e64 s16, 0x7f, v105
	s_cbranch_vccnz .LBB4_7277
; %bb.7264:                             ;   in Loop: Header=BB4_6327 Depth=3
	s_mov_b32 s22, 0
	s_and_saveexec_b32 s23, s16
	s_xor_b32 s16, exec_lo, s23
	s_cbranch_execz .LBB4_7685
; %bb.7265:                             ;   in Loop: Header=BB4_6327 Depth=3
	s_mov_b32 s22, -1
	s_mov_b32 s23, exec_lo
	v_cmpx_eq_u16_e32 0x80, v105
; %bb.7266:                             ;   in Loop: Header=BB4_6327 Depth=3
	s_xor_b32 s22, exec_lo, -1
; %bb.7267:                             ;   in Loop: Header=BB4_6327 Depth=3
	s_or_b32 exec_lo, exec_lo, s23
	s_and_b32 s22, s22, exec_lo
	s_or_saveexec_b32 s16, s16
	v_mov_b32_e32 v106, 0x7f800001
	s_xor_b32 exec_lo, exec_lo, s16
	s_cbranch_execnz .LBB4_7686
.LBB4_7268:                             ;   in Loop: Header=BB4_6327 Depth=3
	s_or_b32 exec_lo, exec_lo, s16
	s_and_saveexec_b32 s16, s22
	s_cbranch_execz .LBB4_7270
.LBB4_7269:                             ;   in Loop: Header=BB4_6327 Depth=3
	v_bfe_u32 v106, v14, 16, 3
	v_bfe_u32 v109, v14, 19, 4
	v_lshlrev_b32_sdwa v110, v41, v14 dst_sel:DWORD dst_unused:UNUSED_PAD src0_sel:DWORD src1_sel:WORD_1
	v_ffbh_u32_e32 v107, v106
	v_cmp_eq_u32_e32 vcc_lo, 0, v109
	v_min_u32_e32 v107, 32, v107
	v_subrev_nc_u32_e32 v108, 28, v107
	v_sub_nc_u32_e32 v107, 29, v107
	v_lshlrev_b32_sdwa v108, v108, v14 dst_sel:DWORD dst_unused:UNUSED_PAD src0_sel:DWORD src1_sel:WORD_1
	v_cndmask_b32_e32 v107, v109, v107, vcc_lo
	v_and_b32_e32 v108, 7, v108
	v_lshl_add_u32 v107, v107, 23, 0x3b800000
	v_cndmask_b32_e32 v106, v106, v108, vcc_lo
	v_and_b32_e32 v108, 0x80000000, v110
	v_lshlrev_b32_e32 v106, 20, v106
	v_or3_b32 v106, v108, v107, v106
.LBB4_7270:                             ;   in Loop: Header=BB4_6327 Depth=3
	s_or_b32 exec_lo, exec_lo, s16
	v_and_b32_sdwa v108, v10, v40 dst_sel:DWORD dst_unused:UNUSED_PAD src0_sel:WORD_1 src1_sel:DWORD
	s_mov_b32 s16, 0
	s_mov_b32 s22, exec_lo
	v_cmpx_lt_i16_e32 0x7f, v108
	s_xor_b32 s22, exec_lo, s22
	s_cbranch_execz .LBB4_7687
; %bb.7271:                             ;   in Loop: Header=BB4_6327 Depth=3
	s_mov_b32 s16, -1
	s_mov_b32 s23, exec_lo
	v_cmpx_eq_u16_e32 0x80, v108
; %bb.7272:                             ;   in Loop: Header=BB4_6327 Depth=3
	s_xor_b32 s16, exec_lo, -1
; %bb.7273:                             ;   in Loop: Header=BB4_6327 Depth=3
	s_or_b32 exec_lo, exec_lo, s23
	s_and_b32 s16, s16, exec_lo
                                        ; implicit-def: $vgpr108
	s_or_saveexec_b32 s22, s22
	v_mov_b32_e32 v107, 0x7f800001
	s_xor_b32 exec_lo, exec_lo, s22
	s_cbranch_execnz .LBB4_7688
.LBB4_7274:                             ;   in Loop: Header=BB4_6327 Depth=3
	s_or_b32 exec_lo, exec_lo, s22
	s_and_saveexec_b32 s22, s16
	s_cbranch_execz .LBB4_7276
.LBB4_7275:                             ;   in Loop: Header=BB4_6327 Depth=3
	v_bfe_u32 v107, v10, 16, 3
	v_bfe_u32 v110, v10, 19, 4
	v_lshlrev_b32_sdwa v111, v41, v10 dst_sel:DWORD dst_unused:UNUSED_PAD src0_sel:DWORD src1_sel:WORD_1
	v_ffbh_u32_e32 v108, v107
	v_cmp_eq_u32_e32 vcc_lo, 0, v110
	v_min_u32_e32 v108, 32, v108
	v_subrev_nc_u32_e32 v109, 28, v108
	v_sub_nc_u32_e32 v108, 29, v108
	v_lshlrev_b32_sdwa v109, v109, v10 dst_sel:DWORD dst_unused:UNUSED_PAD src0_sel:DWORD src1_sel:WORD_1
	v_cndmask_b32_e32 v108, v110, v108, vcc_lo
	v_and_b32_e32 v109, 7, v109
	v_lshl_add_u32 v108, v108, 23, 0x3b800000
	v_cndmask_b32_e32 v107, v107, v109, vcc_lo
	v_and_b32_e32 v109, 0x80000000, v111
	v_lshlrev_b32_e32 v107, 20, v107
	v_or3_b32 v107, v109, v108, v107
.LBB4_7276:                             ;   in Loop: Header=BB4_6327 Depth=3
	s_or_b32 exec_lo, exec_lo, s22
	v_max_f32_e32 v107, v107, v107
	v_max_f32_e32 v106, v106, v106
	s_mov_b32 s22, 0
	v_max_f32_e32 v106, v106, v107
.LBB4_7277:                             ;   in Loop: Header=BB4_6327 Depth=3
	s_and_b32 vcc_lo, exec_lo, s22
	s_cbranch_vccz .LBB4_7291
; %bb.7278:                             ;   in Loop: Header=BB4_6327 Depth=3
	s_mov_b32 s16, 0
	s_mov_b32 s22, exec_lo
	v_cmpx_lt_i16_e32 0x7f, v105
	s_xor_b32 s22, exec_lo, s22
	s_cbranch_execz .LBB4_7689
; %bb.7279:                             ;   in Loop: Header=BB4_6327 Depth=3
	s_mov_b32 s16, -1
	s_mov_b32 s23, exec_lo
	v_cmpx_eq_u16_e32 0x80, v105
; %bb.7280:                             ;   in Loop: Header=BB4_6327 Depth=3
	s_xor_b32 s16, exec_lo, -1
; %bb.7281:                             ;   in Loop: Header=BB4_6327 Depth=3
	s_or_b32 exec_lo, exec_lo, s23
	s_and_b32 s16, s16, exec_lo
                                        ; implicit-def: $vgpr105
	s_or_saveexec_b32 s22, s22
	v_mov_b32_e32 v106, 0x7f800001
	s_xor_b32 exec_lo, exec_lo, s22
	s_cbranch_execnz .LBB4_7690
.LBB4_7282:                             ;   in Loop: Header=BB4_6327 Depth=3
	s_or_b32 exec_lo, exec_lo, s22
	s_and_saveexec_b32 s22, s16
	s_cbranch_execz .LBB4_7284
.LBB4_7283:                             ;   in Loop: Header=BB4_6327 Depth=3
	v_bfe_u32 v105, v14, 16, 3
	v_bfe_u32 v108, v14, 19, 4
	v_lshlrev_b32_sdwa v109, v41, v14 dst_sel:DWORD dst_unused:UNUSED_PAD src0_sel:DWORD src1_sel:WORD_1
	v_ffbh_u32_e32 v106, v105
	v_cmp_eq_u32_e32 vcc_lo, 0, v108
	v_min_u32_e32 v106, 32, v106
	v_subrev_nc_u32_e32 v107, 28, v106
	v_sub_nc_u32_e32 v106, 29, v106
	v_lshlrev_b32_sdwa v107, v107, v14 dst_sel:DWORD dst_unused:UNUSED_PAD src0_sel:DWORD src1_sel:WORD_1
	v_cndmask_b32_e32 v106, v108, v106, vcc_lo
	v_and_b32_e32 v107, 7, v107
	v_lshl_add_u32 v106, v106, 23, 0x3b800000
	v_cndmask_b32_e32 v105, v105, v107, vcc_lo
	v_and_b32_e32 v107, 0x80000000, v109
	v_lshlrev_b32_e32 v105, 20, v105
	v_or3_b32 v106, v107, v106, v105
.LBB4_7284:                             ;   in Loop: Header=BB4_6327 Depth=3
	s_or_b32 exec_lo, exec_lo, s22
	v_and_b32_sdwa v107, v10, v40 dst_sel:DWORD dst_unused:UNUSED_PAD src0_sel:WORD_1 src1_sel:DWORD
	s_mov_b32 s16, 0
	s_mov_b32 s22, exec_lo
	v_cmpx_lt_i16_e32 0x7f, v107
	s_xor_b32 s22, exec_lo, s22
	s_cbranch_execz .LBB4_7691
; %bb.7285:                             ;   in Loop: Header=BB4_6327 Depth=3
	s_mov_b32 s16, -1
	s_mov_b32 s23, exec_lo
	v_cmpx_eq_u16_e32 0x80, v107
; %bb.7286:                             ;   in Loop: Header=BB4_6327 Depth=3
	s_xor_b32 s16, exec_lo, -1
; %bb.7287:                             ;   in Loop: Header=BB4_6327 Depth=3
	s_or_b32 exec_lo, exec_lo, s23
	s_and_b32 s16, s16, exec_lo
                                        ; implicit-def: $vgpr107
	s_or_saveexec_b32 s22, s22
	v_mov_b32_e32 v105, 0x7f800001
	s_xor_b32 exec_lo, exec_lo, s22
	s_cbranch_execnz .LBB4_7692
.LBB4_7288:                             ;   in Loop: Header=BB4_6327 Depth=3
	s_or_b32 exec_lo, exec_lo, s22
	s_and_saveexec_b32 s22, s16
	s_cbranch_execz .LBB4_7290
.LBB4_7289:                             ;   in Loop: Header=BB4_6327 Depth=3
	v_bfe_u32 v105, v10, 16, 3
	v_bfe_u32 v109, v10, 19, 4
	v_lshlrev_b32_sdwa v110, v41, v10 dst_sel:DWORD dst_unused:UNUSED_PAD src0_sel:DWORD src1_sel:WORD_1
	v_ffbh_u32_e32 v107, v105
	v_cmp_eq_u32_e32 vcc_lo, 0, v109
	v_min_u32_e32 v107, 32, v107
	v_subrev_nc_u32_e32 v108, 28, v107
	v_sub_nc_u32_e32 v107, 29, v107
	v_lshlrev_b32_sdwa v108, v108, v10 dst_sel:DWORD dst_unused:UNUSED_PAD src0_sel:DWORD src1_sel:WORD_1
	v_cndmask_b32_e32 v107, v109, v107, vcc_lo
	v_and_b32_e32 v108, 7, v108
	v_lshl_add_u32 v107, v107, 23, 0x3b800000
	v_cndmask_b32_e32 v105, v105, v108, vcc_lo
	v_and_b32_e32 v108, 0x80000000, v110
	v_lshlrev_b32_e32 v105, 20, v105
	v_or3_b32 v105, v108, v107, v105
.LBB4_7290:                             ;   in Loop: Header=BB4_6327 Depth=3
	s_or_b32 exec_lo, exec_lo, s22
	v_max_f32_e32 v105, v105, v105
	v_max_f32_e32 v106, v106, v106
	v_min_f32_e32 v106, v106, v105
.LBB4_7291:                             ;   in Loop: Header=BB4_6327 Depth=3
	v_and_b32_e32 v105, 0x7f800000, v106
	v_cmp_ne_u32_e32 vcc_lo, 0x7f800000, v105
	v_mov_b32_e32 v105, 0x80
	s_and_saveexec_b32 s22, vcc_lo
	s_cbranch_execz .LBB4_7299
; %bb.7292:                             ;   in Loop: Header=BB4_6327 Depth=3
	v_mov_b32_e32 v105, 0
	s_mov_b32 s23, exec_lo
	v_cmpx_ne_u32_e32 0, v106
	s_cbranch_execz .LBB4_7298
; %bb.7293:                             ;   in Loop: Header=BB4_6327 Depth=3
	v_bfe_u32 v105, v106, 23, 8
	v_and_b32_e32 v107, 0x7fffff, v106
	v_sub_nc_u32_e32 v108, 0x78, v105
	v_cmp_gt_u32_e32 vcc_lo, 0x79, v105
	v_or_b32_e32 v109, 0x800000, v107
	v_cndmask_b32_e32 v108, 0, v108, vcc_lo
	v_cmp_eq_u32_e32 vcc_lo, 0, v105
	v_add_nc_u32_e32 v105, 0xffffff89, v105
	v_cndmask_b32_e64 v108, v108, 0x77, vcc_lo
	v_cndmask_b32_e32 v107, v109, v107, vcc_lo
	v_cndmask_b32_e64 v105, v105, 0xffffff8a, vcc_lo
	v_lshl_add_u32 v109, 0x100000, v108, -1
	v_lshrrev_b32_e32 v110, v108, v107
	v_lshlrev_b32_e64 v120, v108, 0x80000
	v_add_nc_u32_e32 v108, v108, v105
	v_and_b32_e32 v107, v109, v107
	v_bfe_u32 v111, v110, 20, 1
	v_cmp_eq_u32_e64 s16, v107, v120
	v_add_nc_u32_e32 v109, -1, v111
	v_cndmask_b32_e64 v107, 0, v109, s16
	v_lshrrev_b32_e32 v109, 23, v110
	s_mov_b32 s16, exec_lo
	v_add_nc_u32_e32 v107, v107, v110
	v_xor_b32_e32 v109, 1, v109
	v_and_b32_e32 v105, 0xfffff, v107
	v_add_nc_u32_e32 v107, v105, v110
                                        ; implicit-def: $vgpr105
	v_cmpx_ne_u32_e64 v108, v109
	s_xor_b32 s16, exec_lo, s16
; %bb.7294:                             ;   in Loop: Header=BB4_6327 Depth=3
	v_cmp_lt_u32_e32 vcc_lo, 0xffffff, v107
	v_sub_nc_u32_e32 v105, v108, v109
	v_cndmask_b32_e64 v108, 0, 1, vcc_lo
	v_add_co_ci_u32_e64 v105, null, 0, v105, vcc_lo
	v_lshrrev_b32_e32 v107, v108, v107
; %bb.7295:                             ;   in Loop: Header=BB4_6327 Depth=3
	s_andn2_saveexec_b32 s16, s16
; %bb.7296:                             ;   in Loop: Header=BB4_6327 Depth=3
	v_bfe_u32 v105, v107, 23, 1
; %bb.7297:                             ;   in Loop: Header=BB4_6327 Depth=3
	s_or_b32 exec_lo, exec_lo, s16
	v_lshrrev_b32_e32 v107, 20, v107
	v_min_i32_e32 v108, 15, v105
	v_cmp_gt_i32_e32 vcc_lo, 16, v105
	v_and_b32_sdwa v106, v106, v118 dst_sel:DWORD dst_unused:UNUSED_PAD src0_sel:BYTE_3 src1_sel:DWORD
	v_lshlrev_b32_e32 v108, 3, v108
	v_cndmask_b32_e32 v107, 7, v107, vcc_lo
	v_and_b32_e32 v108, 0xf8, v108
	v_and_b32_e32 v109, 7, v107
	v_or_b32_e32 v105, v105, v107
	v_or3_b32 v106, v108, v106, v109
	v_cmp_ne_u32_e32 vcc_lo, 0, v105
	v_cndmask_b32_e32 v105, 0, v106, vcc_lo
.LBB4_7298:                             ;   in Loop: Header=BB4_6327 Depth=3
	s_or_b32 exec_lo, exec_lo, s23
.LBB4_7299:                             ;   in Loop: Header=BB4_6327 Depth=3
	s_or_b32 exec_lo, exec_lo, s22
	v_cmp_gt_i16_sdwa s22, v14, v117 src0_sel:BYTE_3 src1_sel:DWORD
	s_andn2_b32 vcc_lo, exec_lo, s19
	s_mov_b32 s16, -1
                                        ; implicit-def: $vgpr106
	s_cbranch_vccnz .LBB4_7313
; %bb.7300:                             ;   in Loop: Header=BB4_6327 Depth=3
	s_mov_b32 s16, 0
	s_and_saveexec_b32 s23, s22
	s_xor_b32 s22, exec_lo, s23
	s_cbranch_execz .LBB4_7693
; %bb.7301:                             ;   in Loop: Header=BB4_6327 Depth=3
	v_cmp_eq_u16_sdwa s73, v14, v118 src0_sel:BYTE_3 src1_sel:DWORD
	s_mov_b32 s16, -1
	s_and_saveexec_b32 s23, s73
; %bb.7302:                             ;   in Loop: Header=BB4_6327 Depth=3
	s_xor_b32 s16, exec_lo, -1
; %bb.7303:                             ;   in Loop: Header=BB4_6327 Depth=3
	s_or_b32 exec_lo, exec_lo, s23
	s_and_b32 s16, s16, exec_lo
	s_or_saveexec_b32 s22, s22
	v_mov_b32_e32 v106, 0x7f800001
	s_xor_b32 exec_lo, exec_lo, s22
	s_cbranch_execnz .LBB4_7694
.LBB4_7304:                             ;   in Loop: Header=BB4_6327 Depth=3
	s_or_b32 exec_lo, exec_lo, s22
	s_and_saveexec_b32 s22, s16
	s_cbranch_execz .LBB4_7306
.LBB4_7305:                             ;   in Loop: Header=BB4_6327 Depth=3
	v_bfe_u32 v106, v14, 24, 3
	v_bfe_u32 v109, v14, 27, 4
	v_ffbh_u32_e32 v107, v106
	v_cmp_eq_u32_e32 vcc_lo, 0, v109
	v_min_u32_e32 v107, 32, v107
	v_subrev_nc_u32_e32 v108, 28, v107
	v_sub_nc_u32_e32 v107, 29, v107
	v_lshlrev_b32_sdwa v108, v108, v14 dst_sel:DWORD dst_unused:UNUSED_PAD src0_sel:DWORD src1_sel:BYTE_3
	v_cndmask_b32_e32 v107, v109, v107, vcc_lo
	v_and_b32_e32 v108, 7, v108
	v_lshl_add_u32 v107, v107, 23, 0x3b800000
	v_cndmask_b32_e32 v106, v106, v108, vcc_lo
	v_and_b32_e32 v108, 0x80000000, v14
	v_lshlrev_b32_e32 v106, 20, v106
	v_or3_b32 v106, v108, v107, v106
.LBB4_7306:                             ;   in Loop: Header=BB4_6327 Depth=3
	s_or_b32 exec_lo, exec_lo, s22
	v_cmp_gt_i16_sdwa s22, v10, v117 src0_sel:BYTE_3 src1_sel:DWORD
	s_mov_b32 s16, 0
	s_and_saveexec_b32 s23, s22
	s_xor_b32 s22, exec_lo, s23
	s_cbranch_execz .LBB4_7695
; %bb.7307:                             ;   in Loop: Header=BB4_6327 Depth=3
	v_cmp_eq_u16_sdwa s73, v10, v118 src0_sel:BYTE_3 src1_sel:DWORD
	s_mov_b32 s16, -1
	s_and_saveexec_b32 s23, s73
; %bb.7308:                             ;   in Loop: Header=BB4_6327 Depth=3
	s_xor_b32 s16, exec_lo, -1
; %bb.7309:                             ;   in Loop: Header=BB4_6327 Depth=3
	s_or_b32 exec_lo, exec_lo, s23
	s_and_b32 s16, s16, exec_lo
	s_or_saveexec_b32 s22, s22
	v_mov_b32_e32 v107, 0x7f800001
	s_xor_b32 exec_lo, exec_lo, s22
	s_cbranch_execnz .LBB4_7696
.LBB4_7310:                             ;   in Loop: Header=BB4_6327 Depth=3
	s_or_b32 exec_lo, exec_lo, s22
	s_and_saveexec_b32 s22, s16
	s_cbranch_execz .LBB4_7312
.LBB4_7311:                             ;   in Loop: Header=BB4_6327 Depth=3
	v_bfe_u32 v107, v10, 24, 3
	v_bfe_u32 v110, v10, 27, 4
	v_ffbh_u32_e32 v108, v107
	v_cmp_eq_u32_e32 vcc_lo, 0, v110
	v_min_u32_e32 v108, 32, v108
	v_subrev_nc_u32_e32 v109, 28, v108
	v_sub_nc_u32_e32 v108, 29, v108
	v_lshlrev_b32_sdwa v109, v109, v10 dst_sel:DWORD dst_unused:UNUSED_PAD src0_sel:DWORD src1_sel:BYTE_3
	v_cndmask_b32_e32 v108, v110, v108, vcc_lo
	v_and_b32_e32 v109, 7, v109
	v_lshl_add_u32 v108, v108, 23, 0x3b800000
	v_cndmask_b32_e32 v107, v107, v109, vcc_lo
	v_and_b32_e32 v109, 0x80000000, v10
	v_lshlrev_b32_e32 v107, 20, v107
	v_or3_b32 v107, v109, v108, v107
.LBB4_7312:                             ;   in Loop: Header=BB4_6327 Depth=3
	s_or_b32 exec_lo, exec_lo, s22
	v_max_f32_e32 v107, v107, v107
	v_max_f32_e32 v106, v106, v106
	s_mov_b32 s16, 0
	v_max_f32_e32 v106, v106, v107
.LBB4_7313:                             ;   in Loop: Header=BB4_6327 Depth=3
	s_and_b32 vcc_lo, exec_lo, s16
	s_cbranch_vccz .LBB4_7327
; %bb.7314:                             ;   in Loop: Header=BB4_6327 Depth=3
	v_cmp_gt_i16_sdwa s22, v14, v117 src0_sel:BYTE_3 src1_sel:DWORD
	s_mov_b32 s16, 0
	s_and_saveexec_b32 s23, s22
	s_xor_b32 s22, exec_lo, s23
	s_cbranch_execz .LBB4_7697
; %bb.7315:                             ;   in Loop: Header=BB4_6327 Depth=3
	v_cmp_eq_u16_sdwa s73, v14, v118 src0_sel:BYTE_3 src1_sel:DWORD
	s_mov_b32 s16, -1
	s_and_saveexec_b32 s23, s73
; %bb.7316:                             ;   in Loop: Header=BB4_6327 Depth=3
	s_xor_b32 s16, exec_lo, -1
; %bb.7317:                             ;   in Loop: Header=BB4_6327 Depth=3
	s_or_b32 exec_lo, exec_lo, s23
	s_and_b32 s16, s16, exec_lo
	s_or_saveexec_b32 s22, s22
	v_mov_b32_e32 v106, 0x7f800001
	s_xor_b32 exec_lo, exec_lo, s22
	s_cbranch_execnz .LBB4_7698
.LBB4_7318:                             ;   in Loop: Header=BB4_6327 Depth=3
	s_or_b32 exec_lo, exec_lo, s22
	s_and_saveexec_b32 s22, s16
	s_cbranch_execz .LBB4_7320
.LBB4_7319:                             ;   in Loop: Header=BB4_6327 Depth=3
	v_bfe_u32 v106, v14, 24, 3
	v_bfe_u32 v109, v14, 27, 4
	v_ffbh_u32_e32 v107, v106
	v_cmp_eq_u32_e32 vcc_lo, 0, v109
	v_min_u32_e32 v107, 32, v107
	v_subrev_nc_u32_e32 v108, 28, v107
	v_sub_nc_u32_e32 v107, 29, v107
	v_lshlrev_b32_sdwa v108, v108, v14 dst_sel:DWORD dst_unused:UNUSED_PAD src0_sel:DWORD src1_sel:BYTE_3
	v_cndmask_b32_e32 v107, v109, v107, vcc_lo
	v_and_b32_e32 v14, 0x80000000, v14
	v_and_b32_e32 v108, 7, v108
	v_lshl_add_u32 v107, v107, 23, 0x3b800000
	v_cndmask_b32_e32 v106, v106, v108, vcc_lo
	v_lshlrev_b32_e32 v106, 20, v106
	v_or3_b32 v106, v14, v107, v106
.LBB4_7320:                             ;   in Loop: Header=BB4_6327 Depth=3
	s_or_b32 exec_lo, exec_lo, s22
	v_cmp_gt_i16_sdwa s22, v10, v117 src0_sel:BYTE_3 src1_sel:DWORD
	s_mov_b32 s16, 0
	s_and_saveexec_b32 s23, s22
	s_xor_b32 s22, exec_lo, s23
	s_cbranch_execz .LBB4_7699
; %bb.7321:                             ;   in Loop: Header=BB4_6327 Depth=3
	v_cmp_eq_u16_sdwa s73, v10, v118 src0_sel:BYTE_3 src1_sel:DWORD
	s_mov_b32 s16, -1
	s_and_saveexec_b32 s23, s73
; %bb.7322:                             ;   in Loop: Header=BB4_6327 Depth=3
	s_xor_b32 s16, exec_lo, -1
; %bb.7323:                             ;   in Loop: Header=BB4_6327 Depth=3
	s_or_b32 exec_lo, exec_lo, s23
	s_and_b32 s16, s16, exec_lo
	s_or_saveexec_b32 s22, s22
	v_mov_b32_e32 v14, 0x7f800001
	s_xor_b32 exec_lo, exec_lo, s22
	s_cbranch_execnz .LBB4_7700
.LBB4_7324:                             ;   in Loop: Header=BB4_6327 Depth=3
	s_or_b32 exec_lo, exec_lo, s22
	s_and_saveexec_b32 s22, s16
	s_cbranch_execz .LBB4_7326
.LBB4_7325:                             ;   in Loop: Header=BB4_6327 Depth=3
	v_bfe_u32 v14, v10, 24, 3
	v_bfe_u32 v109, v10, 27, 4
	v_ffbh_u32_e32 v107, v14
	v_cmp_eq_u32_e32 vcc_lo, 0, v109
	v_min_u32_e32 v107, 32, v107
	v_subrev_nc_u32_e32 v108, 28, v107
	v_sub_nc_u32_e32 v107, 29, v107
	v_lshlrev_b32_sdwa v108, v108, v10 dst_sel:DWORD dst_unused:UNUSED_PAD src0_sel:DWORD src1_sel:BYTE_3
	v_cndmask_b32_e32 v107, v109, v107, vcc_lo
	v_and_b32_e32 v10, 0x80000000, v10
	v_and_b32_e32 v108, 7, v108
	v_lshl_add_u32 v107, v107, 23, 0x3b800000
	v_cndmask_b32_e32 v14, v14, v108, vcc_lo
	v_lshlrev_b32_e32 v14, 20, v14
	v_or3_b32 v14, v10, v107, v14
.LBB4_7326:                             ;   in Loop: Header=BB4_6327 Depth=3
	s_or_b32 exec_lo, exec_lo, s22
	v_max_f32_e32 v10, v14, v14
	v_max_f32_e32 v14, v106, v106
	v_min_f32_e32 v106, v14, v10
.LBB4_7327:                             ;   in Loop: Header=BB4_6327 Depth=3
	v_and_b32_e32 v10, 0x7f800000, v106
	v_cmp_ne_u32_e32 vcc_lo, 0x7f800000, v10
	v_mov_b32_e32 v10, 0x8000
	s_and_saveexec_b32 s22, vcc_lo
	s_cbranch_execz .LBB4_7335
; %bb.7328:                             ;   in Loop: Header=BB4_6327 Depth=3
	v_mov_b32_e32 v10, 0
	s_mov_b32 s23, exec_lo
	v_cmpx_ne_u32_e32 0, v106
	s_cbranch_execz .LBB4_7334
; %bb.7329:                             ;   in Loop: Header=BB4_6327 Depth=3
	v_bfe_u32 v10, v106, 23, 8
	v_and_b32_e32 v14, 0x7fffff, v106
	v_sub_nc_u32_e32 v107, 0x78, v10
	v_cmp_gt_u32_e32 vcc_lo, 0x79, v10
	v_or_b32_e32 v108, 0x800000, v14
	v_cndmask_b32_e32 v107, 0, v107, vcc_lo
	v_cmp_eq_u32_e32 vcc_lo, 0, v10
	v_add_nc_u32_e32 v10, 0xffffff89, v10
	v_cndmask_b32_e64 v107, v107, 0x77, vcc_lo
	v_cndmask_b32_e32 v14, v108, v14, vcc_lo
	v_cndmask_b32_e64 v10, v10, 0xffffff8a, vcc_lo
	v_lshl_add_u32 v108, 0x100000, v107, -1
	v_lshrrev_b32_e32 v109, v107, v14
	v_lshlrev_b32_e64 v111, v107, 0x80000
	v_add_nc_u32_e32 v107, v107, v10
	v_and_b32_e32 v14, v108, v14
	v_bfe_u32 v110, v109, 20, 1
	v_cmp_eq_u32_e64 s16, v14, v111
	v_add_nc_u32_e32 v108, -1, v110
	v_cndmask_b32_e64 v14, 0, v108, s16
	v_lshrrev_b32_e32 v108, 23, v109
	s_mov_b32 s16, exec_lo
	v_add_nc_u32_e32 v14, v14, v109
	v_xor_b32_e32 v108, 1, v108
	v_and_b32_e32 v10, 0xfffff, v14
	v_add_nc_u32_e32 v14, v10, v109
                                        ; implicit-def: $vgpr10
	v_cmpx_ne_u32_e64 v107, v108
	s_xor_b32 s16, exec_lo, s16
; %bb.7330:                             ;   in Loop: Header=BB4_6327 Depth=3
	v_cmp_lt_u32_e32 vcc_lo, 0xffffff, v14
	v_sub_nc_u32_e32 v10, v107, v108
	v_cndmask_b32_e64 v107, 0, 1, vcc_lo
	v_add_co_ci_u32_e64 v10, null, 0, v10, vcc_lo
	v_lshrrev_b32_e32 v14, v107, v14
; %bb.7331:                             ;   in Loop: Header=BB4_6327 Depth=3
	s_andn2_saveexec_b32 s16, s16
; %bb.7332:                             ;   in Loop: Header=BB4_6327 Depth=3
	v_bfe_u32 v10, v14, 23, 1
; %bb.7333:                             ;   in Loop: Header=BB4_6327 Depth=3
	s_or_b32 exec_lo, exec_lo, s16
	v_lshrrev_b32_e32 v14, 20, v14
	v_min_i32_e32 v107, 15, v10
	v_cmp_gt_i32_e32 vcc_lo, 16, v10
	v_and_b32_sdwa v106, v106, v118 dst_sel:DWORD dst_unused:UNUSED_PAD src0_sel:BYTE_3 src1_sel:DWORD
	v_lshlrev_b32_e32 v107, 3, v107
	v_cndmask_b32_e32 v14, 7, v14, vcc_lo
	v_and_b32_e32 v107, 0xf8, v107
	v_and_b32_e32 v108, 7, v14
	v_or_b32_e32 v10, v10, v14
	v_or3_b32 v106, v106, v107, v108
	v_cmp_ne_u32_e32 vcc_lo, 0, v10
	v_lshlrev_b32_e32 v14, 8, v106
	v_cndmask_b32_e32 v10, 0, v14, vcc_lo
.LBB4_7334:                             ;   in Loop: Header=BB4_6327 Depth=3
	s_or_b32 exec_lo, exec_lo, s23
.LBB4_7335:                             ;   in Loop: Header=BB4_6327 Depth=3
	s_or_b32 exec_lo, exec_lo, s22
	v_cmp_gt_i16_sdwa s22, v15, v117 src0_sel:BYTE_0 src1_sel:DWORD
	s_andn2_b32 vcc_lo, exec_lo, s19
	s_mov_b32 s16, -1
                                        ; implicit-def: $vgpr106
	s_cbranch_vccnz .LBB4_7349
; %bb.7336:                             ;   in Loop: Header=BB4_6327 Depth=3
	s_mov_b32 s16, 0
	s_and_saveexec_b32 s23, s22
	s_xor_b32 s22, exec_lo, s23
	s_cbranch_execz .LBB4_7701
; %bb.7337:                             ;   in Loop: Header=BB4_6327 Depth=3
	v_cmp_eq_u16_sdwa s73, v15, v118 src0_sel:BYTE_0 src1_sel:DWORD
	s_mov_b32 s16, -1
	s_and_saveexec_b32 s23, s73
; %bb.7338:                             ;   in Loop: Header=BB4_6327 Depth=3
	s_xor_b32 s16, exec_lo, -1
; %bb.7339:                             ;   in Loop: Header=BB4_6327 Depth=3
	s_or_b32 exec_lo, exec_lo, s23
	s_and_b32 s16, s16, exec_lo
	s_or_saveexec_b32 s22, s22
	v_mov_b32_e32 v14, 0x7f800001
	s_xor_b32 exec_lo, exec_lo, s22
	s_cbranch_execnz .LBB4_7702
.LBB4_7340:                             ;   in Loop: Header=BB4_6327 Depth=3
	s_or_b32 exec_lo, exec_lo, s22
	s_and_saveexec_b32 s22, s16
	s_cbranch_execz .LBB4_7342
.LBB4_7341:                             ;   in Loop: Header=BB4_6327 Depth=3
	v_and_b32_e32 v14, 7, v15
	v_bfe_u32 v108, v15, 3, 4
	v_lshlrev_b32_e32 v109, 24, v15
	v_ffbh_u32_e32 v106, v14
	v_cmp_eq_u32_e32 vcc_lo, 0, v108
	v_min_u32_e32 v106, 32, v106
	v_subrev_nc_u32_e32 v107, 28, v106
	v_sub_nc_u32_e32 v106, 29, v106
	v_lshlrev_b32_e32 v107, v107, v15
	v_cndmask_b32_e32 v106, v108, v106, vcc_lo
	v_and_b32_e32 v107, 7, v107
	v_lshl_add_u32 v106, v106, 23, 0x3b800000
	v_cndmask_b32_e32 v14, v14, v107, vcc_lo
	v_and_b32_e32 v107, 0x80000000, v109
	v_lshlrev_b32_e32 v14, 20, v14
	v_or3_b32 v14, v107, v106, v14
.LBB4_7342:                             ;   in Loop: Header=BB4_6327 Depth=3
	s_or_b32 exec_lo, exec_lo, s22
	v_cmp_gt_i16_sdwa s22, v11, v117 src0_sel:BYTE_0 src1_sel:DWORD
	s_mov_b32 s16, 0
	s_and_saveexec_b32 s23, s22
	s_xor_b32 s22, exec_lo, s23
	s_cbranch_execz .LBB4_7703
; %bb.7343:                             ;   in Loop: Header=BB4_6327 Depth=3
	v_cmp_eq_u16_sdwa s73, v11, v118 src0_sel:BYTE_0 src1_sel:DWORD
	s_mov_b32 s16, -1
	s_and_saveexec_b32 s23, s73
; %bb.7344:                             ;   in Loop: Header=BB4_6327 Depth=3
	s_xor_b32 s16, exec_lo, -1
; %bb.7345:                             ;   in Loop: Header=BB4_6327 Depth=3
	s_or_b32 exec_lo, exec_lo, s23
	s_and_b32 s16, s16, exec_lo
	s_or_saveexec_b32 s22, s22
	v_mov_b32_e32 v106, 0x7f800001
	s_xor_b32 exec_lo, exec_lo, s22
	s_cbranch_execnz .LBB4_7704
.LBB4_7346:                             ;   in Loop: Header=BB4_6327 Depth=3
	s_or_b32 exec_lo, exec_lo, s22
	s_and_saveexec_b32 s22, s16
	s_cbranch_execz .LBB4_7348
.LBB4_7347:                             ;   in Loop: Header=BB4_6327 Depth=3
	v_and_b32_e32 v106, 7, v11
	v_bfe_u32 v109, v11, 3, 4
	v_lshlrev_b32_e32 v110, 24, v11
	v_ffbh_u32_e32 v107, v106
	v_cmp_eq_u32_e32 vcc_lo, 0, v109
	v_min_u32_e32 v107, 32, v107
	v_subrev_nc_u32_e32 v108, 28, v107
	v_sub_nc_u32_e32 v107, 29, v107
	v_lshlrev_b32_e32 v108, v108, v11
	v_cndmask_b32_e32 v107, v109, v107, vcc_lo
	v_and_b32_e32 v108, 7, v108
	v_lshl_add_u32 v107, v107, 23, 0x3b800000
	v_cndmask_b32_e32 v106, v106, v108, vcc_lo
	v_and_b32_e32 v108, 0x80000000, v110
	v_lshlrev_b32_e32 v106, 20, v106
	v_or3_b32 v106, v108, v107, v106
.LBB4_7348:                             ;   in Loop: Header=BB4_6327 Depth=3
	s_or_b32 exec_lo, exec_lo, s22
	v_max_f32_e32 v106, v106, v106
	v_max_f32_e32 v14, v14, v14
	s_mov_b32 s16, 0
	v_max_f32_e32 v106, v14, v106
.LBB4_7349:                             ;   in Loop: Header=BB4_6327 Depth=3
	s_and_b32 vcc_lo, exec_lo, s16
	s_cbranch_vccz .LBB4_7363
; %bb.7350:                             ;   in Loop: Header=BB4_6327 Depth=3
	v_cmp_gt_i16_sdwa s22, v15, v117 src0_sel:BYTE_0 src1_sel:DWORD
	s_mov_b32 s16, 0
	s_and_saveexec_b32 s23, s22
	s_xor_b32 s22, exec_lo, s23
	s_cbranch_execz .LBB4_7705
; %bb.7351:                             ;   in Loop: Header=BB4_6327 Depth=3
	v_cmp_eq_u16_sdwa s73, v15, v118 src0_sel:BYTE_0 src1_sel:DWORD
	s_mov_b32 s16, -1
	s_and_saveexec_b32 s23, s73
; %bb.7352:                             ;   in Loop: Header=BB4_6327 Depth=3
	s_xor_b32 s16, exec_lo, -1
; %bb.7353:                             ;   in Loop: Header=BB4_6327 Depth=3
	s_or_b32 exec_lo, exec_lo, s23
	s_and_b32 s16, s16, exec_lo
	s_or_saveexec_b32 s22, s22
	v_mov_b32_e32 v14, 0x7f800001
	s_xor_b32 exec_lo, exec_lo, s22
	s_cbranch_execnz .LBB4_7706
.LBB4_7354:                             ;   in Loop: Header=BB4_6327 Depth=3
	s_or_b32 exec_lo, exec_lo, s22
	s_and_saveexec_b32 s22, s16
	s_cbranch_execz .LBB4_7356
.LBB4_7355:                             ;   in Loop: Header=BB4_6327 Depth=3
	v_and_b32_e32 v14, 7, v15
	v_bfe_u32 v108, v15, 3, 4
	v_lshlrev_b32_e32 v109, 24, v15
	v_ffbh_u32_e32 v106, v14
	v_cmp_eq_u32_e32 vcc_lo, 0, v108
	v_min_u32_e32 v106, 32, v106
	v_subrev_nc_u32_e32 v107, 28, v106
	v_sub_nc_u32_e32 v106, 29, v106
	v_lshlrev_b32_e32 v107, v107, v15
	v_cndmask_b32_e32 v106, v108, v106, vcc_lo
	v_and_b32_e32 v107, 7, v107
	v_lshl_add_u32 v106, v106, 23, 0x3b800000
	v_cndmask_b32_e32 v14, v14, v107, vcc_lo
	v_and_b32_e32 v107, 0x80000000, v109
	v_lshlrev_b32_e32 v14, 20, v14
	v_or3_b32 v14, v107, v106, v14
.LBB4_7356:                             ;   in Loop: Header=BB4_6327 Depth=3
	s_or_b32 exec_lo, exec_lo, s22
	v_cmp_gt_i16_sdwa s22, v11, v117 src0_sel:BYTE_0 src1_sel:DWORD
	s_mov_b32 s16, 0
	s_and_saveexec_b32 s23, s22
	s_xor_b32 s22, exec_lo, s23
	s_cbranch_execz .LBB4_7707
; %bb.7357:                             ;   in Loop: Header=BB4_6327 Depth=3
	v_cmp_eq_u16_sdwa s73, v11, v118 src0_sel:BYTE_0 src1_sel:DWORD
	s_mov_b32 s16, -1
	s_and_saveexec_b32 s23, s73
; %bb.7358:                             ;   in Loop: Header=BB4_6327 Depth=3
	s_xor_b32 s16, exec_lo, -1
; %bb.7359:                             ;   in Loop: Header=BB4_6327 Depth=3
	s_or_b32 exec_lo, exec_lo, s23
	s_and_b32 s16, s16, exec_lo
	s_or_saveexec_b32 s22, s22
	v_mov_b32_e32 v106, 0x7f800001
	s_xor_b32 exec_lo, exec_lo, s22
	s_cbranch_execnz .LBB4_7708
.LBB4_7360:                             ;   in Loop: Header=BB4_6327 Depth=3
	s_or_b32 exec_lo, exec_lo, s22
	s_and_saveexec_b32 s22, s16
	s_cbranch_execz .LBB4_7362
.LBB4_7361:                             ;   in Loop: Header=BB4_6327 Depth=3
	v_and_b32_e32 v106, 7, v11
	v_bfe_u32 v109, v11, 3, 4
	v_lshlrev_b32_e32 v110, 24, v11
	v_ffbh_u32_e32 v107, v106
	v_cmp_eq_u32_e32 vcc_lo, 0, v109
	v_min_u32_e32 v107, 32, v107
	v_subrev_nc_u32_e32 v108, 28, v107
	v_sub_nc_u32_e32 v107, 29, v107
	v_lshlrev_b32_e32 v108, v108, v11
	v_cndmask_b32_e32 v107, v109, v107, vcc_lo
	v_and_b32_e32 v108, 7, v108
	v_lshl_add_u32 v107, v107, 23, 0x3b800000
	v_cndmask_b32_e32 v106, v106, v108, vcc_lo
	v_and_b32_e32 v108, 0x80000000, v110
	v_lshlrev_b32_e32 v106, 20, v106
	v_or3_b32 v106, v108, v107, v106
.LBB4_7362:                             ;   in Loop: Header=BB4_6327 Depth=3
	s_or_b32 exec_lo, exec_lo, s22
	v_max_f32_e32 v106, v106, v106
	v_max_f32_e32 v14, v14, v14
	v_min_f32_e32 v106, v14, v106
.LBB4_7363:                             ;   in Loop: Header=BB4_6327 Depth=3
	v_and_b32_e32 v14, 0x7f800000, v106
	v_cmp_ne_u32_e32 vcc_lo, 0x7f800000, v14
	v_mov_b32_e32 v14, 0x80
	s_and_saveexec_b32 s22, vcc_lo
	s_cbranch_execz .LBB4_7371
; %bb.7364:                             ;   in Loop: Header=BB4_6327 Depth=3
	v_mov_b32_e32 v14, 0
	s_mov_b32 s23, exec_lo
	v_cmpx_ne_u32_e32 0, v106
	s_cbranch_execz .LBB4_7370
; %bb.7365:                             ;   in Loop: Header=BB4_6327 Depth=3
	v_bfe_u32 v14, v106, 23, 8
	v_and_b32_e32 v107, 0x7fffff, v106
	v_sub_nc_u32_e32 v108, 0x78, v14
	v_cmp_gt_u32_e32 vcc_lo, 0x79, v14
	v_or_b32_e32 v109, 0x800000, v107
	v_cndmask_b32_e32 v108, 0, v108, vcc_lo
	v_cmp_eq_u32_e32 vcc_lo, 0, v14
	v_add_nc_u32_e32 v14, 0xffffff89, v14
	v_cndmask_b32_e64 v108, v108, 0x77, vcc_lo
	v_cndmask_b32_e32 v107, v109, v107, vcc_lo
	v_cndmask_b32_e64 v14, v14, 0xffffff8a, vcc_lo
	v_lshl_add_u32 v109, 0x100000, v108, -1
	v_lshrrev_b32_e32 v110, v108, v107
	v_lshlrev_b32_e64 v120, v108, 0x80000
	v_add_nc_u32_e32 v108, v108, v14
	v_and_b32_e32 v107, v109, v107
	v_bfe_u32 v111, v110, 20, 1
	v_cmp_eq_u32_e64 s16, v107, v120
	v_add_nc_u32_e32 v109, -1, v111
	v_cndmask_b32_e64 v107, 0, v109, s16
	v_lshrrev_b32_e32 v109, 23, v110
	s_mov_b32 s16, exec_lo
	v_add_nc_u32_e32 v107, v107, v110
	v_xor_b32_e32 v109, 1, v109
	v_and_b32_e32 v14, 0xfffff, v107
	v_add_nc_u32_e32 v107, v14, v110
                                        ; implicit-def: $vgpr14
	v_cmpx_ne_u32_e64 v108, v109
	s_xor_b32 s16, exec_lo, s16
; %bb.7366:                             ;   in Loop: Header=BB4_6327 Depth=3
	v_cmp_lt_u32_e32 vcc_lo, 0xffffff, v107
	v_sub_nc_u32_e32 v14, v108, v109
	v_cndmask_b32_e64 v108, 0, 1, vcc_lo
	v_add_co_ci_u32_e64 v14, null, 0, v14, vcc_lo
	v_lshrrev_b32_e32 v107, v108, v107
; %bb.7367:                             ;   in Loop: Header=BB4_6327 Depth=3
	s_andn2_saveexec_b32 s16, s16
; %bb.7368:                             ;   in Loop: Header=BB4_6327 Depth=3
	v_bfe_u32 v14, v107, 23, 1
; %bb.7369:                             ;   in Loop: Header=BB4_6327 Depth=3
	s_or_b32 exec_lo, exec_lo, s16
	v_lshrrev_b32_e32 v107, 20, v107
	v_min_i32_e32 v108, 15, v14
	v_cmp_gt_i32_e32 vcc_lo, 16, v14
	v_and_b32_sdwa v106, v106, v118 dst_sel:DWORD dst_unused:UNUSED_PAD src0_sel:BYTE_3 src1_sel:DWORD
	v_lshlrev_b32_e32 v108, 3, v108
	v_cndmask_b32_e32 v107, 7, v107, vcc_lo
	v_and_b32_e32 v108, 0xf8, v108
	v_and_b32_e32 v109, 7, v107
	v_or_b32_e32 v14, v14, v107
	v_or3_b32 v106, v108, v106, v109
	v_cmp_ne_u32_e32 vcc_lo, 0, v14
	v_cndmask_b32_e32 v14, 0, v106, vcc_lo
.LBB4_7370:                             ;   in Loop: Header=BB4_6327 Depth=3
	s_or_b32 exec_lo, exec_lo, s23
.LBB4_7371:                             ;   in Loop: Header=BB4_6327 Depth=3
	s_or_b32 exec_lo, exec_lo, s22
	v_cmp_gt_i16_sdwa s22, v15, v117 src0_sel:BYTE_1 src1_sel:DWORD
	s_andn2_b32 vcc_lo, exec_lo, s19
	s_mov_b32 s16, -1
                                        ; implicit-def: $vgpr107
	s_cbranch_vccnz .LBB4_7385
; %bb.7372:                             ;   in Loop: Header=BB4_6327 Depth=3
	s_mov_b32 s16, 0
	s_and_saveexec_b32 s23, s22
	s_xor_b32 s22, exec_lo, s23
	s_cbranch_execz .LBB4_7709
; %bb.7373:                             ;   in Loop: Header=BB4_6327 Depth=3
	v_cmp_eq_u16_sdwa s73, v15, v118 src0_sel:BYTE_1 src1_sel:DWORD
	s_mov_b32 s16, -1
	s_and_saveexec_b32 s23, s73
; %bb.7374:                             ;   in Loop: Header=BB4_6327 Depth=3
	s_xor_b32 s16, exec_lo, -1
; %bb.7375:                             ;   in Loop: Header=BB4_6327 Depth=3
	s_or_b32 exec_lo, exec_lo, s23
	s_and_b32 s16, s16, exec_lo
	s_or_saveexec_b32 s22, s22
	v_mov_b32_e32 v106, 0x7f800001
	s_xor_b32 exec_lo, exec_lo, s22
	s_cbranch_execnz .LBB4_7710
.LBB4_7376:                             ;   in Loop: Header=BB4_6327 Depth=3
	s_or_b32 exec_lo, exec_lo, s22
	s_and_saveexec_b32 s22, s16
	s_cbranch_execz .LBB4_7378
.LBB4_7377:                             ;   in Loop: Header=BB4_6327 Depth=3
	v_and_b32_sdwa v106, v119, v15 dst_sel:DWORD dst_unused:UNUSED_PAD src0_sel:DWORD src1_sel:BYTE_1
	v_and_b32_e32 v107, 7, v106
	v_bfe_u32 v110, v106, 3, 4
	v_ffbh_u32_e32 v108, v107
	v_cmp_eq_u32_e32 vcc_lo, 0, v110
	v_min_u32_e32 v108, 32, v108
	v_subrev_nc_u32_e32 v109, 28, v108
	v_sub_nc_u32_e32 v108, 29, v108
	v_lshlrev_b32_e32 v106, v109, v106
	v_lshlrev_b32_e32 v109, 16, v15
	v_cndmask_b32_e32 v108, v110, v108, vcc_lo
	v_and_b32_e32 v106, 7, v106
	v_lshl_add_u32 v108, v108, 23, 0x3b800000
	v_cndmask_b32_e32 v106, v107, v106, vcc_lo
	v_and_b32_e32 v107, 0x80000000, v109
	v_lshlrev_b32_e32 v106, 20, v106
	v_or3_b32 v106, v107, v108, v106
.LBB4_7378:                             ;   in Loop: Header=BB4_6327 Depth=3
	s_or_b32 exec_lo, exec_lo, s22
	v_cmp_gt_i16_sdwa s22, v11, v117 src0_sel:BYTE_1 src1_sel:DWORD
	s_mov_b32 s16, 0
	s_and_saveexec_b32 s23, s22
	s_xor_b32 s22, exec_lo, s23
	s_cbranch_execz .LBB4_7711
; %bb.7379:                             ;   in Loop: Header=BB4_6327 Depth=3
	v_cmp_eq_u16_sdwa s73, v11, v118 src0_sel:BYTE_1 src1_sel:DWORD
	s_mov_b32 s16, -1
	s_and_saveexec_b32 s23, s73
; %bb.7380:                             ;   in Loop: Header=BB4_6327 Depth=3
	s_xor_b32 s16, exec_lo, -1
; %bb.7381:                             ;   in Loop: Header=BB4_6327 Depth=3
	s_or_b32 exec_lo, exec_lo, s23
	s_and_b32 s16, s16, exec_lo
	s_or_saveexec_b32 s22, s22
	v_mov_b32_e32 v107, 0x7f800001
	s_xor_b32 exec_lo, exec_lo, s22
	s_cbranch_execnz .LBB4_7712
.LBB4_7382:                             ;   in Loop: Header=BB4_6327 Depth=3
	s_or_b32 exec_lo, exec_lo, s22
	s_and_saveexec_b32 s22, s16
	s_cbranch_execz .LBB4_7384
.LBB4_7383:                             ;   in Loop: Header=BB4_6327 Depth=3
	v_and_b32_sdwa v107, v119, v11 dst_sel:DWORD dst_unused:UNUSED_PAD src0_sel:DWORD src1_sel:BYTE_1
	v_and_b32_e32 v108, 7, v107
	v_bfe_u32 v111, v107, 3, 4
	v_ffbh_u32_e32 v109, v108
	v_cmp_eq_u32_e32 vcc_lo, 0, v111
	v_min_u32_e32 v109, 32, v109
	v_subrev_nc_u32_e32 v110, 28, v109
	v_sub_nc_u32_e32 v109, 29, v109
	v_lshlrev_b32_e32 v107, v110, v107
	v_lshlrev_b32_e32 v110, 16, v11
	v_cndmask_b32_e32 v109, v111, v109, vcc_lo
	v_and_b32_e32 v107, 7, v107
	v_lshl_add_u32 v109, v109, 23, 0x3b800000
	v_cndmask_b32_e32 v107, v108, v107, vcc_lo
	v_and_b32_e32 v108, 0x80000000, v110
	v_lshlrev_b32_e32 v107, 20, v107
	v_or3_b32 v107, v108, v109, v107
.LBB4_7384:                             ;   in Loop: Header=BB4_6327 Depth=3
	s_or_b32 exec_lo, exec_lo, s22
	v_max_f32_e32 v107, v107, v107
	v_max_f32_e32 v106, v106, v106
	s_mov_b32 s16, 0
	v_max_f32_e32 v107, v106, v107
.LBB4_7385:                             ;   in Loop: Header=BB4_6327 Depth=3
	s_and_b32 vcc_lo, exec_lo, s16
	s_cbranch_vccz .LBB4_7399
; %bb.7386:                             ;   in Loop: Header=BB4_6327 Depth=3
	v_cmp_gt_i16_sdwa s22, v15, v117 src0_sel:BYTE_1 src1_sel:DWORD
	s_mov_b32 s16, 0
	s_and_saveexec_b32 s23, s22
	s_xor_b32 s22, exec_lo, s23
	s_cbranch_execz .LBB4_7713
; %bb.7387:                             ;   in Loop: Header=BB4_6327 Depth=3
	v_cmp_eq_u16_sdwa s73, v15, v118 src0_sel:BYTE_1 src1_sel:DWORD
	s_mov_b32 s16, -1
	s_and_saveexec_b32 s23, s73
; %bb.7388:                             ;   in Loop: Header=BB4_6327 Depth=3
	s_xor_b32 s16, exec_lo, -1
; %bb.7389:                             ;   in Loop: Header=BB4_6327 Depth=3
	s_or_b32 exec_lo, exec_lo, s23
	s_and_b32 s16, s16, exec_lo
	s_or_saveexec_b32 s22, s22
	v_mov_b32_e32 v106, 0x7f800001
	s_xor_b32 exec_lo, exec_lo, s22
	s_cbranch_execnz .LBB4_7714
.LBB4_7390:                             ;   in Loop: Header=BB4_6327 Depth=3
	s_or_b32 exec_lo, exec_lo, s22
	s_and_saveexec_b32 s22, s16
	s_cbranch_execz .LBB4_7392
.LBB4_7391:                             ;   in Loop: Header=BB4_6327 Depth=3
	v_and_b32_sdwa v106, v119, v15 dst_sel:DWORD dst_unused:UNUSED_PAD src0_sel:DWORD src1_sel:BYTE_1
	v_and_b32_e32 v107, 7, v106
	v_bfe_u32 v110, v106, 3, 4
	v_ffbh_u32_e32 v108, v107
	v_cmp_eq_u32_e32 vcc_lo, 0, v110
	v_min_u32_e32 v108, 32, v108
	v_subrev_nc_u32_e32 v109, 28, v108
	v_sub_nc_u32_e32 v108, 29, v108
	v_lshlrev_b32_e32 v106, v109, v106
	v_lshlrev_b32_e32 v109, 16, v15
	v_cndmask_b32_e32 v108, v110, v108, vcc_lo
	v_and_b32_e32 v106, 7, v106
	v_lshl_add_u32 v108, v108, 23, 0x3b800000
	v_cndmask_b32_e32 v106, v107, v106, vcc_lo
	v_and_b32_e32 v107, 0x80000000, v109
	v_lshlrev_b32_e32 v106, 20, v106
	v_or3_b32 v106, v107, v108, v106
.LBB4_7392:                             ;   in Loop: Header=BB4_6327 Depth=3
	s_or_b32 exec_lo, exec_lo, s22
	v_cmp_gt_i16_sdwa s22, v11, v117 src0_sel:BYTE_1 src1_sel:DWORD
	s_mov_b32 s16, 0
	s_and_saveexec_b32 s23, s22
	s_xor_b32 s22, exec_lo, s23
	s_cbranch_execz .LBB4_7715
; %bb.7393:                             ;   in Loop: Header=BB4_6327 Depth=3
	v_cmp_eq_u16_sdwa s73, v11, v118 src0_sel:BYTE_1 src1_sel:DWORD
	s_mov_b32 s16, -1
	s_and_saveexec_b32 s23, s73
; %bb.7394:                             ;   in Loop: Header=BB4_6327 Depth=3
	s_xor_b32 s16, exec_lo, -1
; %bb.7395:                             ;   in Loop: Header=BB4_6327 Depth=3
	s_or_b32 exec_lo, exec_lo, s23
	s_and_b32 s16, s16, exec_lo
	s_or_saveexec_b32 s22, s22
	v_mov_b32_e32 v107, 0x7f800001
	s_xor_b32 exec_lo, exec_lo, s22
	s_cbranch_execnz .LBB4_7716
.LBB4_7396:                             ;   in Loop: Header=BB4_6327 Depth=3
	s_or_b32 exec_lo, exec_lo, s22
	s_and_saveexec_b32 s22, s16
	s_cbranch_execz .LBB4_7398
.LBB4_7397:                             ;   in Loop: Header=BB4_6327 Depth=3
	v_and_b32_sdwa v107, v119, v11 dst_sel:DWORD dst_unused:UNUSED_PAD src0_sel:DWORD src1_sel:BYTE_1
	v_and_b32_e32 v108, 7, v107
	v_bfe_u32 v111, v107, 3, 4
	v_ffbh_u32_e32 v109, v108
	v_cmp_eq_u32_e32 vcc_lo, 0, v111
	v_min_u32_e32 v109, 32, v109
	v_subrev_nc_u32_e32 v110, 28, v109
	v_sub_nc_u32_e32 v109, 29, v109
	v_lshlrev_b32_e32 v107, v110, v107
	v_lshlrev_b32_e32 v110, 16, v11
	v_cndmask_b32_e32 v109, v111, v109, vcc_lo
	v_and_b32_e32 v107, 7, v107
	v_lshl_add_u32 v109, v109, 23, 0x3b800000
	v_cndmask_b32_e32 v107, v108, v107, vcc_lo
	v_and_b32_e32 v108, 0x80000000, v110
	v_lshlrev_b32_e32 v107, 20, v107
	v_or3_b32 v107, v108, v109, v107
.LBB4_7398:                             ;   in Loop: Header=BB4_6327 Depth=3
	s_or_b32 exec_lo, exec_lo, s22
	v_max_f32_e32 v107, v107, v107
	v_max_f32_e32 v106, v106, v106
	v_min_f32_e32 v107, v106, v107
.LBB4_7399:                             ;   in Loop: Header=BB4_6327 Depth=3
	v_and_b32_e32 v106, 0x7f800000, v107
	v_cmp_ne_u32_e32 vcc_lo, 0x7f800000, v106
	v_mov_b32_e32 v106, 0x8000
	s_and_saveexec_b32 s22, vcc_lo
	s_cbranch_execz .LBB4_7407
; %bb.7400:                             ;   in Loop: Header=BB4_6327 Depth=3
	v_mov_b32_e32 v106, 0
	s_mov_b32 s23, exec_lo
	v_cmpx_ne_u32_e32 0, v107
	s_cbranch_execz .LBB4_7406
; %bb.7401:                             ;   in Loop: Header=BB4_6327 Depth=3
	v_bfe_u32 v106, v107, 23, 8
	v_and_b32_e32 v108, 0x7fffff, v107
	v_sub_nc_u32_e32 v109, 0x78, v106
	v_cmp_gt_u32_e32 vcc_lo, 0x79, v106
	v_or_b32_e32 v110, 0x800000, v108
	v_cndmask_b32_e32 v109, 0, v109, vcc_lo
	v_cmp_eq_u32_e32 vcc_lo, 0, v106
	v_add_nc_u32_e32 v106, 0xffffff89, v106
	v_cndmask_b32_e64 v109, v109, 0x77, vcc_lo
	v_cndmask_b32_e32 v108, v110, v108, vcc_lo
	v_cndmask_b32_e64 v106, v106, 0xffffff8a, vcc_lo
	v_lshl_add_u32 v110, 0x100000, v109, -1
	v_lshrrev_b32_e32 v111, v109, v108
	v_lshlrev_b32_e64 v121, v109, 0x80000
	v_add_nc_u32_e32 v109, v109, v106
	v_and_b32_e32 v108, v110, v108
	v_bfe_u32 v120, v111, 20, 1
	v_cmp_eq_u32_e64 s16, v108, v121
	v_add_nc_u32_e32 v110, -1, v120
	v_cndmask_b32_e64 v108, 0, v110, s16
	v_lshrrev_b32_e32 v110, 23, v111
	s_mov_b32 s16, exec_lo
	v_add_nc_u32_e32 v108, v108, v111
	v_xor_b32_e32 v110, 1, v110
	v_and_b32_e32 v106, 0xfffff, v108
	v_add_nc_u32_e32 v108, v106, v111
                                        ; implicit-def: $vgpr106
	v_cmpx_ne_u32_e64 v109, v110
	s_xor_b32 s16, exec_lo, s16
; %bb.7402:                             ;   in Loop: Header=BB4_6327 Depth=3
	v_cmp_lt_u32_e32 vcc_lo, 0xffffff, v108
	v_sub_nc_u32_e32 v106, v109, v110
	v_cndmask_b32_e64 v109, 0, 1, vcc_lo
	v_add_co_ci_u32_e64 v106, null, 0, v106, vcc_lo
	v_lshrrev_b32_e32 v108, v109, v108
; %bb.7403:                             ;   in Loop: Header=BB4_6327 Depth=3
	s_andn2_saveexec_b32 s16, s16
; %bb.7404:                             ;   in Loop: Header=BB4_6327 Depth=3
	v_bfe_u32 v106, v108, 23, 1
; %bb.7405:                             ;   in Loop: Header=BB4_6327 Depth=3
	s_or_b32 exec_lo, exec_lo, s16
	v_lshrrev_b32_e32 v108, 20, v108
	v_min_i32_e32 v109, 15, v106
	v_cmp_gt_i32_e32 vcc_lo, 16, v106
	v_and_b32_sdwa v107, v107, v118 dst_sel:DWORD dst_unused:UNUSED_PAD src0_sel:BYTE_3 src1_sel:DWORD
	v_lshlrev_b32_e32 v109, 3, v109
	v_cndmask_b32_e32 v108, 7, v108, vcc_lo
	v_and_b32_e32 v109, 0xf8, v109
	v_and_b32_e32 v110, 7, v108
	v_or_b32_e32 v106, v106, v108
	v_or3_b32 v107, v107, v109, v110
	v_cmp_ne_u32_e32 vcc_lo, 0, v106
	v_lshlrev_b32_e32 v107, 8, v107
	v_cndmask_b32_e32 v106, 0, v107, vcc_lo
.LBB4_7406:                             ;   in Loop: Header=BB4_6327 Depth=3
	s_or_b32 exec_lo, exec_lo, s23
.LBB4_7407:                             ;   in Loop: Header=BB4_6327 Depth=3
	s_or_b32 exec_lo, exec_lo, s22
	v_and_b32_sdwa v107, v15, v40 dst_sel:DWORD dst_unused:UNUSED_PAD src0_sel:WORD_1 src1_sel:DWORD
	s_andn2_b32 vcc_lo, exec_lo, s19
	s_mov_b32 s22, -1
                                        ; implicit-def: $vgpr108
	v_cmp_lt_i16_e64 s16, 0x7f, v107
	s_cbranch_vccnz .LBB4_7421
; %bb.7408:                             ;   in Loop: Header=BB4_6327 Depth=3
	s_mov_b32 s22, 0
	s_and_saveexec_b32 s23, s16
	s_xor_b32 s16, exec_lo, s23
	s_cbranch_execz .LBB4_7717
; %bb.7409:                             ;   in Loop: Header=BB4_6327 Depth=3
	s_mov_b32 s22, -1
	s_mov_b32 s23, exec_lo
	v_cmpx_eq_u16_e32 0x80, v107
; %bb.7410:                             ;   in Loop: Header=BB4_6327 Depth=3
	s_xor_b32 s22, exec_lo, -1
; %bb.7411:                             ;   in Loop: Header=BB4_6327 Depth=3
	s_or_b32 exec_lo, exec_lo, s23
	s_and_b32 s22, s22, exec_lo
	s_or_saveexec_b32 s16, s16
	v_mov_b32_e32 v108, 0x7f800001
	s_xor_b32 exec_lo, exec_lo, s16
	s_cbranch_execnz .LBB4_7718
.LBB4_7412:                             ;   in Loop: Header=BB4_6327 Depth=3
	s_or_b32 exec_lo, exec_lo, s16
	s_and_saveexec_b32 s16, s22
	s_cbranch_execz .LBB4_7414
.LBB4_7413:                             ;   in Loop: Header=BB4_6327 Depth=3
	v_bfe_u32 v108, v15, 16, 3
	v_bfe_u32 v111, v15, 19, 4
	v_lshlrev_b32_sdwa v120, v41, v15 dst_sel:DWORD dst_unused:UNUSED_PAD src0_sel:DWORD src1_sel:WORD_1
	v_ffbh_u32_e32 v109, v108
	v_cmp_eq_u32_e32 vcc_lo, 0, v111
	v_min_u32_e32 v109, 32, v109
	v_subrev_nc_u32_e32 v110, 28, v109
	v_sub_nc_u32_e32 v109, 29, v109
	v_lshlrev_b32_sdwa v110, v110, v15 dst_sel:DWORD dst_unused:UNUSED_PAD src0_sel:DWORD src1_sel:WORD_1
	v_cndmask_b32_e32 v109, v111, v109, vcc_lo
	v_and_b32_e32 v110, 7, v110
	v_lshl_add_u32 v109, v109, 23, 0x3b800000
	v_cndmask_b32_e32 v108, v108, v110, vcc_lo
	v_and_b32_e32 v110, 0x80000000, v120
	v_lshlrev_b32_e32 v108, 20, v108
	v_or3_b32 v108, v110, v109, v108
.LBB4_7414:                             ;   in Loop: Header=BB4_6327 Depth=3
	s_or_b32 exec_lo, exec_lo, s16
	v_and_b32_sdwa v110, v11, v40 dst_sel:DWORD dst_unused:UNUSED_PAD src0_sel:WORD_1 src1_sel:DWORD
	s_mov_b32 s16, 0
	s_mov_b32 s22, exec_lo
	v_cmpx_lt_i16_e32 0x7f, v110
	s_xor_b32 s22, exec_lo, s22
	s_cbranch_execz .LBB4_7719
; %bb.7415:                             ;   in Loop: Header=BB4_6327 Depth=3
	s_mov_b32 s16, -1
	s_mov_b32 s23, exec_lo
	v_cmpx_eq_u16_e32 0x80, v110
; %bb.7416:                             ;   in Loop: Header=BB4_6327 Depth=3
	s_xor_b32 s16, exec_lo, -1
; %bb.7417:                             ;   in Loop: Header=BB4_6327 Depth=3
	s_or_b32 exec_lo, exec_lo, s23
	s_and_b32 s16, s16, exec_lo
                                        ; implicit-def: $vgpr110
	s_or_saveexec_b32 s22, s22
	v_mov_b32_e32 v109, 0x7f800001
	s_xor_b32 exec_lo, exec_lo, s22
	s_cbranch_execnz .LBB4_7720
.LBB4_7418:                             ;   in Loop: Header=BB4_6327 Depth=3
	s_or_b32 exec_lo, exec_lo, s22
	s_and_saveexec_b32 s22, s16
	s_cbranch_execz .LBB4_7420
.LBB4_7419:                             ;   in Loop: Header=BB4_6327 Depth=3
	v_bfe_u32 v109, v11, 16, 3
	v_bfe_u32 v120, v11, 19, 4
	v_lshlrev_b32_sdwa v121, v41, v11 dst_sel:DWORD dst_unused:UNUSED_PAD src0_sel:DWORD src1_sel:WORD_1
	v_ffbh_u32_e32 v110, v109
	v_cmp_eq_u32_e32 vcc_lo, 0, v120
	v_min_u32_e32 v110, 32, v110
	v_subrev_nc_u32_e32 v111, 28, v110
	v_sub_nc_u32_e32 v110, 29, v110
	v_lshlrev_b32_sdwa v111, v111, v11 dst_sel:DWORD dst_unused:UNUSED_PAD src0_sel:DWORD src1_sel:WORD_1
	v_cndmask_b32_e32 v110, v120, v110, vcc_lo
	v_and_b32_e32 v111, 7, v111
	v_lshl_add_u32 v110, v110, 23, 0x3b800000
	v_cndmask_b32_e32 v109, v109, v111, vcc_lo
	v_and_b32_e32 v111, 0x80000000, v121
	v_lshlrev_b32_e32 v109, 20, v109
	v_or3_b32 v109, v111, v110, v109
.LBB4_7420:                             ;   in Loop: Header=BB4_6327 Depth=3
	s_or_b32 exec_lo, exec_lo, s22
	v_max_f32_e32 v109, v109, v109
	v_max_f32_e32 v108, v108, v108
	s_mov_b32 s22, 0
	v_max_f32_e32 v108, v108, v109
.LBB4_7421:                             ;   in Loop: Header=BB4_6327 Depth=3
	s_and_b32 vcc_lo, exec_lo, s22
	s_cbranch_vccz .LBB4_7435
; %bb.7422:                             ;   in Loop: Header=BB4_6327 Depth=3
	s_mov_b32 s16, 0
	s_mov_b32 s22, exec_lo
	v_cmpx_lt_i16_e32 0x7f, v107
	s_xor_b32 s22, exec_lo, s22
	s_cbranch_execz .LBB4_7721
; %bb.7423:                             ;   in Loop: Header=BB4_6327 Depth=3
	s_mov_b32 s16, -1
	s_mov_b32 s23, exec_lo
	v_cmpx_eq_u16_e32 0x80, v107
; %bb.7424:                             ;   in Loop: Header=BB4_6327 Depth=3
	s_xor_b32 s16, exec_lo, -1
; %bb.7425:                             ;   in Loop: Header=BB4_6327 Depth=3
	s_or_b32 exec_lo, exec_lo, s23
	s_and_b32 s16, s16, exec_lo
                                        ; implicit-def: $vgpr107
	s_or_saveexec_b32 s22, s22
	v_mov_b32_e32 v108, 0x7f800001
	s_xor_b32 exec_lo, exec_lo, s22
	s_cbranch_execnz .LBB4_7722
.LBB4_7426:                             ;   in Loop: Header=BB4_6327 Depth=3
	s_or_b32 exec_lo, exec_lo, s22
	s_and_saveexec_b32 s22, s16
	s_cbranch_execz .LBB4_7428
.LBB4_7427:                             ;   in Loop: Header=BB4_6327 Depth=3
	v_bfe_u32 v107, v15, 16, 3
	v_bfe_u32 v110, v15, 19, 4
	v_lshlrev_b32_sdwa v111, v41, v15 dst_sel:DWORD dst_unused:UNUSED_PAD src0_sel:DWORD src1_sel:WORD_1
	v_ffbh_u32_e32 v108, v107
	v_cmp_eq_u32_e32 vcc_lo, 0, v110
	v_min_u32_e32 v108, 32, v108
	v_subrev_nc_u32_e32 v109, 28, v108
	v_sub_nc_u32_e32 v108, 29, v108
	v_lshlrev_b32_sdwa v109, v109, v15 dst_sel:DWORD dst_unused:UNUSED_PAD src0_sel:DWORD src1_sel:WORD_1
	v_cndmask_b32_e32 v108, v110, v108, vcc_lo
	v_and_b32_e32 v109, 7, v109
	v_lshl_add_u32 v108, v108, 23, 0x3b800000
	v_cndmask_b32_e32 v107, v107, v109, vcc_lo
	v_and_b32_e32 v109, 0x80000000, v111
	v_lshlrev_b32_e32 v107, 20, v107
	v_or3_b32 v108, v109, v108, v107
.LBB4_7428:                             ;   in Loop: Header=BB4_6327 Depth=3
	s_or_b32 exec_lo, exec_lo, s22
	v_and_b32_sdwa v109, v11, v40 dst_sel:DWORD dst_unused:UNUSED_PAD src0_sel:WORD_1 src1_sel:DWORD
	s_mov_b32 s16, 0
	s_mov_b32 s22, exec_lo
	v_cmpx_lt_i16_e32 0x7f, v109
	s_xor_b32 s22, exec_lo, s22
	s_cbranch_execz .LBB4_7723
; %bb.7429:                             ;   in Loop: Header=BB4_6327 Depth=3
	s_mov_b32 s16, -1
	s_mov_b32 s23, exec_lo
	v_cmpx_eq_u16_e32 0x80, v109
; %bb.7430:                             ;   in Loop: Header=BB4_6327 Depth=3
	s_xor_b32 s16, exec_lo, -1
; %bb.7431:                             ;   in Loop: Header=BB4_6327 Depth=3
	s_or_b32 exec_lo, exec_lo, s23
	s_and_b32 s16, s16, exec_lo
                                        ; implicit-def: $vgpr109
	s_or_saveexec_b32 s22, s22
	v_mov_b32_e32 v107, 0x7f800001
	s_xor_b32 exec_lo, exec_lo, s22
	s_cbranch_execnz .LBB4_7724
.LBB4_7432:                             ;   in Loop: Header=BB4_6327 Depth=3
	s_or_b32 exec_lo, exec_lo, s22
	s_and_saveexec_b32 s22, s16
	s_cbranch_execz .LBB4_7434
.LBB4_7433:                             ;   in Loop: Header=BB4_6327 Depth=3
	v_bfe_u32 v107, v11, 16, 3
	v_bfe_u32 v111, v11, 19, 4
	v_lshlrev_b32_sdwa v120, v41, v11 dst_sel:DWORD dst_unused:UNUSED_PAD src0_sel:DWORD src1_sel:WORD_1
	v_ffbh_u32_e32 v109, v107
	v_cmp_eq_u32_e32 vcc_lo, 0, v111
	v_min_u32_e32 v109, 32, v109
	v_subrev_nc_u32_e32 v110, 28, v109
	v_sub_nc_u32_e32 v109, 29, v109
	v_lshlrev_b32_sdwa v110, v110, v11 dst_sel:DWORD dst_unused:UNUSED_PAD src0_sel:DWORD src1_sel:WORD_1
	v_cndmask_b32_e32 v109, v111, v109, vcc_lo
	v_and_b32_e32 v110, 7, v110
	v_lshl_add_u32 v109, v109, 23, 0x3b800000
	v_cndmask_b32_e32 v107, v107, v110, vcc_lo
	v_and_b32_e32 v110, 0x80000000, v120
	v_lshlrev_b32_e32 v107, 20, v107
	v_or3_b32 v107, v110, v109, v107
.LBB4_7434:                             ;   in Loop: Header=BB4_6327 Depth=3
	s_or_b32 exec_lo, exec_lo, s22
	v_max_f32_e32 v107, v107, v107
	v_max_f32_e32 v108, v108, v108
	v_min_f32_e32 v108, v108, v107
.LBB4_7435:                             ;   in Loop: Header=BB4_6327 Depth=3
	v_and_b32_e32 v107, 0x7f800000, v108
	v_cmp_ne_u32_e32 vcc_lo, 0x7f800000, v107
	v_mov_b32_e32 v107, 0x80
	s_and_saveexec_b32 s22, vcc_lo
	s_cbranch_execz .LBB4_7443
; %bb.7436:                             ;   in Loop: Header=BB4_6327 Depth=3
	v_mov_b32_e32 v107, 0
	s_mov_b32 s23, exec_lo
	v_cmpx_ne_u32_e32 0, v108
	s_cbranch_execz .LBB4_7442
; %bb.7437:                             ;   in Loop: Header=BB4_6327 Depth=3
	v_bfe_u32 v107, v108, 23, 8
	v_and_b32_e32 v109, 0x7fffff, v108
	v_sub_nc_u32_e32 v110, 0x78, v107
	v_cmp_gt_u32_e32 vcc_lo, 0x79, v107
	v_or_b32_e32 v111, 0x800000, v109
	v_cndmask_b32_e32 v110, 0, v110, vcc_lo
	v_cmp_eq_u32_e32 vcc_lo, 0, v107
	v_add_nc_u32_e32 v107, 0xffffff89, v107
	v_cndmask_b32_e64 v110, v110, 0x77, vcc_lo
	v_cndmask_b32_e32 v109, v111, v109, vcc_lo
	v_cndmask_b32_e64 v107, v107, 0xffffff8a, vcc_lo
	v_lshl_add_u32 v111, 0x100000, v110, -1
	v_lshrrev_b32_e32 v120, v110, v109
	v_lshlrev_b32_e64 v122, v110, 0x80000
	v_add_nc_u32_e32 v110, v110, v107
	v_and_b32_e32 v109, v111, v109
	v_bfe_u32 v121, v120, 20, 1
	v_cmp_eq_u32_e64 s16, v109, v122
	v_add_nc_u32_e32 v111, -1, v121
	v_cndmask_b32_e64 v109, 0, v111, s16
	v_lshrrev_b32_e32 v111, 23, v120
	s_mov_b32 s16, exec_lo
	v_add_nc_u32_e32 v109, v109, v120
	v_xor_b32_e32 v111, 1, v111
	v_and_b32_e32 v107, 0xfffff, v109
	v_add_nc_u32_e32 v109, v107, v120
                                        ; implicit-def: $vgpr107
	v_cmpx_ne_u32_e64 v110, v111
	s_xor_b32 s16, exec_lo, s16
; %bb.7438:                             ;   in Loop: Header=BB4_6327 Depth=3
	v_cmp_lt_u32_e32 vcc_lo, 0xffffff, v109
	v_sub_nc_u32_e32 v107, v110, v111
	v_cndmask_b32_e64 v110, 0, 1, vcc_lo
	v_add_co_ci_u32_e64 v107, null, 0, v107, vcc_lo
	v_lshrrev_b32_e32 v109, v110, v109
; %bb.7439:                             ;   in Loop: Header=BB4_6327 Depth=3
	s_andn2_saveexec_b32 s16, s16
; %bb.7440:                             ;   in Loop: Header=BB4_6327 Depth=3
	v_bfe_u32 v107, v109, 23, 1
; %bb.7441:                             ;   in Loop: Header=BB4_6327 Depth=3
	s_or_b32 exec_lo, exec_lo, s16
	v_lshrrev_b32_e32 v109, 20, v109
	v_min_i32_e32 v110, 15, v107
	v_cmp_gt_i32_e32 vcc_lo, 16, v107
	v_and_b32_sdwa v108, v108, v118 dst_sel:DWORD dst_unused:UNUSED_PAD src0_sel:BYTE_3 src1_sel:DWORD
	v_lshlrev_b32_e32 v110, 3, v110
	v_cndmask_b32_e32 v109, 7, v109, vcc_lo
	v_and_b32_e32 v110, 0xf8, v110
	v_and_b32_e32 v111, 7, v109
	v_or_b32_e32 v107, v107, v109
	v_or3_b32 v108, v110, v108, v111
	v_cmp_ne_u32_e32 vcc_lo, 0, v107
	v_cndmask_b32_e32 v107, 0, v108, vcc_lo
.LBB4_7442:                             ;   in Loop: Header=BB4_6327 Depth=3
	s_or_b32 exec_lo, exec_lo, s23
.LBB4_7443:                             ;   in Loop: Header=BB4_6327 Depth=3
	s_or_b32 exec_lo, exec_lo, s22
	v_cmp_gt_i16_sdwa s22, v15, v117 src0_sel:BYTE_3 src1_sel:DWORD
	s_andn2_b32 vcc_lo, exec_lo, s19
	s_mov_b32 s16, -1
                                        ; implicit-def: $vgpr108
	s_cbranch_vccnz .LBB4_7457
; %bb.7444:                             ;   in Loop: Header=BB4_6327 Depth=3
	s_mov_b32 s16, 0
	s_and_saveexec_b32 s23, s22
	s_xor_b32 s22, exec_lo, s23
	s_cbranch_execz .LBB4_7725
; %bb.7445:                             ;   in Loop: Header=BB4_6327 Depth=3
	v_cmp_eq_u16_sdwa s73, v15, v118 src0_sel:BYTE_3 src1_sel:DWORD
	s_mov_b32 s16, -1
	s_and_saveexec_b32 s23, s73
; %bb.7446:                             ;   in Loop: Header=BB4_6327 Depth=3
	s_xor_b32 s16, exec_lo, -1
; %bb.7447:                             ;   in Loop: Header=BB4_6327 Depth=3
	s_or_b32 exec_lo, exec_lo, s23
	s_and_b32 s16, s16, exec_lo
	s_or_saveexec_b32 s22, s22
	v_mov_b32_e32 v108, 0x7f800001
	s_xor_b32 exec_lo, exec_lo, s22
	s_cbranch_execnz .LBB4_7726
.LBB4_7448:                             ;   in Loop: Header=BB4_6327 Depth=3
	s_or_b32 exec_lo, exec_lo, s22
	s_and_saveexec_b32 s22, s16
	s_cbranch_execz .LBB4_7450
.LBB4_7449:                             ;   in Loop: Header=BB4_6327 Depth=3
	v_bfe_u32 v108, v15, 24, 3
	v_bfe_u32 v111, v15, 27, 4
	v_ffbh_u32_e32 v109, v108
	v_cmp_eq_u32_e32 vcc_lo, 0, v111
	v_min_u32_e32 v109, 32, v109
	v_subrev_nc_u32_e32 v110, 28, v109
	v_sub_nc_u32_e32 v109, 29, v109
	v_lshlrev_b32_sdwa v110, v110, v15 dst_sel:DWORD dst_unused:UNUSED_PAD src0_sel:DWORD src1_sel:BYTE_3
	v_cndmask_b32_e32 v109, v111, v109, vcc_lo
	v_and_b32_e32 v110, 7, v110
	v_lshl_add_u32 v109, v109, 23, 0x3b800000
	v_cndmask_b32_e32 v108, v108, v110, vcc_lo
	v_and_b32_e32 v110, 0x80000000, v15
	v_lshlrev_b32_e32 v108, 20, v108
	v_or3_b32 v108, v110, v109, v108
.LBB4_7450:                             ;   in Loop: Header=BB4_6327 Depth=3
	s_or_b32 exec_lo, exec_lo, s22
	v_cmp_gt_i16_sdwa s22, v11, v117 src0_sel:BYTE_3 src1_sel:DWORD
	s_mov_b32 s16, 0
	s_and_saveexec_b32 s23, s22
	s_xor_b32 s22, exec_lo, s23
	s_cbranch_execz .LBB4_7727
; %bb.7451:                             ;   in Loop: Header=BB4_6327 Depth=3
	v_cmp_eq_u16_sdwa s73, v11, v118 src0_sel:BYTE_3 src1_sel:DWORD
	s_mov_b32 s16, -1
	s_and_saveexec_b32 s23, s73
; %bb.7452:                             ;   in Loop: Header=BB4_6327 Depth=3
	s_xor_b32 s16, exec_lo, -1
; %bb.7453:                             ;   in Loop: Header=BB4_6327 Depth=3
	s_or_b32 exec_lo, exec_lo, s23
	s_and_b32 s16, s16, exec_lo
	s_or_saveexec_b32 s22, s22
	v_mov_b32_e32 v109, 0x7f800001
	s_xor_b32 exec_lo, exec_lo, s22
	s_cbranch_execnz .LBB4_7728
.LBB4_7454:                             ;   in Loop: Header=BB4_6327 Depth=3
	s_or_b32 exec_lo, exec_lo, s22
	s_and_saveexec_b32 s22, s16
	s_cbranch_execz .LBB4_7456
.LBB4_7455:                             ;   in Loop: Header=BB4_6327 Depth=3
	v_bfe_u32 v109, v11, 24, 3
	v_bfe_u32 v120, v11, 27, 4
	v_ffbh_u32_e32 v110, v109
	v_cmp_eq_u32_e32 vcc_lo, 0, v120
	v_min_u32_e32 v110, 32, v110
	v_subrev_nc_u32_e32 v111, 28, v110
	v_sub_nc_u32_e32 v110, 29, v110
	v_lshlrev_b32_sdwa v111, v111, v11 dst_sel:DWORD dst_unused:UNUSED_PAD src0_sel:DWORD src1_sel:BYTE_3
	v_cndmask_b32_e32 v110, v120, v110, vcc_lo
	v_and_b32_e32 v111, 7, v111
	v_lshl_add_u32 v110, v110, 23, 0x3b800000
	v_cndmask_b32_e32 v109, v109, v111, vcc_lo
	v_and_b32_e32 v111, 0x80000000, v11
	v_lshlrev_b32_e32 v109, 20, v109
	v_or3_b32 v109, v111, v110, v109
.LBB4_7456:                             ;   in Loop: Header=BB4_6327 Depth=3
	s_or_b32 exec_lo, exec_lo, s22
	v_max_f32_e32 v109, v109, v109
	v_max_f32_e32 v108, v108, v108
	s_mov_b32 s16, 0
	v_max_f32_e32 v108, v108, v109
.LBB4_7457:                             ;   in Loop: Header=BB4_6327 Depth=3
	s_and_b32 vcc_lo, exec_lo, s16
	s_cbranch_vccz .LBB4_7471
; %bb.7458:                             ;   in Loop: Header=BB4_6327 Depth=3
	v_cmp_gt_i16_sdwa s22, v15, v117 src0_sel:BYTE_3 src1_sel:DWORD
	s_mov_b32 s16, 0
	s_and_saveexec_b32 s23, s22
	s_xor_b32 s22, exec_lo, s23
	s_cbranch_execz .LBB4_7729
; %bb.7459:                             ;   in Loop: Header=BB4_6327 Depth=3
	v_cmp_eq_u16_sdwa s73, v15, v118 src0_sel:BYTE_3 src1_sel:DWORD
	s_mov_b32 s16, -1
	s_and_saveexec_b32 s23, s73
; %bb.7460:                             ;   in Loop: Header=BB4_6327 Depth=3
	s_xor_b32 s16, exec_lo, -1
; %bb.7461:                             ;   in Loop: Header=BB4_6327 Depth=3
	s_or_b32 exec_lo, exec_lo, s23
	s_and_b32 s16, s16, exec_lo
	s_or_saveexec_b32 s22, s22
	v_mov_b32_e32 v108, 0x7f800001
	s_xor_b32 exec_lo, exec_lo, s22
	s_cbranch_execnz .LBB4_7730
.LBB4_7462:                             ;   in Loop: Header=BB4_6327 Depth=3
	s_or_b32 exec_lo, exec_lo, s22
	s_and_saveexec_b32 s22, s16
	s_cbranch_execz .LBB4_7464
.LBB4_7463:                             ;   in Loop: Header=BB4_6327 Depth=3
	v_bfe_u32 v108, v15, 24, 3
	v_bfe_u32 v111, v15, 27, 4
	v_ffbh_u32_e32 v109, v108
	v_cmp_eq_u32_e32 vcc_lo, 0, v111
	v_min_u32_e32 v109, 32, v109
	v_subrev_nc_u32_e32 v110, 28, v109
	v_sub_nc_u32_e32 v109, 29, v109
	v_lshlrev_b32_sdwa v110, v110, v15 dst_sel:DWORD dst_unused:UNUSED_PAD src0_sel:DWORD src1_sel:BYTE_3
	v_cndmask_b32_e32 v109, v111, v109, vcc_lo
	v_and_b32_e32 v15, 0x80000000, v15
	v_and_b32_e32 v110, 7, v110
	v_lshl_add_u32 v109, v109, 23, 0x3b800000
	v_cndmask_b32_e32 v108, v108, v110, vcc_lo
	v_lshlrev_b32_e32 v108, 20, v108
	v_or3_b32 v108, v15, v109, v108
.LBB4_7464:                             ;   in Loop: Header=BB4_6327 Depth=3
	s_or_b32 exec_lo, exec_lo, s22
	v_cmp_gt_i16_sdwa s22, v11, v117 src0_sel:BYTE_3 src1_sel:DWORD
	s_mov_b32 s16, 0
	s_and_saveexec_b32 s23, s22
	s_xor_b32 s22, exec_lo, s23
	s_cbranch_execz .LBB4_7731
; %bb.7465:                             ;   in Loop: Header=BB4_6327 Depth=3
	v_cmp_eq_u16_sdwa s73, v11, v118 src0_sel:BYTE_3 src1_sel:DWORD
	s_mov_b32 s16, -1
	s_and_saveexec_b32 s23, s73
; %bb.7466:                             ;   in Loop: Header=BB4_6327 Depth=3
	s_xor_b32 s16, exec_lo, -1
; %bb.7467:                             ;   in Loop: Header=BB4_6327 Depth=3
	s_or_b32 exec_lo, exec_lo, s23
	s_and_b32 s16, s16, exec_lo
	s_or_saveexec_b32 s22, s22
	v_mov_b32_e32 v15, 0x7f800001
	s_xor_b32 exec_lo, exec_lo, s22
	s_cbranch_execnz .LBB4_7732
.LBB4_7468:                             ;   in Loop: Header=BB4_6327 Depth=3
	s_or_b32 exec_lo, exec_lo, s22
	s_and_saveexec_b32 s22, s16
	s_cbranch_execz .LBB4_7470
.LBB4_7469:                             ;   in Loop: Header=BB4_6327 Depth=3
	v_bfe_u32 v15, v11, 24, 3
	v_bfe_u32 v111, v11, 27, 4
	v_ffbh_u32_e32 v109, v15
	v_cmp_eq_u32_e32 vcc_lo, 0, v111
	v_min_u32_e32 v109, 32, v109
	v_subrev_nc_u32_e32 v110, 28, v109
	v_sub_nc_u32_e32 v109, 29, v109
	v_lshlrev_b32_sdwa v110, v110, v11 dst_sel:DWORD dst_unused:UNUSED_PAD src0_sel:DWORD src1_sel:BYTE_3
	v_cndmask_b32_e32 v109, v111, v109, vcc_lo
	v_and_b32_e32 v11, 0x80000000, v11
	v_and_b32_e32 v110, 7, v110
	v_lshl_add_u32 v109, v109, 23, 0x3b800000
	v_cndmask_b32_e32 v15, v15, v110, vcc_lo
	v_lshlrev_b32_e32 v15, 20, v15
	v_or3_b32 v15, v11, v109, v15
.LBB4_7470:                             ;   in Loop: Header=BB4_6327 Depth=3
	s_or_b32 exec_lo, exec_lo, s22
	v_max_f32_e32 v11, v15, v15
	v_max_f32_e32 v15, v108, v108
	v_min_f32_e32 v108, v15, v11
.LBB4_7471:                             ;   in Loop: Header=BB4_6327 Depth=3
	v_and_b32_e32 v11, 0x7f800000, v108
	v_cmp_ne_u32_e32 vcc_lo, 0x7f800000, v11
	v_mov_b32_e32 v11, 0x8000
	s_and_saveexec_b32 s22, vcc_lo
	s_cbranch_execz .LBB4_6326
; %bb.7472:                             ;   in Loop: Header=BB4_6327 Depth=3
	v_mov_b32_e32 v11, 0
	s_mov_b32 s23, exec_lo
	v_cmpx_ne_u32_e32 0, v108
	s_cbranch_execz .LBB4_6325
; %bb.7473:                             ;   in Loop: Header=BB4_6327 Depth=3
	v_bfe_u32 v11, v108, 23, 8
	v_and_b32_e32 v15, 0x7fffff, v108
	v_sub_nc_u32_e32 v109, 0x78, v11
	v_cmp_gt_u32_e32 vcc_lo, 0x79, v11
	v_or_b32_e32 v110, 0x800000, v15
	v_cndmask_b32_e32 v109, 0, v109, vcc_lo
	v_cmp_eq_u32_e32 vcc_lo, 0, v11
	v_add_nc_u32_e32 v11, 0xffffff89, v11
	v_cndmask_b32_e64 v109, v109, 0x77, vcc_lo
	v_cndmask_b32_e32 v15, v110, v15, vcc_lo
	v_cndmask_b32_e64 v11, v11, 0xffffff8a, vcc_lo
	v_lshl_add_u32 v110, 0x100000, v109, -1
	v_lshrrev_b32_e32 v111, v109, v15
	v_lshlrev_b32_e64 v121, v109, 0x80000
	v_add_nc_u32_e32 v109, v109, v11
	v_and_b32_e32 v15, v110, v15
	v_bfe_u32 v120, v111, 20, 1
	v_cmp_eq_u32_e64 s16, v15, v121
	v_add_nc_u32_e32 v110, -1, v120
	v_cndmask_b32_e64 v15, 0, v110, s16
	v_lshrrev_b32_e32 v110, 23, v111
	s_mov_b32 s16, exec_lo
	v_add_nc_u32_e32 v15, v15, v111
	v_xor_b32_e32 v110, 1, v110
	v_and_b32_e32 v11, 0xfffff, v15
	v_add_nc_u32_e32 v15, v11, v111
                                        ; implicit-def: $vgpr11
	v_cmpx_ne_u32_e64 v109, v110
	s_xor_b32 s16, exec_lo, s16
; %bb.7474:                             ;   in Loop: Header=BB4_6327 Depth=3
	v_cmp_lt_u32_e32 vcc_lo, 0xffffff, v15
	v_sub_nc_u32_e32 v11, v109, v110
	v_cndmask_b32_e64 v109, 0, 1, vcc_lo
	v_add_co_ci_u32_e64 v11, null, 0, v11, vcc_lo
	v_lshrrev_b32_e32 v15, v109, v15
; %bb.7475:                             ;   in Loop: Header=BB4_6327 Depth=3
	s_andn2_saveexec_b32 s16, s16
	s_cbranch_execz .LBB4_6324
; %bb.7476:                             ;   in Loop: Header=BB4_6327 Depth=3
	v_bfe_u32 v11, v15, 23, 1
	s_branch .LBB4_6324
.LBB4_7477:                             ;   in Loop: Header=BB4_6327 Depth=3
	s_or_saveexec_b32 s22, s22
	v_mov_b32_e32 v98, 0x7f800001
	s_xor_b32 exec_lo, exec_lo, s22
	s_cbranch_execz .LBB4_6332
.LBB4_7478:                             ;   in Loop: Header=BB4_6327 Depth=3
	v_cmp_ne_u16_sdwa s23, v20, v2 src0_sel:BYTE_0 src1_sel:DWORD
	v_mov_b32_e32 v98, 0
	s_andn2_b32 s16, s16, exec_lo
	s_and_b32 s23, s23, exec_lo
	s_or_b32 s16, s16, s23
	s_or_b32 exec_lo, exec_lo, s22
	s_and_saveexec_b32 s22, s16
	s_cbranch_execnz .LBB4_6333
	s_branch .LBB4_6334
.LBB4_7479:                             ;   in Loop: Header=BB4_6327 Depth=3
	s_or_saveexec_b32 s22, s22
	v_mov_b32_e32 v99, 0x7f800001
	s_xor_b32 exec_lo, exec_lo, s22
	s_cbranch_execz .LBB4_6338
.LBB4_7480:                             ;   in Loop: Header=BB4_6327 Depth=3
	v_cmp_ne_u16_sdwa s23, v16, v2 src0_sel:BYTE_0 src1_sel:DWORD
	v_mov_b32_e32 v99, 0
	s_andn2_b32 s16, s16, exec_lo
	s_and_b32 s23, s23, exec_lo
	s_or_b32 s16, s16, s23
	s_or_b32 exec_lo, exec_lo, s22
	s_and_saveexec_b32 s22, s16
	s_cbranch_execnz .LBB4_6339
	s_branch .LBB4_6340
.LBB4_7481:                             ;   in Loop: Header=BB4_6327 Depth=3
	s_or_saveexec_b32 s22, s22
	v_mov_b32_e32 v98, 0x7f800001
	s_xor_b32 exec_lo, exec_lo, s22
	s_cbranch_execz .LBB4_6346
.LBB4_7482:                             ;   in Loop: Header=BB4_6327 Depth=3
	v_cmp_ne_u16_sdwa s23, v20, v2 src0_sel:BYTE_0 src1_sel:DWORD
	v_mov_b32_e32 v98, 0
	s_andn2_b32 s16, s16, exec_lo
	s_and_b32 s23, s23, exec_lo
	s_or_b32 s16, s16, s23
	s_or_b32 exec_lo, exec_lo, s22
	s_and_saveexec_b32 s22, s16
	s_cbranch_execnz .LBB4_6347
	s_branch .LBB4_6348
.LBB4_7483:                             ;   in Loop: Header=BB4_6327 Depth=3
	s_or_saveexec_b32 s22, s22
	v_mov_b32_e32 v99, 0x7f800001
	s_xor_b32 exec_lo, exec_lo, s22
	s_cbranch_execz .LBB4_6352
.LBB4_7484:                             ;   in Loop: Header=BB4_6327 Depth=3
	v_cmp_ne_u16_sdwa s23, v16, v2 src0_sel:BYTE_0 src1_sel:DWORD
	v_mov_b32_e32 v99, 0
	s_andn2_b32 s16, s16, exec_lo
	s_and_b32 s23, s23, exec_lo
	s_or_b32 s16, s16, s23
	s_or_b32 exec_lo, exec_lo, s22
	s_and_saveexec_b32 s22, s16
	s_cbranch_execnz .LBB4_6353
	s_branch .LBB4_6354
.LBB4_7485:                             ;   in Loop: Header=BB4_6327 Depth=3
	s_or_saveexec_b32 s22, s22
	v_mov_b32_e32 v99, 0x7f800001
	s_xor_b32 exec_lo, exec_lo, s22
	s_cbranch_execz .LBB4_6368
.LBB4_7486:                             ;   in Loop: Header=BB4_6327 Depth=3
	v_cmp_ne_u16_sdwa s23, v20, v2 src0_sel:BYTE_1 src1_sel:DWORD
	v_mov_b32_e32 v99, 0
	s_andn2_b32 s16, s16, exec_lo
	s_and_b32 s23, s23, exec_lo
	s_or_b32 s16, s16, s23
	s_or_b32 exec_lo, exec_lo, s22
	s_and_saveexec_b32 s22, s16
	s_cbranch_execnz .LBB4_6369
	s_branch .LBB4_6370
.LBB4_7487:                             ;   in Loop: Header=BB4_6327 Depth=3
	s_or_saveexec_b32 s22, s22
	v_mov_b32_e32 v77, 0x7f800001
	s_xor_b32 exec_lo, exec_lo, s22
	s_cbranch_execz .LBB4_6374
.LBB4_7488:                             ;   in Loop: Header=BB4_6327 Depth=3
	v_cmp_ne_u16_sdwa s23, v16, v2 src0_sel:BYTE_1 src1_sel:DWORD
	v_mov_b32_e32 v77, 0
	s_andn2_b32 s16, s16, exec_lo
	s_and_b32 s23, s23, exec_lo
	s_or_b32 s16, s16, s23
	s_or_b32 exec_lo, exec_lo, s22
	s_and_saveexec_b32 s22, s16
	s_cbranch_execnz .LBB4_6375
	s_branch .LBB4_6376
.LBB4_7489:                             ;   in Loop: Header=BB4_6327 Depth=3
	s_or_saveexec_b32 s22, s22
	v_mov_b32_e32 v99, 0x7f800001
	s_xor_b32 exec_lo, exec_lo, s22
	s_cbranch_execz .LBB4_6382
.LBB4_7490:                             ;   in Loop: Header=BB4_6327 Depth=3
	v_cmp_ne_u16_sdwa s23, v20, v2 src0_sel:BYTE_1 src1_sel:DWORD
	v_mov_b32_e32 v99, 0
	s_andn2_b32 s16, s16, exec_lo
	s_and_b32 s23, s23, exec_lo
	s_or_b32 s16, s16, s23
	s_or_b32 exec_lo, exec_lo, s22
	s_and_saveexec_b32 s22, s16
	s_cbranch_execnz .LBB4_6383
	s_branch .LBB4_6384
.LBB4_7491:                             ;   in Loop: Header=BB4_6327 Depth=3
	s_or_saveexec_b32 s22, s22
	v_mov_b32_e32 v77, 0x7f800001
	s_xor_b32 exec_lo, exec_lo, s22
	s_cbranch_execz .LBB4_6388
.LBB4_7492:                             ;   in Loop: Header=BB4_6327 Depth=3
	v_cmp_ne_u16_sdwa s23, v16, v2 src0_sel:BYTE_1 src1_sel:DWORD
	v_mov_b32_e32 v77, 0
	s_andn2_b32 s16, s16, exec_lo
	s_and_b32 s23, s23, exec_lo
	s_or_b32 s16, s16, s23
	s_or_b32 exec_lo, exec_lo, s22
	s_and_saveexec_b32 s22, s16
	s_cbranch_execnz .LBB4_6389
	s_branch .LBB4_6390
.LBB4_7493:                             ;   in Loop: Header=BB4_6327 Depth=3
	s_or_saveexec_b32 s16, s16
	v_mov_b32_e32 v78, 0x7f800001
	s_xor_b32 exec_lo, exec_lo, s16
	s_cbranch_execz .LBB4_6404
.LBB4_7494:                             ;   in Loop: Header=BB4_6327 Depth=3
	v_cmp_ne_u16_e32 vcc_lo, 0, v77
	v_mov_b32_e32 v78, 0
	s_andn2_b32 s22, s22, exec_lo
	s_and_b32 s23, vcc_lo, exec_lo
	s_or_b32 s22, s22, s23
	s_or_b32 exec_lo, exec_lo, s16
	s_and_saveexec_b32 s16, s22
	s_cbranch_execnz .LBB4_6405
	s_branch .LBB4_6406
.LBB4_7495:                             ;   in Loop: Header=BB4_6327 Depth=3
	s_or_saveexec_b32 s22, s22
	v_mov_b32_e32 v79, 0x7f800001
	s_xor_b32 exec_lo, exec_lo, s22
	s_cbranch_execz .LBB4_6410
.LBB4_7496:                             ;   in Loop: Header=BB4_6327 Depth=3
	v_cmp_ne_u16_e32 vcc_lo, 0, v88
	v_mov_b32_e32 v79, 0
	s_andn2_b32 s16, s16, exec_lo
	s_and_b32 s23, vcc_lo, exec_lo
	s_or_b32 s16, s16, s23
	s_or_b32 exec_lo, exec_lo, s22
	s_and_saveexec_b32 s22, s16
	s_cbranch_execnz .LBB4_6411
	s_branch .LBB4_6412
.LBB4_7497:                             ;   in Loop: Header=BB4_6327 Depth=3
	s_or_saveexec_b32 s22, s22
	v_mov_b32_e32 v78, 0x7f800001
	s_xor_b32 exec_lo, exec_lo, s22
	s_cbranch_execz .LBB4_6418
.LBB4_7498:                             ;   in Loop: Header=BB4_6327 Depth=3
	v_cmp_ne_u16_e32 vcc_lo, 0, v77
	v_mov_b32_e32 v78, 0
	s_andn2_b32 s16, s16, exec_lo
	s_and_b32 s23, vcc_lo, exec_lo
	s_or_b32 s16, s16, s23
	s_or_b32 exec_lo, exec_lo, s22
	s_and_saveexec_b32 s22, s16
	s_cbranch_execnz .LBB4_6419
	s_branch .LBB4_6420
.LBB4_7499:                             ;   in Loop: Header=BB4_6327 Depth=3
	s_or_saveexec_b32 s22, s22
	v_mov_b32_e32 v77, 0x7f800001
	s_xor_b32 exec_lo, exec_lo, s22
	s_cbranch_execz .LBB4_6424
.LBB4_7500:                             ;   in Loop: Header=BB4_6327 Depth=3
	v_cmp_ne_u16_e32 vcc_lo, 0, v79
	v_mov_b32_e32 v77, 0
	s_andn2_b32 s16, s16, exec_lo
	s_and_b32 s23, vcc_lo, exec_lo
	s_or_b32 s16, s16, s23
	s_or_b32 exec_lo, exec_lo, s22
	s_and_saveexec_b32 s22, s16
	s_cbranch_execnz .LBB4_6425
	s_branch .LBB4_6426
.LBB4_7501:                             ;   in Loop: Header=BB4_6327 Depth=3
	s_or_saveexec_b32 s22, s22
	v_mov_b32_e32 v78, 0x7f800001
	s_xor_b32 exec_lo, exec_lo, s22
	s_cbranch_execz .LBB4_6440
.LBB4_7502:                             ;   in Loop: Header=BB4_6327 Depth=3
	v_cmp_ne_u16_sdwa s23, v20, v2 src0_sel:BYTE_3 src1_sel:DWORD
	v_mov_b32_e32 v78, 0
	s_andn2_b32 s16, s16, exec_lo
	s_and_b32 s23, s23, exec_lo
	s_or_b32 s16, s16, s23
	s_or_b32 exec_lo, exec_lo, s22
	s_and_saveexec_b32 s22, s16
	s_cbranch_execnz .LBB4_6441
	s_branch .LBB4_6442
.LBB4_7503:                             ;   in Loop: Header=BB4_6327 Depth=3
	s_or_saveexec_b32 s22, s22
	v_mov_b32_e32 v79, 0x7f800001
	s_xor_b32 exec_lo, exec_lo, s22
	s_cbranch_execz .LBB4_6446
.LBB4_7504:                             ;   in Loop: Header=BB4_6327 Depth=3
	v_cmp_ne_u16_sdwa s23, v16, v2 src0_sel:BYTE_3 src1_sel:DWORD
	v_mov_b32_e32 v79, 0
	s_andn2_b32 s16, s16, exec_lo
	s_and_b32 s23, s23, exec_lo
	s_or_b32 s16, s16, s23
	s_or_b32 exec_lo, exec_lo, s22
	s_and_saveexec_b32 s22, s16
	s_cbranch_execnz .LBB4_6447
	s_branch .LBB4_6448
.LBB4_7505:                             ;   in Loop: Header=BB4_6327 Depth=3
	s_or_saveexec_b32 s22, s22
	v_mov_b32_e32 v78, 0x7f800001
	s_xor_b32 exec_lo, exec_lo, s22
	s_cbranch_execz .LBB4_6454
.LBB4_7506:                             ;   in Loop: Header=BB4_6327 Depth=3
	v_cmp_ne_u16_sdwa s23, v20, v2 src0_sel:BYTE_3 src1_sel:DWORD
	v_mov_b32_e32 v78, 0
	s_andn2_b32 s16, s16, exec_lo
	s_and_b32 s23, s23, exec_lo
	s_or_b32 s16, s16, s23
	s_or_b32 exec_lo, exec_lo, s22
	s_and_saveexec_b32 s22, s16
	s_cbranch_execnz .LBB4_6455
	s_branch .LBB4_6456
.LBB4_7507:                             ;   in Loop: Header=BB4_6327 Depth=3
	s_or_saveexec_b32 s22, s22
	v_mov_b32_e32 v20, 0x7f800001
	s_xor_b32 exec_lo, exec_lo, s22
	s_cbranch_execz .LBB4_6460
.LBB4_7508:                             ;   in Loop: Header=BB4_6327 Depth=3
	v_cmp_ne_u16_sdwa s23, v16, v2 src0_sel:BYTE_3 src1_sel:DWORD
	v_mov_b32_e32 v20, 0
	s_andn2_b32 s16, s16, exec_lo
	s_and_b32 s23, s23, exec_lo
	s_or_b32 s16, s16, s23
	s_or_b32 exec_lo, exec_lo, s22
	s_and_saveexec_b32 s22, s16
	s_cbranch_execnz .LBB4_6461
	s_branch .LBB4_6462
.LBB4_7509:                             ;   in Loop: Header=BB4_6327 Depth=3
	s_or_saveexec_b32 s22, s22
	v_mov_b32_e32 v20, 0x7f800001
	s_xor_b32 exec_lo, exec_lo, s22
	s_cbranch_execz .LBB4_6476
.LBB4_7510:                             ;   in Loop: Header=BB4_6327 Depth=3
	v_cmp_ne_u16_sdwa s23, v21, v2 src0_sel:BYTE_0 src1_sel:DWORD
	v_mov_b32_e32 v20, 0
	s_andn2_b32 s16, s16, exec_lo
	s_and_b32 s23, s23, exec_lo
	s_or_b32 s16, s16, s23
	s_or_b32 exec_lo, exec_lo, s22
	s_and_saveexec_b32 s22, s16
	s_cbranch_execnz .LBB4_6477
	s_branch .LBB4_6478
.LBB4_7511:                             ;   in Loop: Header=BB4_6327 Depth=3
	s_or_saveexec_b32 s22, s22
	v_mov_b32_e32 v78, 0x7f800001
	s_xor_b32 exec_lo, exec_lo, s22
	s_cbranch_execz .LBB4_6482
.LBB4_7512:                             ;   in Loop: Header=BB4_6327 Depth=3
	v_cmp_ne_u16_sdwa s23, v17, v2 src0_sel:BYTE_0 src1_sel:DWORD
	v_mov_b32_e32 v78, 0
	s_andn2_b32 s16, s16, exec_lo
	s_and_b32 s23, s23, exec_lo
	s_or_b32 s16, s16, s23
	s_or_b32 exec_lo, exec_lo, s22
	s_and_saveexec_b32 s22, s16
	s_cbranch_execnz .LBB4_6483
	s_branch .LBB4_6484
.LBB4_7513:                             ;   in Loop: Header=BB4_6327 Depth=3
	s_or_saveexec_b32 s22, s22
	v_mov_b32_e32 v20, 0x7f800001
	s_xor_b32 exec_lo, exec_lo, s22
	s_cbranch_execz .LBB4_6490
.LBB4_7514:                             ;   in Loop: Header=BB4_6327 Depth=3
	v_cmp_ne_u16_sdwa s23, v21, v2 src0_sel:BYTE_0 src1_sel:DWORD
	v_mov_b32_e32 v20, 0
	s_andn2_b32 s16, s16, exec_lo
	s_and_b32 s23, s23, exec_lo
	s_or_b32 s16, s16, s23
	s_or_b32 exec_lo, exec_lo, s22
	s_and_saveexec_b32 s22, s16
	s_cbranch_execnz .LBB4_6491
	s_branch .LBB4_6492
.LBB4_7515:                             ;   in Loop: Header=BB4_6327 Depth=3
	s_or_saveexec_b32 s22, s22
	v_mov_b32_e32 v78, 0x7f800001
	s_xor_b32 exec_lo, exec_lo, s22
	s_cbranch_execz .LBB4_6496
.LBB4_7516:                             ;   in Loop: Header=BB4_6327 Depth=3
	v_cmp_ne_u16_sdwa s23, v17, v2 src0_sel:BYTE_0 src1_sel:DWORD
	v_mov_b32_e32 v78, 0
	s_andn2_b32 s16, s16, exec_lo
	s_and_b32 s23, s23, exec_lo
	s_or_b32 s16, s16, s23
	s_or_b32 exec_lo, exec_lo, s22
	s_and_saveexec_b32 s22, s16
	s_cbranch_execnz .LBB4_6497
	s_branch .LBB4_6498
.LBB4_7517:                             ;   in Loop: Header=BB4_6327 Depth=3
	s_or_saveexec_b32 s22, s22
	v_mov_b32_e32 v78, 0x7f800001
	s_xor_b32 exec_lo, exec_lo, s22
	s_cbranch_execz .LBB4_6512
.LBB4_7518:                             ;   in Loop: Header=BB4_6327 Depth=3
	v_cmp_ne_u16_sdwa s23, v21, v2 src0_sel:BYTE_1 src1_sel:DWORD
	v_mov_b32_e32 v78, 0
	s_andn2_b32 s16, s16, exec_lo
	s_and_b32 s23, s23, exec_lo
	s_or_b32 s16, s16, s23
	s_or_b32 exec_lo, exec_lo, s22
	s_and_saveexec_b32 s22, s16
	s_cbranch_execnz .LBB4_6513
	s_branch .LBB4_6514
.LBB4_7519:                             ;   in Loop: Header=BB4_6327 Depth=3
	s_or_saveexec_b32 s22, s22
	v_mov_b32_e32 v79, 0x7f800001
	s_xor_b32 exec_lo, exec_lo, s22
	s_cbranch_execz .LBB4_6518
.LBB4_7520:                             ;   in Loop: Header=BB4_6327 Depth=3
	v_cmp_ne_u16_sdwa s23, v17, v2 src0_sel:BYTE_1 src1_sel:DWORD
	v_mov_b32_e32 v79, 0
	s_andn2_b32 s16, s16, exec_lo
	s_and_b32 s23, s23, exec_lo
	s_or_b32 s16, s16, s23
	s_or_b32 exec_lo, exec_lo, s22
	s_and_saveexec_b32 s22, s16
	s_cbranch_execnz .LBB4_6519
	s_branch .LBB4_6520
.LBB4_7521:                             ;   in Loop: Header=BB4_6327 Depth=3
	s_or_saveexec_b32 s22, s22
	v_mov_b32_e32 v78, 0x7f800001
	s_xor_b32 exec_lo, exec_lo, s22
	s_cbranch_execz .LBB4_6526
.LBB4_7522:                             ;   in Loop: Header=BB4_6327 Depth=3
	v_cmp_ne_u16_sdwa s23, v21, v2 src0_sel:BYTE_1 src1_sel:DWORD
	v_mov_b32_e32 v78, 0
	s_andn2_b32 s16, s16, exec_lo
	s_and_b32 s23, s23, exec_lo
	s_or_b32 s16, s16, s23
	s_or_b32 exec_lo, exec_lo, s22
	s_and_saveexec_b32 s22, s16
	s_cbranch_execnz .LBB4_6527
	s_branch .LBB4_6528
.LBB4_7523:                             ;   in Loop: Header=BB4_6327 Depth=3
	s_or_saveexec_b32 s22, s22
	v_mov_b32_e32 v79, 0x7f800001
	s_xor_b32 exec_lo, exec_lo, s22
	s_cbranch_execz .LBB4_6532
.LBB4_7524:                             ;   in Loop: Header=BB4_6327 Depth=3
	v_cmp_ne_u16_sdwa s23, v17, v2 src0_sel:BYTE_1 src1_sel:DWORD
	v_mov_b32_e32 v79, 0
	s_andn2_b32 s16, s16, exec_lo
	s_and_b32 s23, s23, exec_lo
	s_or_b32 s16, s16, s23
	s_or_b32 exec_lo, exec_lo, s22
	s_and_saveexec_b32 s22, s16
	s_cbranch_execnz .LBB4_6533
	s_branch .LBB4_6534
.LBB4_7525:                             ;   in Loop: Header=BB4_6327 Depth=3
	s_or_saveexec_b32 s16, s16
	v_mov_b32_e32 v88, 0x7f800001
	s_xor_b32 exec_lo, exec_lo, s16
	s_cbranch_execz .LBB4_6548
.LBB4_7526:                             ;   in Loop: Header=BB4_6327 Depth=3
	v_cmp_ne_u16_e32 vcc_lo, 0, v79
	v_mov_b32_e32 v88, 0
	s_andn2_b32 s22, s22, exec_lo
	s_and_b32 s23, vcc_lo, exec_lo
	s_or_b32 s22, s22, s23
	s_or_b32 exec_lo, exec_lo, s16
	s_and_saveexec_b32 s16, s22
	s_cbranch_execnz .LBB4_6549
	s_branch .LBB4_6550
.LBB4_7527:                             ;   in Loop: Header=BB4_6327 Depth=3
	s_or_saveexec_b32 s22, s22
	v_mov_b32_e32 v89, 0x7f800001
	s_xor_b32 exec_lo, exec_lo, s22
	s_cbranch_execz .LBB4_6554
.LBB4_7528:                             ;   in Loop: Header=BB4_6327 Depth=3
	v_cmp_ne_u16_e32 vcc_lo, 0, v90
	v_mov_b32_e32 v89, 0
	s_andn2_b32 s16, s16, exec_lo
	s_and_b32 s23, vcc_lo, exec_lo
	s_or_b32 s16, s16, s23
	s_or_b32 exec_lo, exec_lo, s22
	s_and_saveexec_b32 s22, s16
	s_cbranch_execnz .LBB4_6555
	s_branch .LBB4_6556
.LBB4_7529:                             ;   in Loop: Header=BB4_6327 Depth=3
	s_or_saveexec_b32 s22, s22
	v_mov_b32_e32 v88, 0x7f800001
	s_xor_b32 exec_lo, exec_lo, s22
	s_cbranch_execz .LBB4_6562
.LBB4_7530:                             ;   in Loop: Header=BB4_6327 Depth=3
	v_cmp_ne_u16_e32 vcc_lo, 0, v79
	v_mov_b32_e32 v88, 0
	s_andn2_b32 s16, s16, exec_lo
	s_and_b32 s23, vcc_lo, exec_lo
	s_or_b32 s16, s16, s23
	s_or_b32 exec_lo, exec_lo, s22
	s_and_saveexec_b32 s22, s16
	s_cbranch_execnz .LBB4_6563
	s_branch .LBB4_6564
.LBB4_7531:                             ;   in Loop: Header=BB4_6327 Depth=3
	s_or_saveexec_b32 s22, s22
	v_mov_b32_e32 v79, 0x7f800001
	s_xor_b32 exec_lo, exec_lo, s22
	s_cbranch_execz .LBB4_6568
.LBB4_7532:                             ;   in Loop: Header=BB4_6327 Depth=3
	v_cmp_ne_u16_e32 vcc_lo, 0, v89
	v_mov_b32_e32 v79, 0
	s_andn2_b32 s16, s16, exec_lo
	s_and_b32 s23, vcc_lo, exec_lo
	s_or_b32 s16, s16, s23
	s_or_b32 exec_lo, exec_lo, s22
	s_and_saveexec_b32 s22, s16
	s_cbranch_execnz .LBB4_6569
	s_branch .LBB4_6570
.LBB4_7533:                             ;   in Loop: Header=BB4_6327 Depth=3
	s_or_saveexec_b32 s22, s22
	v_mov_b32_e32 v88, 0x7f800001
	s_xor_b32 exec_lo, exec_lo, s22
	s_cbranch_execz .LBB4_6584
.LBB4_7534:                             ;   in Loop: Header=BB4_6327 Depth=3
	v_cmp_ne_u16_sdwa s23, v21, v2 src0_sel:BYTE_3 src1_sel:DWORD
	v_mov_b32_e32 v88, 0
	s_andn2_b32 s16, s16, exec_lo
	s_and_b32 s23, s23, exec_lo
	s_or_b32 s16, s16, s23
	s_or_b32 exec_lo, exec_lo, s22
	s_and_saveexec_b32 s22, s16
	s_cbranch_execnz .LBB4_6585
	s_branch .LBB4_6586
.LBB4_7535:                             ;   in Loop: Header=BB4_6327 Depth=3
	s_or_saveexec_b32 s22, s22
	v_mov_b32_e32 v89, 0x7f800001
	s_xor_b32 exec_lo, exec_lo, s22
	s_cbranch_execz .LBB4_6590
.LBB4_7536:                             ;   in Loop: Header=BB4_6327 Depth=3
	v_cmp_ne_u16_sdwa s23, v17, v2 src0_sel:BYTE_3 src1_sel:DWORD
	v_mov_b32_e32 v89, 0
	s_andn2_b32 s16, s16, exec_lo
	s_and_b32 s23, s23, exec_lo
	s_or_b32 s16, s16, s23
	s_or_b32 exec_lo, exec_lo, s22
	s_and_saveexec_b32 s22, s16
	s_cbranch_execnz .LBB4_6591
	s_branch .LBB4_6592
.LBB4_7537:                             ;   in Loop: Header=BB4_6327 Depth=3
	s_or_saveexec_b32 s22, s22
	v_mov_b32_e32 v88, 0x7f800001
	s_xor_b32 exec_lo, exec_lo, s22
	s_cbranch_execz .LBB4_6598
.LBB4_7538:                             ;   in Loop: Header=BB4_6327 Depth=3
	v_cmp_ne_u16_sdwa s23, v21, v2 src0_sel:BYTE_3 src1_sel:DWORD
	v_mov_b32_e32 v88, 0
	s_andn2_b32 s16, s16, exec_lo
	s_and_b32 s23, s23, exec_lo
	s_or_b32 s16, s16, s23
	s_or_b32 exec_lo, exec_lo, s22
	s_and_saveexec_b32 s22, s16
	s_cbranch_execnz .LBB4_6599
	s_branch .LBB4_6600
.LBB4_7539:                             ;   in Loop: Header=BB4_6327 Depth=3
	s_or_saveexec_b32 s22, s22
	v_mov_b32_e32 v21, 0x7f800001
	s_xor_b32 exec_lo, exec_lo, s22
	s_cbranch_execz .LBB4_6604
.LBB4_7540:                             ;   in Loop: Header=BB4_6327 Depth=3
	v_cmp_ne_u16_sdwa s23, v17, v2 src0_sel:BYTE_3 src1_sel:DWORD
	v_mov_b32_e32 v21, 0
	s_andn2_b32 s16, s16, exec_lo
	s_and_b32 s23, s23, exec_lo
	s_or_b32 s16, s16, s23
	s_or_b32 exec_lo, exec_lo, s22
	s_and_saveexec_b32 s22, s16
	s_cbranch_execnz .LBB4_6605
	s_branch .LBB4_6606
.LBB4_7541:                             ;   in Loop: Header=BB4_6327 Depth=3
	s_or_saveexec_b32 s22, s22
	v_mov_b32_e32 v21, 0x7f800001
	s_xor_b32 exec_lo, exec_lo, s22
	s_cbranch_execz .LBB4_6620
.LBB4_7542:                             ;   in Loop: Header=BB4_6327 Depth=3
	v_cmp_ne_u16_sdwa s23, v22, v2 src0_sel:BYTE_0 src1_sel:DWORD
	v_mov_b32_e32 v21, 0
	s_andn2_b32 s16, s16, exec_lo
	s_and_b32 s23, s23, exec_lo
	s_or_b32 s16, s16, s23
	s_or_b32 exec_lo, exec_lo, s22
	s_and_saveexec_b32 s22, s16
	s_cbranch_execnz .LBB4_6621
	s_branch .LBB4_6622
.LBB4_7543:                             ;   in Loop: Header=BB4_6327 Depth=3
	s_or_saveexec_b32 s22, s22
	v_mov_b32_e32 v88, 0x7f800001
	s_xor_b32 exec_lo, exec_lo, s22
	s_cbranch_execz .LBB4_6626
.LBB4_7544:                             ;   in Loop: Header=BB4_6327 Depth=3
	v_cmp_ne_u16_sdwa s23, v18, v2 src0_sel:BYTE_0 src1_sel:DWORD
	v_mov_b32_e32 v88, 0
	s_andn2_b32 s16, s16, exec_lo
	s_and_b32 s23, s23, exec_lo
	s_or_b32 s16, s16, s23
	s_or_b32 exec_lo, exec_lo, s22
	s_and_saveexec_b32 s22, s16
	s_cbranch_execnz .LBB4_6627
	s_branch .LBB4_6628
.LBB4_7545:                             ;   in Loop: Header=BB4_6327 Depth=3
	s_or_saveexec_b32 s22, s22
	v_mov_b32_e32 v21, 0x7f800001
	s_xor_b32 exec_lo, exec_lo, s22
	s_cbranch_execz .LBB4_6634
.LBB4_7546:                             ;   in Loop: Header=BB4_6327 Depth=3
	v_cmp_ne_u16_sdwa s23, v22, v2 src0_sel:BYTE_0 src1_sel:DWORD
	v_mov_b32_e32 v21, 0
	s_andn2_b32 s16, s16, exec_lo
	s_and_b32 s23, s23, exec_lo
	s_or_b32 s16, s16, s23
	s_or_b32 exec_lo, exec_lo, s22
	s_and_saveexec_b32 s22, s16
	s_cbranch_execnz .LBB4_6635
	s_branch .LBB4_6636
.LBB4_7547:                             ;   in Loop: Header=BB4_6327 Depth=3
	s_or_saveexec_b32 s22, s22
	v_mov_b32_e32 v88, 0x7f800001
	s_xor_b32 exec_lo, exec_lo, s22
	s_cbranch_execz .LBB4_6640
.LBB4_7548:                             ;   in Loop: Header=BB4_6327 Depth=3
	v_cmp_ne_u16_sdwa s23, v18, v2 src0_sel:BYTE_0 src1_sel:DWORD
	v_mov_b32_e32 v88, 0
	s_andn2_b32 s16, s16, exec_lo
	s_and_b32 s23, s23, exec_lo
	s_or_b32 s16, s16, s23
	s_or_b32 exec_lo, exec_lo, s22
	s_and_saveexec_b32 s22, s16
	s_cbranch_execnz .LBB4_6641
	s_branch .LBB4_6642
.LBB4_7549:                             ;   in Loop: Header=BB4_6327 Depth=3
	s_or_saveexec_b32 s22, s22
	v_mov_b32_e32 v88, 0x7f800001
	s_xor_b32 exec_lo, exec_lo, s22
	s_cbranch_execz .LBB4_6656
.LBB4_7550:                             ;   in Loop: Header=BB4_6327 Depth=3
	v_cmp_ne_u16_sdwa s23, v22, v2 src0_sel:BYTE_1 src1_sel:DWORD
	v_mov_b32_e32 v88, 0
	s_andn2_b32 s16, s16, exec_lo
	s_and_b32 s23, s23, exec_lo
	s_or_b32 s16, s16, s23
	s_or_b32 exec_lo, exec_lo, s22
	s_and_saveexec_b32 s22, s16
	s_cbranch_execnz .LBB4_6657
	s_branch .LBB4_6658
.LBB4_7551:                             ;   in Loop: Header=BB4_6327 Depth=3
	s_or_saveexec_b32 s22, s22
	v_mov_b32_e32 v89, 0x7f800001
	s_xor_b32 exec_lo, exec_lo, s22
	s_cbranch_execz .LBB4_6662
.LBB4_7552:                             ;   in Loop: Header=BB4_6327 Depth=3
	v_cmp_ne_u16_sdwa s23, v18, v2 src0_sel:BYTE_1 src1_sel:DWORD
	v_mov_b32_e32 v89, 0
	s_andn2_b32 s16, s16, exec_lo
	s_and_b32 s23, s23, exec_lo
	s_or_b32 s16, s16, s23
	s_or_b32 exec_lo, exec_lo, s22
	s_and_saveexec_b32 s22, s16
	s_cbranch_execnz .LBB4_6663
	s_branch .LBB4_6664
.LBB4_7553:                             ;   in Loop: Header=BB4_6327 Depth=3
	s_or_saveexec_b32 s22, s22
	v_mov_b32_e32 v88, 0x7f800001
	s_xor_b32 exec_lo, exec_lo, s22
	s_cbranch_execz .LBB4_6670
.LBB4_7554:                             ;   in Loop: Header=BB4_6327 Depth=3
	v_cmp_ne_u16_sdwa s23, v22, v2 src0_sel:BYTE_1 src1_sel:DWORD
	v_mov_b32_e32 v88, 0
	s_andn2_b32 s16, s16, exec_lo
	s_and_b32 s23, s23, exec_lo
	s_or_b32 s16, s16, s23
	s_or_b32 exec_lo, exec_lo, s22
	s_and_saveexec_b32 s22, s16
	s_cbranch_execnz .LBB4_6671
	s_branch .LBB4_6672
.LBB4_7555:                             ;   in Loop: Header=BB4_6327 Depth=3
	s_or_saveexec_b32 s22, s22
	v_mov_b32_e32 v89, 0x7f800001
	s_xor_b32 exec_lo, exec_lo, s22
	s_cbranch_execz .LBB4_6676
.LBB4_7556:                             ;   in Loop: Header=BB4_6327 Depth=3
	v_cmp_ne_u16_sdwa s23, v18, v2 src0_sel:BYTE_1 src1_sel:DWORD
	v_mov_b32_e32 v89, 0
	s_andn2_b32 s16, s16, exec_lo
	s_and_b32 s23, s23, exec_lo
	s_or_b32 s16, s16, s23
	s_or_b32 exec_lo, exec_lo, s22
	s_and_saveexec_b32 s22, s16
	s_cbranch_execnz .LBB4_6677
	s_branch .LBB4_6678
.LBB4_7557:                             ;   in Loop: Header=BB4_6327 Depth=3
	s_or_saveexec_b32 s16, s16
	v_mov_b32_e32 v90, 0x7f800001
	s_xor_b32 exec_lo, exec_lo, s16
	s_cbranch_execz .LBB4_6692
.LBB4_7558:                             ;   in Loop: Header=BB4_6327 Depth=3
	v_cmp_ne_u16_e32 vcc_lo, 0, v89
	v_mov_b32_e32 v90, 0
	s_andn2_b32 s22, s22, exec_lo
	s_and_b32 s23, vcc_lo, exec_lo
	s_or_b32 s22, s22, s23
	s_or_b32 exec_lo, exec_lo, s16
	s_and_saveexec_b32 s16, s22
	s_cbranch_execnz .LBB4_6693
	s_branch .LBB4_6694
.LBB4_7559:                             ;   in Loop: Header=BB4_6327 Depth=3
	s_or_saveexec_b32 s22, s22
	v_mov_b32_e32 v91, 0x7f800001
	s_xor_b32 exec_lo, exec_lo, s22
	s_cbranch_execz .LBB4_6698
.LBB4_7560:                             ;   in Loop: Header=BB4_6327 Depth=3
	v_cmp_ne_u16_e32 vcc_lo, 0, v92
	v_mov_b32_e32 v91, 0
	s_andn2_b32 s16, s16, exec_lo
	s_and_b32 s23, vcc_lo, exec_lo
	s_or_b32 s16, s16, s23
	s_or_b32 exec_lo, exec_lo, s22
	s_and_saveexec_b32 s22, s16
	s_cbranch_execnz .LBB4_6699
	s_branch .LBB4_6700
.LBB4_7561:                             ;   in Loop: Header=BB4_6327 Depth=3
	s_or_saveexec_b32 s22, s22
	v_mov_b32_e32 v90, 0x7f800001
	s_xor_b32 exec_lo, exec_lo, s22
	s_cbranch_execz .LBB4_6706
.LBB4_7562:                             ;   in Loop: Header=BB4_6327 Depth=3
	v_cmp_ne_u16_e32 vcc_lo, 0, v89
	v_mov_b32_e32 v90, 0
	s_andn2_b32 s16, s16, exec_lo
	s_and_b32 s23, vcc_lo, exec_lo
	s_or_b32 s16, s16, s23
	s_or_b32 exec_lo, exec_lo, s22
	s_and_saveexec_b32 s22, s16
	s_cbranch_execnz .LBB4_6707
	s_branch .LBB4_6708
.LBB4_7563:                             ;   in Loop: Header=BB4_6327 Depth=3
	s_or_saveexec_b32 s22, s22
	v_mov_b32_e32 v89, 0x7f800001
	s_xor_b32 exec_lo, exec_lo, s22
	s_cbranch_execz .LBB4_6712
.LBB4_7564:                             ;   in Loop: Header=BB4_6327 Depth=3
	v_cmp_ne_u16_e32 vcc_lo, 0, v91
	v_mov_b32_e32 v89, 0
	s_andn2_b32 s16, s16, exec_lo
	s_and_b32 s23, vcc_lo, exec_lo
	s_or_b32 s16, s16, s23
	s_or_b32 exec_lo, exec_lo, s22
	s_and_saveexec_b32 s22, s16
	s_cbranch_execnz .LBB4_6713
	s_branch .LBB4_6714
.LBB4_7565:                             ;   in Loop: Header=BB4_6327 Depth=3
	s_or_saveexec_b32 s22, s22
	v_mov_b32_e32 v90, 0x7f800001
	s_xor_b32 exec_lo, exec_lo, s22
	s_cbranch_execz .LBB4_6728
.LBB4_7566:                             ;   in Loop: Header=BB4_6327 Depth=3
	v_cmp_ne_u16_sdwa s23, v22, v2 src0_sel:BYTE_3 src1_sel:DWORD
	v_mov_b32_e32 v90, 0
	s_andn2_b32 s16, s16, exec_lo
	s_and_b32 s23, s23, exec_lo
	s_or_b32 s16, s16, s23
	s_or_b32 exec_lo, exec_lo, s22
	s_and_saveexec_b32 s22, s16
	s_cbranch_execnz .LBB4_6729
	s_branch .LBB4_6730
.LBB4_7567:                             ;   in Loop: Header=BB4_6327 Depth=3
	s_or_saveexec_b32 s22, s22
	v_mov_b32_e32 v91, 0x7f800001
	s_xor_b32 exec_lo, exec_lo, s22
	s_cbranch_execz .LBB4_6734
.LBB4_7568:                             ;   in Loop: Header=BB4_6327 Depth=3
	v_cmp_ne_u16_sdwa s23, v18, v2 src0_sel:BYTE_3 src1_sel:DWORD
	v_mov_b32_e32 v91, 0
	s_andn2_b32 s16, s16, exec_lo
	s_and_b32 s23, s23, exec_lo
	s_or_b32 s16, s16, s23
	s_or_b32 exec_lo, exec_lo, s22
	s_and_saveexec_b32 s22, s16
	s_cbranch_execnz .LBB4_6735
	s_branch .LBB4_6736
.LBB4_7569:                             ;   in Loop: Header=BB4_6327 Depth=3
	s_or_saveexec_b32 s22, s22
	v_mov_b32_e32 v90, 0x7f800001
	s_xor_b32 exec_lo, exec_lo, s22
	s_cbranch_execz .LBB4_6742
.LBB4_7570:                             ;   in Loop: Header=BB4_6327 Depth=3
	v_cmp_ne_u16_sdwa s23, v22, v2 src0_sel:BYTE_3 src1_sel:DWORD
	v_mov_b32_e32 v90, 0
	s_andn2_b32 s16, s16, exec_lo
	s_and_b32 s23, s23, exec_lo
	s_or_b32 s16, s16, s23
	s_or_b32 exec_lo, exec_lo, s22
	s_and_saveexec_b32 s22, s16
	s_cbranch_execnz .LBB4_6743
	s_branch .LBB4_6744
.LBB4_7571:                             ;   in Loop: Header=BB4_6327 Depth=3
	s_or_saveexec_b32 s22, s22
	v_mov_b32_e32 v22, 0x7f800001
	s_xor_b32 exec_lo, exec_lo, s22
	s_cbranch_execz .LBB4_6748
.LBB4_7572:                             ;   in Loop: Header=BB4_6327 Depth=3
	v_cmp_ne_u16_sdwa s23, v18, v2 src0_sel:BYTE_3 src1_sel:DWORD
	v_mov_b32_e32 v22, 0
	s_andn2_b32 s16, s16, exec_lo
	s_and_b32 s23, s23, exec_lo
	s_or_b32 s16, s16, s23
	s_or_b32 exec_lo, exec_lo, s22
	s_and_saveexec_b32 s22, s16
	s_cbranch_execnz .LBB4_6749
	s_branch .LBB4_6750
.LBB4_7573:                             ;   in Loop: Header=BB4_6327 Depth=3
	s_or_saveexec_b32 s22, s22
	v_mov_b32_e32 v22, 0x7f800001
	s_xor_b32 exec_lo, exec_lo, s22
	s_cbranch_execz .LBB4_6764
.LBB4_7574:                             ;   in Loop: Header=BB4_6327 Depth=3
	v_cmp_ne_u16_sdwa s23, v23, v2 src0_sel:BYTE_0 src1_sel:DWORD
	v_mov_b32_e32 v22, 0
	s_andn2_b32 s16, s16, exec_lo
	s_and_b32 s23, s23, exec_lo
	s_or_b32 s16, s16, s23
	s_or_b32 exec_lo, exec_lo, s22
	s_and_saveexec_b32 s22, s16
	s_cbranch_execnz .LBB4_6765
	s_branch .LBB4_6766
.LBB4_7575:                             ;   in Loop: Header=BB4_6327 Depth=3
	s_or_saveexec_b32 s22, s22
	v_mov_b32_e32 v90, 0x7f800001
	s_xor_b32 exec_lo, exec_lo, s22
	s_cbranch_execz .LBB4_6770
.LBB4_7576:                             ;   in Loop: Header=BB4_6327 Depth=3
	v_cmp_ne_u16_sdwa s23, v19, v2 src0_sel:BYTE_0 src1_sel:DWORD
	v_mov_b32_e32 v90, 0
	s_andn2_b32 s16, s16, exec_lo
	s_and_b32 s23, s23, exec_lo
	s_or_b32 s16, s16, s23
	s_or_b32 exec_lo, exec_lo, s22
	s_and_saveexec_b32 s22, s16
	s_cbranch_execnz .LBB4_6771
	s_branch .LBB4_6772
.LBB4_7577:                             ;   in Loop: Header=BB4_6327 Depth=3
	s_or_saveexec_b32 s22, s22
	v_mov_b32_e32 v22, 0x7f800001
	s_xor_b32 exec_lo, exec_lo, s22
	s_cbranch_execz .LBB4_6778
.LBB4_7578:                             ;   in Loop: Header=BB4_6327 Depth=3
	v_cmp_ne_u16_sdwa s23, v23, v2 src0_sel:BYTE_0 src1_sel:DWORD
	v_mov_b32_e32 v22, 0
	s_andn2_b32 s16, s16, exec_lo
	s_and_b32 s23, s23, exec_lo
	s_or_b32 s16, s16, s23
	s_or_b32 exec_lo, exec_lo, s22
	s_and_saveexec_b32 s22, s16
	s_cbranch_execnz .LBB4_6779
	s_branch .LBB4_6780
.LBB4_7579:                             ;   in Loop: Header=BB4_6327 Depth=3
	s_or_saveexec_b32 s22, s22
	v_mov_b32_e32 v90, 0x7f800001
	s_xor_b32 exec_lo, exec_lo, s22
	s_cbranch_execz .LBB4_6784
.LBB4_7580:                             ;   in Loop: Header=BB4_6327 Depth=3
	v_cmp_ne_u16_sdwa s23, v19, v2 src0_sel:BYTE_0 src1_sel:DWORD
	v_mov_b32_e32 v90, 0
	s_andn2_b32 s16, s16, exec_lo
	s_and_b32 s23, s23, exec_lo
	s_or_b32 s16, s16, s23
	s_or_b32 exec_lo, exec_lo, s22
	s_and_saveexec_b32 s22, s16
	s_cbranch_execnz .LBB4_6785
	s_branch .LBB4_6786
.LBB4_7581:                             ;   in Loop: Header=BB4_6327 Depth=3
	s_or_saveexec_b32 s22, s22
	v_mov_b32_e32 v90, 0x7f800001
	s_xor_b32 exec_lo, exec_lo, s22
	s_cbranch_execz .LBB4_6800
.LBB4_7582:                             ;   in Loop: Header=BB4_6327 Depth=3
	v_cmp_ne_u16_sdwa s23, v23, v2 src0_sel:BYTE_1 src1_sel:DWORD
	v_mov_b32_e32 v90, 0
	s_andn2_b32 s16, s16, exec_lo
	s_and_b32 s23, s23, exec_lo
	s_or_b32 s16, s16, s23
	s_or_b32 exec_lo, exec_lo, s22
	s_and_saveexec_b32 s22, s16
	s_cbranch_execnz .LBB4_6801
	s_branch .LBB4_6802
.LBB4_7583:                             ;   in Loop: Header=BB4_6327 Depth=3
	s_or_saveexec_b32 s22, s22
	v_mov_b32_e32 v91, 0x7f800001
	s_xor_b32 exec_lo, exec_lo, s22
	s_cbranch_execz .LBB4_6806
.LBB4_7584:                             ;   in Loop: Header=BB4_6327 Depth=3
	v_cmp_ne_u16_sdwa s23, v19, v2 src0_sel:BYTE_1 src1_sel:DWORD
	v_mov_b32_e32 v91, 0
	s_andn2_b32 s16, s16, exec_lo
	s_and_b32 s23, s23, exec_lo
	s_or_b32 s16, s16, s23
	s_or_b32 exec_lo, exec_lo, s22
	s_and_saveexec_b32 s22, s16
	s_cbranch_execnz .LBB4_6807
	s_branch .LBB4_6808
.LBB4_7585:                             ;   in Loop: Header=BB4_6327 Depth=3
	s_or_saveexec_b32 s22, s22
	v_mov_b32_e32 v90, 0x7f800001
	s_xor_b32 exec_lo, exec_lo, s22
	s_cbranch_execz .LBB4_6814
.LBB4_7586:                             ;   in Loop: Header=BB4_6327 Depth=3
	v_cmp_ne_u16_sdwa s23, v23, v2 src0_sel:BYTE_1 src1_sel:DWORD
	v_mov_b32_e32 v90, 0
	s_andn2_b32 s16, s16, exec_lo
	s_and_b32 s23, s23, exec_lo
	s_or_b32 s16, s16, s23
	s_or_b32 exec_lo, exec_lo, s22
	s_and_saveexec_b32 s22, s16
	s_cbranch_execnz .LBB4_6815
	s_branch .LBB4_6816
.LBB4_7587:                             ;   in Loop: Header=BB4_6327 Depth=3
	s_or_saveexec_b32 s22, s22
	v_mov_b32_e32 v91, 0x7f800001
	s_xor_b32 exec_lo, exec_lo, s22
	s_cbranch_execz .LBB4_6820
.LBB4_7588:                             ;   in Loop: Header=BB4_6327 Depth=3
	v_cmp_ne_u16_sdwa s23, v19, v2 src0_sel:BYTE_1 src1_sel:DWORD
	v_mov_b32_e32 v91, 0
	s_andn2_b32 s16, s16, exec_lo
	s_and_b32 s23, s23, exec_lo
	s_or_b32 s16, s16, s23
	s_or_b32 exec_lo, exec_lo, s22
	s_and_saveexec_b32 s22, s16
	s_cbranch_execnz .LBB4_6821
	s_branch .LBB4_6822
.LBB4_7589:                             ;   in Loop: Header=BB4_6327 Depth=3
	s_or_saveexec_b32 s16, s16
	v_mov_b32_e32 v92, 0x7f800001
	s_xor_b32 exec_lo, exec_lo, s16
	s_cbranch_execz .LBB4_6836
.LBB4_7590:                             ;   in Loop: Header=BB4_6327 Depth=3
	v_cmp_ne_u16_e32 vcc_lo, 0, v91
	v_mov_b32_e32 v92, 0
	s_andn2_b32 s22, s22, exec_lo
	s_and_b32 s23, vcc_lo, exec_lo
	s_or_b32 s22, s22, s23
	s_or_b32 exec_lo, exec_lo, s16
	s_and_saveexec_b32 s16, s22
	s_cbranch_execnz .LBB4_6837
	s_branch .LBB4_6838
.LBB4_7591:                             ;   in Loop: Header=BB4_6327 Depth=3
	s_or_saveexec_b32 s22, s22
	v_mov_b32_e32 v93, 0x7f800001
	s_xor_b32 exec_lo, exec_lo, s22
	s_cbranch_execz .LBB4_6842
.LBB4_7592:                             ;   in Loop: Header=BB4_6327 Depth=3
	v_cmp_ne_u16_e32 vcc_lo, 0, v94
	v_mov_b32_e32 v93, 0
	s_andn2_b32 s16, s16, exec_lo
	s_and_b32 s23, vcc_lo, exec_lo
	s_or_b32 s16, s16, s23
	s_or_b32 exec_lo, exec_lo, s22
	s_and_saveexec_b32 s22, s16
	s_cbranch_execnz .LBB4_6843
	s_branch .LBB4_6844
.LBB4_7593:                             ;   in Loop: Header=BB4_6327 Depth=3
	s_or_saveexec_b32 s22, s22
	v_mov_b32_e32 v92, 0x7f800001
	s_xor_b32 exec_lo, exec_lo, s22
	s_cbranch_execz .LBB4_6850
.LBB4_7594:                             ;   in Loop: Header=BB4_6327 Depth=3
	v_cmp_ne_u16_e32 vcc_lo, 0, v91
	v_mov_b32_e32 v92, 0
	s_andn2_b32 s16, s16, exec_lo
	s_and_b32 s23, vcc_lo, exec_lo
	s_or_b32 s16, s16, s23
	s_or_b32 exec_lo, exec_lo, s22
	s_and_saveexec_b32 s22, s16
	s_cbranch_execnz .LBB4_6851
	s_branch .LBB4_6852
.LBB4_7595:                             ;   in Loop: Header=BB4_6327 Depth=3
	s_or_saveexec_b32 s22, s22
	v_mov_b32_e32 v91, 0x7f800001
	s_xor_b32 exec_lo, exec_lo, s22
	s_cbranch_execz .LBB4_6856
.LBB4_7596:                             ;   in Loop: Header=BB4_6327 Depth=3
	v_cmp_ne_u16_e32 vcc_lo, 0, v93
	v_mov_b32_e32 v91, 0
	s_andn2_b32 s16, s16, exec_lo
	s_and_b32 s23, vcc_lo, exec_lo
	s_or_b32 s16, s16, s23
	s_or_b32 exec_lo, exec_lo, s22
	s_and_saveexec_b32 s22, s16
	s_cbranch_execnz .LBB4_6857
	s_branch .LBB4_6858
.LBB4_7597:                             ;   in Loop: Header=BB4_6327 Depth=3
	s_or_saveexec_b32 s22, s22
	v_mov_b32_e32 v92, 0x7f800001
	s_xor_b32 exec_lo, exec_lo, s22
	s_cbranch_execz .LBB4_6872
.LBB4_7598:                             ;   in Loop: Header=BB4_6327 Depth=3
	v_cmp_ne_u16_sdwa s23, v23, v2 src0_sel:BYTE_3 src1_sel:DWORD
	v_mov_b32_e32 v92, 0
	s_andn2_b32 s16, s16, exec_lo
	s_and_b32 s23, s23, exec_lo
	s_or_b32 s16, s16, s23
	s_or_b32 exec_lo, exec_lo, s22
	s_and_saveexec_b32 s22, s16
	s_cbranch_execnz .LBB4_6873
	s_branch .LBB4_6874
.LBB4_7599:                             ;   in Loop: Header=BB4_6327 Depth=3
	s_or_saveexec_b32 s22, s22
	v_mov_b32_e32 v93, 0x7f800001
	s_xor_b32 exec_lo, exec_lo, s22
	s_cbranch_execz .LBB4_6878
.LBB4_7600:                             ;   in Loop: Header=BB4_6327 Depth=3
	v_cmp_ne_u16_sdwa s23, v19, v2 src0_sel:BYTE_3 src1_sel:DWORD
	v_mov_b32_e32 v93, 0
	s_andn2_b32 s16, s16, exec_lo
	s_and_b32 s23, s23, exec_lo
	s_or_b32 s16, s16, s23
	s_or_b32 exec_lo, exec_lo, s22
	s_and_saveexec_b32 s22, s16
	s_cbranch_execnz .LBB4_6879
	s_branch .LBB4_6880
.LBB4_7601:                             ;   in Loop: Header=BB4_6327 Depth=3
	s_or_saveexec_b32 s22, s22
	v_mov_b32_e32 v92, 0x7f800001
	s_xor_b32 exec_lo, exec_lo, s22
	s_cbranch_execz .LBB4_6886
.LBB4_7602:                             ;   in Loop: Header=BB4_6327 Depth=3
	v_cmp_ne_u16_sdwa s23, v23, v2 src0_sel:BYTE_3 src1_sel:DWORD
	v_mov_b32_e32 v92, 0
	s_andn2_b32 s16, s16, exec_lo
	s_and_b32 s23, s23, exec_lo
	s_or_b32 s16, s16, s23
	s_or_b32 exec_lo, exec_lo, s22
	s_and_saveexec_b32 s22, s16
	s_cbranch_execnz .LBB4_6887
	s_branch .LBB4_6888
.LBB4_7603:                             ;   in Loop: Header=BB4_6327 Depth=3
	s_or_saveexec_b32 s22, s22
	v_mov_b32_e32 v23, 0x7f800001
	s_xor_b32 exec_lo, exec_lo, s22
	s_cbranch_execz .LBB4_6892
.LBB4_7604:                             ;   in Loop: Header=BB4_6327 Depth=3
	v_cmp_ne_u16_sdwa s23, v19, v2 src0_sel:BYTE_3 src1_sel:DWORD
	v_mov_b32_e32 v23, 0
	s_andn2_b32 s16, s16, exec_lo
	s_and_b32 s23, s23, exec_lo
	s_or_b32 s16, s16, s23
	s_or_b32 exec_lo, exec_lo, s22
	s_and_saveexec_b32 s22, s16
	s_cbranch_execnz .LBB4_6893
	s_branch .LBB4_6894
.LBB4_7605:                             ;   in Loop: Header=BB4_6327 Depth=3
	s_or_saveexec_b32 s22, s22
	v_mov_b32_e32 v23, 0x7f800001
	s_xor_b32 exec_lo, exec_lo, s22
	s_cbranch_execz .LBB4_6908
.LBB4_7606:                             ;   in Loop: Header=BB4_6327 Depth=3
	v_cmp_ne_u16_sdwa s23, v12, v2 src0_sel:BYTE_0 src1_sel:DWORD
	v_mov_b32_e32 v23, 0
	s_andn2_b32 s16, s16, exec_lo
	s_and_b32 s23, s23, exec_lo
	s_or_b32 s16, s16, s23
	s_or_b32 exec_lo, exec_lo, s22
	s_and_saveexec_b32 s22, s16
	s_cbranch_execnz .LBB4_6909
	s_branch .LBB4_6910
.LBB4_7607:                             ;   in Loop: Header=BB4_6327 Depth=3
	s_or_saveexec_b32 s22, s22
	v_mov_b32_e32 v92, 0x7f800001
	s_xor_b32 exec_lo, exec_lo, s22
	s_cbranch_execz .LBB4_6914
.LBB4_7608:                             ;   in Loop: Header=BB4_6327 Depth=3
	v_cmp_ne_u16_sdwa s23, v8, v2 src0_sel:BYTE_0 src1_sel:DWORD
	v_mov_b32_e32 v92, 0
	s_andn2_b32 s16, s16, exec_lo
	s_and_b32 s23, s23, exec_lo
	s_or_b32 s16, s16, s23
	s_or_b32 exec_lo, exec_lo, s22
	s_and_saveexec_b32 s22, s16
	s_cbranch_execnz .LBB4_6915
	s_branch .LBB4_6916
.LBB4_7609:                             ;   in Loop: Header=BB4_6327 Depth=3
	s_or_saveexec_b32 s22, s22
	v_mov_b32_e32 v23, 0x7f800001
	s_xor_b32 exec_lo, exec_lo, s22
	s_cbranch_execz .LBB4_6922
.LBB4_7610:                             ;   in Loop: Header=BB4_6327 Depth=3
	v_cmp_ne_u16_sdwa s23, v12, v2 src0_sel:BYTE_0 src1_sel:DWORD
	v_mov_b32_e32 v23, 0
	s_andn2_b32 s16, s16, exec_lo
	s_and_b32 s23, s23, exec_lo
	s_or_b32 s16, s16, s23
	s_or_b32 exec_lo, exec_lo, s22
	s_and_saveexec_b32 s22, s16
	s_cbranch_execnz .LBB4_6923
	s_branch .LBB4_6924
.LBB4_7611:                             ;   in Loop: Header=BB4_6327 Depth=3
	s_or_saveexec_b32 s22, s22
	v_mov_b32_e32 v92, 0x7f800001
	s_xor_b32 exec_lo, exec_lo, s22
	s_cbranch_execz .LBB4_6928
.LBB4_7612:                             ;   in Loop: Header=BB4_6327 Depth=3
	v_cmp_ne_u16_sdwa s23, v8, v2 src0_sel:BYTE_0 src1_sel:DWORD
	v_mov_b32_e32 v92, 0
	s_andn2_b32 s16, s16, exec_lo
	s_and_b32 s23, s23, exec_lo
	s_or_b32 s16, s16, s23
	s_or_b32 exec_lo, exec_lo, s22
	s_and_saveexec_b32 s22, s16
	s_cbranch_execnz .LBB4_6929
	s_branch .LBB4_6930
.LBB4_7613:                             ;   in Loop: Header=BB4_6327 Depth=3
	s_or_saveexec_b32 s22, s22
	v_mov_b32_e32 v92, 0x7f800001
	s_xor_b32 exec_lo, exec_lo, s22
	s_cbranch_execz .LBB4_6944
.LBB4_7614:                             ;   in Loop: Header=BB4_6327 Depth=3
	v_cmp_ne_u16_sdwa s23, v12, v2 src0_sel:BYTE_1 src1_sel:DWORD
	v_mov_b32_e32 v92, 0
	s_andn2_b32 s16, s16, exec_lo
	s_and_b32 s23, s23, exec_lo
	s_or_b32 s16, s16, s23
	s_or_b32 exec_lo, exec_lo, s22
	s_and_saveexec_b32 s22, s16
	s_cbranch_execnz .LBB4_6945
	s_branch .LBB4_6946
.LBB4_7615:                             ;   in Loop: Header=BB4_6327 Depth=3
	s_or_saveexec_b32 s22, s22
	v_mov_b32_e32 v93, 0x7f800001
	s_xor_b32 exec_lo, exec_lo, s22
	s_cbranch_execz .LBB4_6950
.LBB4_7616:                             ;   in Loop: Header=BB4_6327 Depth=3
	v_cmp_ne_u16_sdwa s23, v8, v2 src0_sel:BYTE_1 src1_sel:DWORD
	v_mov_b32_e32 v93, 0
	s_andn2_b32 s16, s16, exec_lo
	s_and_b32 s23, s23, exec_lo
	s_or_b32 s16, s16, s23
	s_or_b32 exec_lo, exec_lo, s22
	s_and_saveexec_b32 s22, s16
	s_cbranch_execnz .LBB4_6951
	s_branch .LBB4_6952
.LBB4_7617:                             ;   in Loop: Header=BB4_6327 Depth=3
	s_or_saveexec_b32 s22, s22
	v_mov_b32_e32 v92, 0x7f800001
	s_xor_b32 exec_lo, exec_lo, s22
	s_cbranch_execz .LBB4_6958
.LBB4_7618:                             ;   in Loop: Header=BB4_6327 Depth=3
	v_cmp_ne_u16_sdwa s23, v12, v2 src0_sel:BYTE_1 src1_sel:DWORD
	v_mov_b32_e32 v92, 0
	s_andn2_b32 s16, s16, exec_lo
	s_and_b32 s23, s23, exec_lo
	s_or_b32 s16, s16, s23
	s_or_b32 exec_lo, exec_lo, s22
	s_and_saveexec_b32 s22, s16
	s_cbranch_execnz .LBB4_6959
	s_branch .LBB4_6960
.LBB4_7619:                             ;   in Loop: Header=BB4_6327 Depth=3
	s_or_saveexec_b32 s22, s22
	v_mov_b32_e32 v93, 0x7f800001
	s_xor_b32 exec_lo, exec_lo, s22
	s_cbranch_execz .LBB4_6964
.LBB4_7620:                             ;   in Loop: Header=BB4_6327 Depth=3
	v_cmp_ne_u16_sdwa s23, v8, v2 src0_sel:BYTE_1 src1_sel:DWORD
	v_mov_b32_e32 v93, 0
	s_andn2_b32 s16, s16, exec_lo
	s_and_b32 s23, s23, exec_lo
	s_or_b32 s16, s16, s23
	s_or_b32 exec_lo, exec_lo, s22
	s_and_saveexec_b32 s22, s16
	s_cbranch_execnz .LBB4_6965
	s_branch .LBB4_6966
.LBB4_7621:                             ;   in Loop: Header=BB4_6327 Depth=3
	s_or_saveexec_b32 s16, s16
	v_mov_b32_e32 v94, 0x7f800001
	s_xor_b32 exec_lo, exec_lo, s16
	s_cbranch_execz .LBB4_6980
.LBB4_7622:                             ;   in Loop: Header=BB4_6327 Depth=3
	v_cmp_ne_u16_e32 vcc_lo, 0, v93
	v_mov_b32_e32 v94, 0
	s_andn2_b32 s22, s22, exec_lo
	s_and_b32 s23, vcc_lo, exec_lo
	s_or_b32 s22, s22, s23
	s_or_b32 exec_lo, exec_lo, s16
	s_and_saveexec_b32 s16, s22
	s_cbranch_execnz .LBB4_6981
	s_branch .LBB4_6982
.LBB4_7623:                             ;   in Loop: Header=BB4_6327 Depth=3
	s_or_saveexec_b32 s22, s22
	v_mov_b32_e32 v95, 0x7f800001
	s_xor_b32 exec_lo, exec_lo, s22
	s_cbranch_execz .LBB4_6986
.LBB4_7624:                             ;   in Loop: Header=BB4_6327 Depth=3
	v_cmp_ne_u16_e32 vcc_lo, 0, v104
	v_mov_b32_e32 v95, 0
	s_andn2_b32 s16, s16, exec_lo
	s_and_b32 s23, vcc_lo, exec_lo
	s_or_b32 s16, s16, s23
	s_or_b32 exec_lo, exec_lo, s22
	s_and_saveexec_b32 s22, s16
	s_cbranch_execnz .LBB4_6987
	s_branch .LBB4_6988
.LBB4_7625:                             ;   in Loop: Header=BB4_6327 Depth=3
	s_or_saveexec_b32 s22, s22
	v_mov_b32_e32 v94, 0x7f800001
	s_xor_b32 exec_lo, exec_lo, s22
	s_cbranch_execz .LBB4_6994
.LBB4_7626:                             ;   in Loop: Header=BB4_6327 Depth=3
	v_cmp_ne_u16_e32 vcc_lo, 0, v93
	v_mov_b32_e32 v94, 0
	s_andn2_b32 s16, s16, exec_lo
	s_and_b32 s23, vcc_lo, exec_lo
	s_or_b32 s16, s16, s23
	s_or_b32 exec_lo, exec_lo, s22
	s_and_saveexec_b32 s22, s16
	s_cbranch_execnz .LBB4_6995
	s_branch .LBB4_6996
.LBB4_7627:                             ;   in Loop: Header=BB4_6327 Depth=3
	s_or_saveexec_b32 s22, s22
	v_mov_b32_e32 v93, 0x7f800001
	s_xor_b32 exec_lo, exec_lo, s22
	s_cbranch_execz .LBB4_7000
.LBB4_7628:                             ;   in Loop: Header=BB4_6327 Depth=3
	v_cmp_ne_u16_e32 vcc_lo, 0, v95
	v_mov_b32_e32 v93, 0
	s_andn2_b32 s16, s16, exec_lo
	s_and_b32 s23, vcc_lo, exec_lo
	s_or_b32 s16, s16, s23
	s_or_b32 exec_lo, exec_lo, s22
	s_and_saveexec_b32 s22, s16
	s_cbranch_execnz .LBB4_7001
	s_branch .LBB4_7002
.LBB4_7629:                             ;   in Loop: Header=BB4_6327 Depth=3
	s_or_saveexec_b32 s22, s22
	v_mov_b32_e32 v94, 0x7f800001
	s_xor_b32 exec_lo, exec_lo, s22
	s_cbranch_execz .LBB4_7016
.LBB4_7630:                             ;   in Loop: Header=BB4_6327 Depth=3
	v_cmp_ne_u16_sdwa s23, v12, v2 src0_sel:BYTE_3 src1_sel:DWORD
	v_mov_b32_e32 v94, 0
	s_andn2_b32 s16, s16, exec_lo
	s_and_b32 s23, s23, exec_lo
	s_or_b32 s16, s16, s23
	s_or_b32 exec_lo, exec_lo, s22
	s_and_saveexec_b32 s22, s16
	s_cbranch_execnz .LBB4_7017
	s_branch .LBB4_7018
.LBB4_7631:                             ;   in Loop: Header=BB4_6327 Depth=3
	s_or_saveexec_b32 s22, s22
	v_mov_b32_e32 v95, 0x7f800001
	s_xor_b32 exec_lo, exec_lo, s22
	s_cbranch_execz .LBB4_7022
.LBB4_7632:                             ;   in Loop: Header=BB4_6327 Depth=3
	v_cmp_ne_u16_sdwa s23, v8, v2 src0_sel:BYTE_3 src1_sel:DWORD
	v_mov_b32_e32 v95, 0
	s_andn2_b32 s16, s16, exec_lo
	s_and_b32 s23, s23, exec_lo
	s_or_b32 s16, s16, s23
	s_or_b32 exec_lo, exec_lo, s22
	s_and_saveexec_b32 s22, s16
	s_cbranch_execnz .LBB4_7023
	s_branch .LBB4_7024
.LBB4_7633:                             ;   in Loop: Header=BB4_6327 Depth=3
	s_or_saveexec_b32 s22, s22
	v_mov_b32_e32 v94, 0x7f800001
	s_xor_b32 exec_lo, exec_lo, s22
	s_cbranch_execz .LBB4_7030
.LBB4_7634:                             ;   in Loop: Header=BB4_6327 Depth=3
	v_cmp_ne_u16_sdwa s23, v12, v2 src0_sel:BYTE_3 src1_sel:DWORD
	v_mov_b32_e32 v94, 0
	s_andn2_b32 s16, s16, exec_lo
	s_and_b32 s23, s23, exec_lo
	s_or_b32 s16, s16, s23
	s_or_b32 exec_lo, exec_lo, s22
	s_and_saveexec_b32 s22, s16
	s_cbranch_execnz .LBB4_7031
	s_branch .LBB4_7032
.LBB4_7635:                             ;   in Loop: Header=BB4_6327 Depth=3
	s_or_saveexec_b32 s22, s22
	v_mov_b32_e32 v12, 0x7f800001
	s_xor_b32 exec_lo, exec_lo, s22
	s_cbranch_execz .LBB4_7036
.LBB4_7636:                             ;   in Loop: Header=BB4_6327 Depth=3
	v_cmp_ne_u16_sdwa s23, v8, v2 src0_sel:BYTE_3 src1_sel:DWORD
	v_mov_b32_e32 v12, 0
	s_andn2_b32 s16, s16, exec_lo
	s_and_b32 s23, s23, exec_lo
	s_or_b32 s16, s16, s23
	s_or_b32 exec_lo, exec_lo, s22
	s_and_saveexec_b32 s22, s16
	s_cbranch_execnz .LBB4_7037
	s_branch .LBB4_7038
.LBB4_7637:                             ;   in Loop: Header=BB4_6327 Depth=3
	s_or_saveexec_b32 s22, s22
	v_mov_b32_e32 v12, 0x7f800001
	s_xor_b32 exec_lo, exec_lo, s22
	s_cbranch_execz .LBB4_7052
.LBB4_7638:                             ;   in Loop: Header=BB4_6327 Depth=3
	v_cmp_ne_u16_sdwa s23, v13, v2 src0_sel:BYTE_0 src1_sel:DWORD
	v_mov_b32_e32 v12, 0
	s_andn2_b32 s16, s16, exec_lo
	s_and_b32 s23, s23, exec_lo
	s_or_b32 s16, s16, s23
	s_or_b32 exec_lo, exec_lo, s22
	s_and_saveexec_b32 s22, s16
	s_cbranch_execnz .LBB4_7053
	s_branch .LBB4_7054
.LBB4_7639:                             ;   in Loop: Header=BB4_6327 Depth=3
	s_or_saveexec_b32 s22, s22
	v_mov_b32_e32 v94, 0x7f800001
	s_xor_b32 exec_lo, exec_lo, s22
	s_cbranch_execz .LBB4_7058
.LBB4_7640:                             ;   in Loop: Header=BB4_6327 Depth=3
	v_cmp_ne_u16_sdwa s23, v9, v2 src0_sel:BYTE_0 src1_sel:DWORD
	v_mov_b32_e32 v94, 0
	s_andn2_b32 s16, s16, exec_lo
	s_and_b32 s23, s23, exec_lo
	s_or_b32 s16, s16, s23
	s_or_b32 exec_lo, exec_lo, s22
	s_and_saveexec_b32 s22, s16
	s_cbranch_execnz .LBB4_7059
	s_branch .LBB4_7060
.LBB4_7641:                             ;   in Loop: Header=BB4_6327 Depth=3
	s_or_saveexec_b32 s22, s22
	v_mov_b32_e32 v12, 0x7f800001
	s_xor_b32 exec_lo, exec_lo, s22
	s_cbranch_execz .LBB4_7066
.LBB4_7642:                             ;   in Loop: Header=BB4_6327 Depth=3
	v_cmp_ne_u16_sdwa s23, v13, v2 src0_sel:BYTE_0 src1_sel:DWORD
	v_mov_b32_e32 v12, 0
	s_andn2_b32 s16, s16, exec_lo
	s_and_b32 s23, s23, exec_lo
	s_or_b32 s16, s16, s23
	s_or_b32 exec_lo, exec_lo, s22
	s_and_saveexec_b32 s22, s16
	s_cbranch_execnz .LBB4_7067
	s_branch .LBB4_7068
.LBB4_7643:                             ;   in Loop: Header=BB4_6327 Depth=3
	s_or_saveexec_b32 s22, s22
	v_mov_b32_e32 v94, 0x7f800001
	s_xor_b32 exec_lo, exec_lo, s22
	s_cbranch_execz .LBB4_7072
.LBB4_7644:                             ;   in Loop: Header=BB4_6327 Depth=3
	v_cmp_ne_u16_sdwa s23, v9, v2 src0_sel:BYTE_0 src1_sel:DWORD
	v_mov_b32_e32 v94, 0
	s_andn2_b32 s16, s16, exec_lo
	s_and_b32 s23, s23, exec_lo
	s_or_b32 s16, s16, s23
	s_or_b32 exec_lo, exec_lo, s22
	s_and_saveexec_b32 s22, s16
	s_cbranch_execnz .LBB4_7073
	s_branch .LBB4_7074
.LBB4_7645:                             ;   in Loop: Header=BB4_6327 Depth=3
	s_or_saveexec_b32 s22, s22
	v_mov_b32_e32 v94, 0x7f800001
	s_xor_b32 exec_lo, exec_lo, s22
	s_cbranch_execz .LBB4_7088
.LBB4_7646:                             ;   in Loop: Header=BB4_6327 Depth=3
	v_cmp_ne_u16_sdwa s23, v13, v2 src0_sel:BYTE_1 src1_sel:DWORD
	v_mov_b32_e32 v94, 0
	s_andn2_b32 s16, s16, exec_lo
	s_and_b32 s23, s23, exec_lo
	s_or_b32 s16, s16, s23
	s_or_b32 exec_lo, exec_lo, s22
	s_and_saveexec_b32 s22, s16
	s_cbranch_execnz .LBB4_7089
	s_branch .LBB4_7090
.LBB4_7647:                             ;   in Loop: Header=BB4_6327 Depth=3
	s_or_saveexec_b32 s22, s22
	v_mov_b32_e32 v95, 0x7f800001
	s_xor_b32 exec_lo, exec_lo, s22
	s_cbranch_execz .LBB4_7094
.LBB4_7648:                             ;   in Loop: Header=BB4_6327 Depth=3
	v_cmp_ne_u16_sdwa s23, v9, v2 src0_sel:BYTE_1 src1_sel:DWORD
	v_mov_b32_e32 v95, 0
	s_andn2_b32 s16, s16, exec_lo
	s_and_b32 s23, s23, exec_lo
	s_or_b32 s16, s16, s23
	s_or_b32 exec_lo, exec_lo, s22
	s_and_saveexec_b32 s22, s16
	s_cbranch_execnz .LBB4_7095
	s_branch .LBB4_7096
.LBB4_7649:                             ;   in Loop: Header=BB4_6327 Depth=3
	s_or_saveexec_b32 s22, s22
	v_mov_b32_e32 v94, 0x7f800001
	s_xor_b32 exec_lo, exec_lo, s22
	s_cbranch_execz .LBB4_7102
.LBB4_7650:                             ;   in Loop: Header=BB4_6327 Depth=3
	v_cmp_ne_u16_sdwa s23, v13, v2 src0_sel:BYTE_1 src1_sel:DWORD
	v_mov_b32_e32 v94, 0
	s_andn2_b32 s16, s16, exec_lo
	s_and_b32 s23, s23, exec_lo
	s_or_b32 s16, s16, s23
	s_or_b32 exec_lo, exec_lo, s22
	s_and_saveexec_b32 s22, s16
	s_cbranch_execnz .LBB4_7103
	s_branch .LBB4_7104
.LBB4_7651:                             ;   in Loop: Header=BB4_6327 Depth=3
	s_or_saveexec_b32 s22, s22
	v_mov_b32_e32 v95, 0x7f800001
	s_xor_b32 exec_lo, exec_lo, s22
	s_cbranch_execz .LBB4_7108
.LBB4_7652:                             ;   in Loop: Header=BB4_6327 Depth=3
	v_cmp_ne_u16_sdwa s23, v9, v2 src0_sel:BYTE_1 src1_sel:DWORD
	v_mov_b32_e32 v95, 0
	s_andn2_b32 s16, s16, exec_lo
	s_and_b32 s23, s23, exec_lo
	s_or_b32 s16, s16, s23
	s_or_b32 exec_lo, exec_lo, s22
	s_and_saveexec_b32 s22, s16
	s_cbranch_execnz .LBB4_7109
	s_branch .LBB4_7110
.LBB4_7653:                             ;   in Loop: Header=BB4_6327 Depth=3
	s_or_saveexec_b32 s16, s16
	v_mov_b32_e32 v104, 0x7f800001
	s_xor_b32 exec_lo, exec_lo, s16
	s_cbranch_execz .LBB4_7124
.LBB4_7654:                             ;   in Loop: Header=BB4_6327 Depth=3
	v_cmp_ne_u16_e32 vcc_lo, 0, v95
	v_mov_b32_e32 v104, 0
	s_andn2_b32 s22, s22, exec_lo
	s_and_b32 s23, vcc_lo, exec_lo
	s_or_b32 s22, s22, s23
	s_or_b32 exec_lo, exec_lo, s16
	s_and_saveexec_b32 s16, s22
	s_cbranch_execnz .LBB4_7125
	s_branch .LBB4_7126
.LBB4_7655:                             ;   in Loop: Header=BB4_6327 Depth=3
	s_or_saveexec_b32 s22, s22
	v_mov_b32_e32 v105, 0x7f800001
	s_xor_b32 exec_lo, exec_lo, s22
	s_cbranch_execz .LBB4_7130
.LBB4_7656:                             ;   in Loop: Header=BB4_6327 Depth=3
	v_cmp_ne_u16_e32 vcc_lo, 0, v106
	v_mov_b32_e32 v105, 0
	s_andn2_b32 s16, s16, exec_lo
	s_and_b32 s23, vcc_lo, exec_lo
	s_or_b32 s16, s16, s23
	s_or_b32 exec_lo, exec_lo, s22
	s_and_saveexec_b32 s22, s16
	s_cbranch_execnz .LBB4_7131
	s_branch .LBB4_7132
.LBB4_7657:                             ;   in Loop: Header=BB4_6327 Depth=3
	s_or_saveexec_b32 s22, s22
	v_mov_b32_e32 v104, 0x7f800001
	s_xor_b32 exec_lo, exec_lo, s22
	s_cbranch_execz .LBB4_7138
.LBB4_7658:                             ;   in Loop: Header=BB4_6327 Depth=3
	v_cmp_ne_u16_e32 vcc_lo, 0, v95
	v_mov_b32_e32 v104, 0
	s_andn2_b32 s16, s16, exec_lo
	s_and_b32 s23, vcc_lo, exec_lo
	s_or_b32 s16, s16, s23
	s_or_b32 exec_lo, exec_lo, s22
	s_and_saveexec_b32 s22, s16
	s_cbranch_execnz .LBB4_7139
	s_branch .LBB4_7140
.LBB4_7659:                             ;   in Loop: Header=BB4_6327 Depth=3
	s_or_saveexec_b32 s22, s22
	v_mov_b32_e32 v95, 0x7f800001
	s_xor_b32 exec_lo, exec_lo, s22
	s_cbranch_execz .LBB4_7144
.LBB4_7660:                             ;   in Loop: Header=BB4_6327 Depth=3
	v_cmp_ne_u16_e32 vcc_lo, 0, v105
	v_mov_b32_e32 v95, 0
	s_andn2_b32 s16, s16, exec_lo
	s_and_b32 s23, vcc_lo, exec_lo
	s_or_b32 s16, s16, s23
	s_or_b32 exec_lo, exec_lo, s22
	s_and_saveexec_b32 s22, s16
	s_cbranch_execnz .LBB4_7145
	s_branch .LBB4_7146
.LBB4_7661:                             ;   in Loop: Header=BB4_6327 Depth=3
	s_or_saveexec_b32 s22, s22
	v_mov_b32_e32 v104, 0x7f800001
	s_xor_b32 exec_lo, exec_lo, s22
	s_cbranch_execz .LBB4_7160
.LBB4_7662:                             ;   in Loop: Header=BB4_6327 Depth=3
	v_cmp_ne_u16_sdwa s23, v13, v2 src0_sel:BYTE_3 src1_sel:DWORD
	v_mov_b32_e32 v104, 0
	s_andn2_b32 s16, s16, exec_lo
	s_and_b32 s23, s23, exec_lo
	s_or_b32 s16, s16, s23
	s_or_b32 exec_lo, exec_lo, s22
	s_and_saveexec_b32 s22, s16
	s_cbranch_execnz .LBB4_7161
	s_branch .LBB4_7162
.LBB4_7663:                             ;   in Loop: Header=BB4_6327 Depth=3
	s_or_saveexec_b32 s22, s22
	v_mov_b32_e32 v105, 0x7f800001
	s_xor_b32 exec_lo, exec_lo, s22
	s_cbranch_execz .LBB4_7166
.LBB4_7664:                             ;   in Loop: Header=BB4_6327 Depth=3
	v_cmp_ne_u16_sdwa s23, v9, v2 src0_sel:BYTE_3 src1_sel:DWORD
	v_mov_b32_e32 v105, 0
	s_andn2_b32 s16, s16, exec_lo
	s_and_b32 s23, s23, exec_lo
	s_or_b32 s16, s16, s23
	s_or_b32 exec_lo, exec_lo, s22
	s_and_saveexec_b32 s22, s16
	s_cbranch_execnz .LBB4_7167
	s_branch .LBB4_7168
.LBB4_7665:                             ;   in Loop: Header=BB4_6327 Depth=3
	s_or_saveexec_b32 s22, s22
	v_mov_b32_e32 v104, 0x7f800001
	s_xor_b32 exec_lo, exec_lo, s22
	s_cbranch_execz .LBB4_7174
.LBB4_7666:                             ;   in Loop: Header=BB4_6327 Depth=3
	v_cmp_ne_u16_sdwa s23, v13, v2 src0_sel:BYTE_3 src1_sel:DWORD
	v_mov_b32_e32 v104, 0
	s_andn2_b32 s16, s16, exec_lo
	s_and_b32 s23, s23, exec_lo
	s_or_b32 s16, s16, s23
	s_or_b32 exec_lo, exec_lo, s22
	s_and_saveexec_b32 s22, s16
	s_cbranch_execnz .LBB4_7175
	s_branch .LBB4_7176
.LBB4_7667:                             ;   in Loop: Header=BB4_6327 Depth=3
	s_or_saveexec_b32 s22, s22
	v_mov_b32_e32 v13, 0x7f800001
	s_xor_b32 exec_lo, exec_lo, s22
	s_cbranch_execz .LBB4_7180
.LBB4_7668:                             ;   in Loop: Header=BB4_6327 Depth=3
	v_cmp_ne_u16_sdwa s23, v9, v2 src0_sel:BYTE_3 src1_sel:DWORD
	v_mov_b32_e32 v13, 0
	s_andn2_b32 s16, s16, exec_lo
	s_and_b32 s23, s23, exec_lo
	s_or_b32 s16, s16, s23
	s_or_b32 exec_lo, exec_lo, s22
	s_and_saveexec_b32 s22, s16
	s_cbranch_execnz .LBB4_7181
	s_branch .LBB4_7182
.LBB4_7669:                             ;   in Loop: Header=BB4_6327 Depth=3
	s_or_saveexec_b32 s22, s22
	v_mov_b32_e32 v13, 0x7f800001
	s_xor_b32 exec_lo, exec_lo, s22
	s_cbranch_execz .LBB4_7196
.LBB4_7670:                             ;   in Loop: Header=BB4_6327 Depth=3
	v_cmp_ne_u16_sdwa s23, v14, v2 src0_sel:BYTE_0 src1_sel:DWORD
	v_mov_b32_e32 v13, 0
	s_andn2_b32 s16, s16, exec_lo
	s_and_b32 s23, s23, exec_lo
	s_or_b32 s16, s16, s23
	s_or_b32 exec_lo, exec_lo, s22
	s_and_saveexec_b32 s22, s16
	s_cbranch_execnz .LBB4_7197
	s_branch .LBB4_7198
.LBB4_7671:                             ;   in Loop: Header=BB4_6327 Depth=3
	s_or_saveexec_b32 s22, s22
	v_mov_b32_e32 v104, 0x7f800001
	s_xor_b32 exec_lo, exec_lo, s22
	s_cbranch_execz .LBB4_7202
.LBB4_7672:                             ;   in Loop: Header=BB4_6327 Depth=3
	v_cmp_ne_u16_sdwa s23, v10, v2 src0_sel:BYTE_0 src1_sel:DWORD
	v_mov_b32_e32 v104, 0
	s_andn2_b32 s16, s16, exec_lo
	s_and_b32 s23, s23, exec_lo
	s_or_b32 s16, s16, s23
	s_or_b32 exec_lo, exec_lo, s22
	s_and_saveexec_b32 s22, s16
	s_cbranch_execnz .LBB4_7203
	s_branch .LBB4_7204
.LBB4_7673:                             ;   in Loop: Header=BB4_6327 Depth=3
	s_or_saveexec_b32 s22, s22
	v_mov_b32_e32 v13, 0x7f800001
	s_xor_b32 exec_lo, exec_lo, s22
	s_cbranch_execz .LBB4_7210
.LBB4_7674:                             ;   in Loop: Header=BB4_6327 Depth=3
	v_cmp_ne_u16_sdwa s23, v14, v2 src0_sel:BYTE_0 src1_sel:DWORD
	v_mov_b32_e32 v13, 0
	s_andn2_b32 s16, s16, exec_lo
	s_and_b32 s23, s23, exec_lo
	s_or_b32 s16, s16, s23
	s_or_b32 exec_lo, exec_lo, s22
	s_and_saveexec_b32 s22, s16
	s_cbranch_execnz .LBB4_7211
	s_branch .LBB4_7212
.LBB4_7675:                             ;   in Loop: Header=BB4_6327 Depth=3
	s_or_saveexec_b32 s22, s22
	v_mov_b32_e32 v104, 0x7f800001
	s_xor_b32 exec_lo, exec_lo, s22
	s_cbranch_execz .LBB4_7216
.LBB4_7676:                             ;   in Loop: Header=BB4_6327 Depth=3
	v_cmp_ne_u16_sdwa s23, v10, v2 src0_sel:BYTE_0 src1_sel:DWORD
	v_mov_b32_e32 v104, 0
	s_andn2_b32 s16, s16, exec_lo
	s_and_b32 s23, s23, exec_lo
	s_or_b32 s16, s16, s23
	s_or_b32 exec_lo, exec_lo, s22
	s_and_saveexec_b32 s22, s16
	s_cbranch_execnz .LBB4_7217
	s_branch .LBB4_7218
.LBB4_7677:                             ;   in Loop: Header=BB4_6327 Depth=3
	s_or_saveexec_b32 s22, s22
	v_mov_b32_e32 v104, 0x7f800001
	s_xor_b32 exec_lo, exec_lo, s22
	s_cbranch_execz .LBB4_7232
.LBB4_7678:                             ;   in Loop: Header=BB4_6327 Depth=3
	v_cmp_ne_u16_sdwa s23, v14, v2 src0_sel:BYTE_1 src1_sel:DWORD
	v_mov_b32_e32 v104, 0
	s_andn2_b32 s16, s16, exec_lo
	s_and_b32 s23, s23, exec_lo
	s_or_b32 s16, s16, s23
	s_or_b32 exec_lo, exec_lo, s22
	s_and_saveexec_b32 s22, s16
	s_cbranch_execnz .LBB4_7233
	s_branch .LBB4_7234
.LBB4_7679:                             ;   in Loop: Header=BB4_6327 Depth=3
	s_or_saveexec_b32 s22, s22
	v_mov_b32_e32 v105, 0x7f800001
	s_xor_b32 exec_lo, exec_lo, s22
	s_cbranch_execz .LBB4_7238
.LBB4_7680:                             ;   in Loop: Header=BB4_6327 Depth=3
	v_cmp_ne_u16_sdwa s23, v10, v2 src0_sel:BYTE_1 src1_sel:DWORD
	v_mov_b32_e32 v105, 0
	s_andn2_b32 s16, s16, exec_lo
	s_and_b32 s23, s23, exec_lo
	s_or_b32 s16, s16, s23
	s_or_b32 exec_lo, exec_lo, s22
	s_and_saveexec_b32 s22, s16
	s_cbranch_execnz .LBB4_7239
	s_branch .LBB4_7240
.LBB4_7681:                             ;   in Loop: Header=BB4_6327 Depth=3
	s_or_saveexec_b32 s22, s22
	v_mov_b32_e32 v104, 0x7f800001
	s_xor_b32 exec_lo, exec_lo, s22
	s_cbranch_execz .LBB4_7246
.LBB4_7682:                             ;   in Loop: Header=BB4_6327 Depth=3
	v_cmp_ne_u16_sdwa s23, v14, v2 src0_sel:BYTE_1 src1_sel:DWORD
	v_mov_b32_e32 v104, 0
	s_andn2_b32 s16, s16, exec_lo
	s_and_b32 s23, s23, exec_lo
	s_or_b32 s16, s16, s23
	s_or_b32 exec_lo, exec_lo, s22
	s_and_saveexec_b32 s22, s16
	s_cbranch_execnz .LBB4_7247
	s_branch .LBB4_7248
.LBB4_7683:                             ;   in Loop: Header=BB4_6327 Depth=3
	s_or_saveexec_b32 s22, s22
	v_mov_b32_e32 v105, 0x7f800001
	s_xor_b32 exec_lo, exec_lo, s22
	s_cbranch_execz .LBB4_7252
.LBB4_7684:                             ;   in Loop: Header=BB4_6327 Depth=3
	v_cmp_ne_u16_sdwa s23, v10, v2 src0_sel:BYTE_1 src1_sel:DWORD
	v_mov_b32_e32 v105, 0
	s_andn2_b32 s16, s16, exec_lo
	s_and_b32 s23, s23, exec_lo
	s_or_b32 s16, s16, s23
	s_or_b32 exec_lo, exec_lo, s22
	s_and_saveexec_b32 s22, s16
	s_cbranch_execnz .LBB4_7253
	s_branch .LBB4_7254
.LBB4_7685:                             ;   in Loop: Header=BB4_6327 Depth=3
	s_or_saveexec_b32 s16, s16
	v_mov_b32_e32 v106, 0x7f800001
	s_xor_b32 exec_lo, exec_lo, s16
	s_cbranch_execz .LBB4_7268
.LBB4_7686:                             ;   in Loop: Header=BB4_6327 Depth=3
	v_cmp_ne_u16_e32 vcc_lo, 0, v105
	v_mov_b32_e32 v106, 0
	s_andn2_b32 s22, s22, exec_lo
	s_and_b32 s23, vcc_lo, exec_lo
	s_or_b32 s22, s22, s23
	s_or_b32 exec_lo, exec_lo, s16
	s_and_saveexec_b32 s16, s22
	s_cbranch_execnz .LBB4_7269
	s_branch .LBB4_7270
.LBB4_7687:                             ;   in Loop: Header=BB4_6327 Depth=3
	s_or_saveexec_b32 s22, s22
	v_mov_b32_e32 v107, 0x7f800001
	s_xor_b32 exec_lo, exec_lo, s22
	s_cbranch_execz .LBB4_7274
.LBB4_7688:                             ;   in Loop: Header=BB4_6327 Depth=3
	v_cmp_ne_u16_e32 vcc_lo, 0, v108
	v_mov_b32_e32 v107, 0
	s_andn2_b32 s16, s16, exec_lo
	s_and_b32 s23, vcc_lo, exec_lo
	s_or_b32 s16, s16, s23
	s_or_b32 exec_lo, exec_lo, s22
	s_and_saveexec_b32 s22, s16
	s_cbranch_execnz .LBB4_7275
	s_branch .LBB4_7276
.LBB4_7689:                             ;   in Loop: Header=BB4_6327 Depth=3
	s_or_saveexec_b32 s22, s22
	v_mov_b32_e32 v106, 0x7f800001
	s_xor_b32 exec_lo, exec_lo, s22
	s_cbranch_execz .LBB4_7282
.LBB4_7690:                             ;   in Loop: Header=BB4_6327 Depth=3
	v_cmp_ne_u16_e32 vcc_lo, 0, v105
	v_mov_b32_e32 v106, 0
	s_andn2_b32 s16, s16, exec_lo
	s_and_b32 s23, vcc_lo, exec_lo
	s_or_b32 s16, s16, s23
	s_or_b32 exec_lo, exec_lo, s22
	s_and_saveexec_b32 s22, s16
	s_cbranch_execnz .LBB4_7283
	s_branch .LBB4_7284
.LBB4_7691:                             ;   in Loop: Header=BB4_6327 Depth=3
	s_or_saveexec_b32 s22, s22
	v_mov_b32_e32 v105, 0x7f800001
	s_xor_b32 exec_lo, exec_lo, s22
	s_cbranch_execz .LBB4_7288
.LBB4_7692:                             ;   in Loop: Header=BB4_6327 Depth=3
	v_cmp_ne_u16_e32 vcc_lo, 0, v107
	v_mov_b32_e32 v105, 0
	s_andn2_b32 s16, s16, exec_lo
	s_and_b32 s23, vcc_lo, exec_lo
	s_or_b32 s16, s16, s23
	s_or_b32 exec_lo, exec_lo, s22
	s_and_saveexec_b32 s22, s16
	s_cbranch_execnz .LBB4_7289
	s_branch .LBB4_7290
.LBB4_7693:                             ;   in Loop: Header=BB4_6327 Depth=3
	s_or_saveexec_b32 s22, s22
	v_mov_b32_e32 v106, 0x7f800001
	s_xor_b32 exec_lo, exec_lo, s22
	s_cbranch_execz .LBB4_7304
.LBB4_7694:                             ;   in Loop: Header=BB4_6327 Depth=3
	v_cmp_ne_u16_sdwa s23, v14, v2 src0_sel:BYTE_3 src1_sel:DWORD
	v_mov_b32_e32 v106, 0
	s_andn2_b32 s16, s16, exec_lo
	s_and_b32 s23, s23, exec_lo
	s_or_b32 s16, s16, s23
	s_or_b32 exec_lo, exec_lo, s22
	s_and_saveexec_b32 s22, s16
	s_cbranch_execnz .LBB4_7305
	s_branch .LBB4_7306
.LBB4_7695:                             ;   in Loop: Header=BB4_6327 Depth=3
	s_or_saveexec_b32 s22, s22
	v_mov_b32_e32 v107, 0x7f800001
	s_xor_b32 exec_lo, exec_lo, s22
	s_cbranch_execz .LBB4_7310
.LBB4_7696:                             ;   in Loop: Header=BB4_6327 Depth=3
	v_cmp_ne_u16_sdwa s23, v10, v2 src0_sel:BYTE_3 src1_sel:DWORD
	v_mov_b32_e32 v107, 0
	s_andn2_b32 s16, s16, exec_lo
	s_and_b32 s23, s23, exec_lo
	s_or_b32 s16, s16, s23
	s_or_b32 exec_lo, exec_lo, s22
	s_and_saveexec_b32 s22, s16
	s_cbranch_execnz .LBB4_7311
	s_branch .LBB4_7312
.LBB4_7697:                             ;   in Loop: Header=BB4_6327 Depth=3
	s_or_saveexec_b32 s22, s22
	v_mov_b32_e32 v106, 0x7f800001
	s_xor_b32 exec_lo, exec_lo, s22
	s_cbranch_execz .LBB4_7318
.LBB4_7698:                             ;   in Loop: Header=BB4_6327 Depth=3
	v_cmp_ne_u16_sdwa s23, v14, v2 src0_sel:BYTE_3 src1_sel:DWORD
	v_mov_b32_e32 v106, 0
	s_andn2_b32 s16, s16, exec_lo
	s_and_b32 s23, s23, exec_lo
	s_or_b32 s16, s16, s23
	s_or_b32 exec_lo, exec_lo, s22
	s_and_saveexec_b32 s22, s16
	s_cbranch_execnz .LBB4_7319
	s_branch .LBB4_7320
.LBB4_7699:                             ;   in Loop: Header=BB4_6327 Depth=3
	s_or_saveexec_b32 s22, s22
	v_mov_b32_e32 v14, 0x7f800001
	s_xor_b32 exec_lo, exec_lo, s22
	s_cbranch_execz .LBB4_7324
.LBB4_7700:                             ;   in Loop: Header=BB4_6327 Depth=3
	v_cmp_ne_u16_sdwa s23, v10, v2 src0_sel:BYTE_3 src1_sel:DWORD
	v_mov_b32_e32 v14, 0
	s_andn2_b32 s16, s16, exec_lo
	s_and_b32 s23, s23, exec_lo
	s_or_b32 s16, s16, s23
	s_or_b32 exec_lo, exec_lo, s22
	s_and_saveexec_b32 s22, s16
	s_cbranch_execnz .LBB4_7325
	s_branch .LBB4_7326
.LBB4_7701:                             ;   in Loop: Header=BB4_6327 Depth=3
	s_or_saveexec_b32 s22, s22
	v_mov_b32_e32 v14, 0x7f800001
	s_xor_b32 exec_lo, exec_lo, s22
	s_cbranch_execz .LBB4_7340
.LBB4_7702:                             ;   in Loop: Header=BB4_6327 Depth=3
	v_cmp_ne_u16_sdwa s23, v15, v2 src0_sel:BYTE_0 src1_sel:DWORD
	v_mov_b32_e32 v14, 0
	s_andn2_b32 s16, s16, exec_lo
	s_and_b32 s23, s23, exec_lo
	s_or_b32 s16, s16, s23
	s_or_b32 exec_lo, exec_lo, s22
	s_and_saveexec_b32 s22, s16
	s_cbranch_execnz .LBB4_7341
	s_branch .LBB4_7342
.LBB4_7703:                             ;   in Loop: Header=BB4_6327 Depth=3
	s_or_saveexec_b32 s22, s22
	v_mov_b32_e32 v106, 0x7f800001
	s_xor_b32 exec_lo, exec_lo, s22
	s_cbranch_execz .LBB4_7346
.LBB4_7704:                             ;   in Loop: Header=BB4_6327 Depth=3
	v_cmp_ne_u16_sdwa s23, v11, v2 src0_sel:BYTE_0 src1_sel:DWORD
	v_mov_b32_e32 v106, 0
	s_andn2_b32 s16, s16, exec_lo
	s_and_b32 s23, s23, exec_lo
	s_or_b32 s16, s16, s23
	s_or_b32 exec_lo, exec_lo, s22
	s_and_saveexec_b32 s22, s16
	s_cbranch_execnz .LBB4_7347
	s_branch .LBB4_7348
.LBB4_7705:                             ;   in Loop: Header=BB4_6327 Depth=3
	s_or_saveexec_b32 s22, s22
	v_mov_b32_e32 v14, 0x7f800001
	s_xor_b32 exec_lo, exec_lo, s22
	s_cbranch_execz .LBB4_7354
.LBB4_7706:                             ;   in Loop: Header=BB4_6327 Depth=3
	v_cmp_ne_u16_sdwa s23, v15, v2 src0_sel:BYTE_0 src1_sel:DWORD
	v_mov_b32_e32 v14, 0
	s_andn2_b32 s16, s16, exec_lo
	s_and_b32 s23, s23, exec_lo
	s_or_b32 s16, s16, s23
	s_or_b32 exec_lo, exec_lo, s22
	s_and_saveexec_b32 s22, s16
	s_cbranch_execnz .LBB4_7355
	s_branch .LBB4_7356
.LBB4_7707:                             ;   in Loop: Header=BB4_6327 Depth=3
	s_or_saveexec_b32 s22, s22
	v_mov_b32_e32 v106, 0x7f800001
	s_xor_b32 exec_lo, exec_lo, s22
	s_cbranch_execz .LBB4_7360
.LBB4_7708:                             ;   in Loop: Header=BB4_6327 Depth=3
	v_cmp_ne_u16_sdwa s23, v11, v2 src0_sel:BYTE_0 src1_sel:DWORD
	v_mov_b32_e32 v106, 0
	s_andn2_b32 s16, s16, exec_lo
	s_and_b32 s23, s23, exec_lo
	s_or_b32 s16, s16, s23
	s_or_b32 exec_lo, exec_lo, s22
	s_and_saveexec_b32 s22, s16
	s_cbranch_execnz .LBB4_7361
	s_branch .LBB4_7362
.LBB4_7709:                             ;   in Loop: Header=BB4_6327 Depth=3
	s_or_saveexec_b32 s22, s22
	v_mov_b32_e32 v106, 0x7f800001
	s_xor_b32 exec_lo, exec_lo, s22
	s_cbranch_execz .LBB4_7376
.LBB4_7710:                             ;   in Loop: Header=BB4_6327 Depth=3
	v_cmp_ne_u16_sdwa s23, v15, v2 src0_sel:BYTE_1 src1_sel:DWORD
	v_mov_b32_e32 v106, 0
	s_andn2_b32 s16, s16, exec_lo
	s_and_b32 s23, s23, exec_lo
	s_or_b32 s16, s16, s23
	s_or_b32 exec_lo, exec_lo, s22
	s_and_saveexec_b32 s22, s16
	s_cbranch_execnz .LBB4_7377
	s_branch .LBB4_7378
.LBB4_7711:                             ;   in Loop: Header=BB4_6327 Depth=3
	s_or_saveexec_b32 s22, s22
	v_mov_b32_e32 v107, 0x7f800001
	s_xor_b32 exec_lo, exec_lo, s22
	s_cbranch_execz .LBB4_7382
.LBB4_7712:                             ;   in Loop: Header=BB4_6327 Depth=3
	v_cmp_ne_u16_sdwa s23, v11, v2 src0_sel:BYTE_1 src1_sel:DWORD
	v_mov_b32_e32 v107, 0
	s_andn2_b32 s16, s16, exec_lo
	s_and_b32 s23, s23, exec_lo
	s_or_b32 s16, s16, s23
	s_or_b32 exec_lo, exec_lo, s22
	s_and_saveexec_b32 s22, s16
	s_cbranch_execnz .LBB4_7383
	s_branch .LBB4_7384
.LBB4_7713:                             ;   in Loop: Header=BB4_6327 Depth=3
	s_or_saveexec_b32 s22, s22
	v_mov_b32_e32 v106, 0x7f800001
	s_xor_b32 exec_lo, exec_lo, s22
	s_cbranch_execz .LBB4_7390
.LBB4_7714:                             ;   in Loop: Header=BB4_6327 Depth=3
	v_cmp_ne_u16_sdwa s23, v15, v2 src0_sel:BYTE_1 src1_sel:DWORD
	v_mov_b32_e32 v106, 0
	s_andn2_b32 s16, s16, exec_lo
	s_and_b32 s23, s23, exec_lo
	s_or_b32 s16, s16, s23
	s_or_b32 exec_lo, exec_lo, s22
	s_and_saveexec_b32 s22, s16
	s_cbranch_execnz .LBB4_7391
	s_branch .LBB4_7392
.LBB4_7715:                             ;   in Loop: Header=BB4_6327 Depth=3
	s_or_saveexec_b32 s22, s22
	v_mov_b32_e32 v107, 0x7f800001
	s_xor_b32 exec_lo, exec_lo, s22
	s_cbranch_execz .LBB4_7396
.LBB4_7716:                             ;   in Loop: Header=BB4_6327 Depth=3
	v_cmp_ne_u16_sdwa s23, v11, v2 src0_sel:BYTE_1 src1_sel:DWORD
	v_mov_b32_e32 v107, 0
	s_andn2_b32 s16, s16, exec_lo
	s_and_b32 s23, s23, exec_lo
	s_or_b32 s16, s16, s23
	s_or_b32 exec_lo, exec_lo, s22
	s_and_saveexec_b32 s22, s16
	s_cbranch_execnz .LBB4_7397
	s_branch .LBB4_7398
.LBB4_7717:                             ;   in Loop: Header=BB4_6327 Depth=3
	s_or_saveexec_b32 s16, s16
	v_mov_b32_e32 v108, 0x7f800001
	s_xor_b32 exec_lo, exec_lo, s16
	s_cbranch_execz .LBB4_7412
.LBB4_7718:                             ;   in Loop: Header=BB4_6327 Depth=3
	v_cmp_ne_u16_e32 vcc_lo, 0, v107
	v_mov_b32_e32 v108, 0
	s_andn2_b32 s22, s22, exec_lo
	s_and_b32 s23, vcc_lo, exec_lo
	s_or_b32 s22, s22, s23
	s_or_b32 exec_lo, exec_lo, s16
	s_and_saveexec_b32 s16, s22
	s_cbranch_execnz .LBB4_7413
	s_branch .LBB4_7414
.LBB4_7719:                             ;   in Loop: Header=BB4_6327 Depth=3
	s_or_saveexec_b32 s22, s22
	v_mov_b32_e32 v109, 0x7f800001
	s_xor_b32 exec_lo, exec_lo, s22
	s_cbranch_execz .LBB4_7418
.LBB4_7720:                             ;   in Loop: Header=BB4_6327 Depth=3
	v_cmp_ne_u16_e32 vcc_lo, 0, v110
	v_mov_b32_e32 v109, 0
	s_andn2_b32 s16, s16, exec_lo
	s_and_b32 s23, vcc_lo, exec_lo
	s_or_b32 s16, s16, s23
	s_or_b32 exec_lo, exec_lo, s22
	s_and_saveexec_b32 s22, s16
	s_cbranch_execnz .LBB4_7419
	s_branch .LBB4_7420
.LBB4_7721:                             ;   in Loop: Header=BB4_6327 Depth=3
	s_or_saveexec_b32 s22, s22
	v_mov_b32_e32 v108, 0x7f800001
	s_xor_b32 exec_lo, exec_lo, s22
	s_cbranch_execz .LBB4_7426
.LBB4_7722:                             ;   in Loop: Header=BB4_6327 Depth=3
	v_cmp_ne_u16_e32 vcc_lo, 0, v107
	v_mov_b32_e32 v108, 0
	s_andn2_b32 s16, s16, exec_lo
	s_and_b32 s23, vcc_lo, exec_lo
	s_or_b32 s16, s16, s23
	s_or_b32 exec_lo, exec_lo, s22
	s_and_saveexec_b32 s22, s16
	s_cbranch_execnz .LBB4_7427
	s_branch .LBB4_7428
.LBB4_7723:                             ;   in Loop: Header=BB4_6327 Depth=3
	s_or_saveexec_b32 s22, s22
	v_mov_b32_e32 v107, 0x7f800001
	s_xor_b32 exec_lo, exec_lo, s22
	s_cbranch_execz .LBB4_7432
.LBB4_7724:                             ;   in Loop: Header=BB4_6327 Depth=3
	v_cmp_ne_u16_e32 vcc_lo, 0, v109
	v_mov_b32_e32 v107, 0
	s_andn2_b32 s16, s16, exec_lo
	s_and_b32 s23, vcc_lo, exec_lo
	s_or_b32 s16, s16, s23
	s_or_b32 exec_lo, exec_lo, s22
	s_and_saveexec_b32 s22, s16
	s_cbranch_execnz .LBB4_7433
	s_branch .LBB4_7434
.LBB4_7725:                             ;   in Loop: Header=BB4_6327 Depth=3
	s_or_saveexec_b32 s22, s22
	v_mov_b32_e32 v108, 0x7f800001
	s_xor_b32 exec_lo, exec_lo, s22
	s_cbranch_execz .LBB4_7448
.LBB4_7726:                             ;   in Loop: Header=BB4_6327 Depth=3
	v_cmp_ne_u16_sdwa s23, v15, v2 src0_sel:BYTE_3 src1_sel:DWORD
	v_mov_b32_e32 v108, 0
	s_andn2_b32 s16, s16, exec_lo
	s_and_b32 s23, s23, exec_lo
	s_or_b32 s16, s16, s23
	s_or_b32 exec_lo, exec_lo, s22
	s_and_saveexec_b32 s22, s16
	s_cbranch_execnz .LBB4_7449
	s_branch .LBB4_7450
.LBB4_7727:                             ;   in Loop: Header=BB4_6327 Depth=3
	s_or_saveexec_b32 s22, s22
	v_mov_b32_e32 v109, 0x7f800001
	s_xor_b32 exec_lo, exec_lo, s22
	s_cbranch_execz .LBB4_7454
.LBB4_7728:                             ;   in Loop: Header=BB4_6327 Depth=3
	v_cmp_ne_u16_sdwa s23, v11, v2 src0_sel:BYTE_3 src1_sel:DWORD
	v_mov_b32_e32 v109, 0
	s_andn2_b32 s16, s16, exec_lo
	s_and_b32 s23, s23, exec_lo
	s_or_b32 s16, s16, s23
	s_or_b32 exec_lo, exec_lo, s22
	s_and_saveexec_b32 s22, s16
	s_cbranch_execnz .LBB4_7455
	s_branch .LBB4_7456
.LBB4_7729:                             ;   in Loop: Header=BB4_6327 Depth=3
	s_or_saveexec_b32 s22, s22
	v_mov_b32_e32 v108, 0x7f800001
	s_xor_b32 exec_lo, exec_lo, s22
	s_cbranch_execz .LBB4_7462
.LBB4_7730:                             ;   in Loop: Header=BB4_6327 Depth=3
	v_cmp_ne_u16_sdwa s23, v15, v2 src0_sel:BYTE_3 src1_sel:DWORD
	v_mov_b32_e32 v108, 0
	s_andn2_b32 s16, s16, exec_lo
	s_and_b32 s23, s23, exec_lo
	s_or_b32 s16, s16, s23
	s_or_b32 exec_lo, exec_lo, s22
	s_and_saveexec_b32 s22, s16
	s_cbranch_execnz .LBB4_7463
	s_branch .LBB4_7464
.LBB4_7731:                             ;   in Loop: Header=BB4_6327 Depth=3
	s_or_saveexec_b32 s22, s22
	v_mov_b32_e32 v15, 0x7f800001
	s_xor_b32 exec_lo, exec_lo, s22
	s_cbranch_execz .LBB4_7468
.LBB4_7732:                             ;   in Loop: Header=BB4_6327 Depth=3
	v_cmp_ne_u16_sdwa s23, v11, v2 src0_sel:BYTE_3 src1_sel:DWORD
	v_mov_b32_e32 v15, 0
	s_andn2_b32 s16, s16, exec_lo
	s_and_b32 s23, s23, exec_lo
	s_or_b32 s16, s16, s23
	s_or_b32 exec_lo, exec_lo, s22
	s_and_saveexec_b32 s22, s16
	s_cbranch_execnz .LBB4_7469
	s_branch .LBB4_7470
.LBB4_7733:                             ;   in Loop: Header=BB4_3351 Depth=2
	s_or_b32 exec_lo, exec_lo, s18
.LBB4_7734:                             ;   in Loop: Header=BB4_3351 Depth=2
	s_or_b32 exec_lo, exec_lo, s17
	v_lshlrev_b32_e32 v22, 10, v97
	v_mov_b32_e32 v14, 0
	s_mov_b32 s16, 0
	s_mov_b32 s18, exec_lo
                                        ; implicit-def: $vgpr15
                                        ; implicit-def: $vgpr16
	v_cmpx_ne_u32_e64 v76, v22
	s_cbranch_execz .LBB4_8444
; %bb.7735:                             ;   in Loop: Header=BB4_3351 Depth=2
	v_lshlrev_b32_e32 v8, 5, v96
	v_sub_nc_u32_e32 v10, v76, v22
	s_mov_b32 s19, exec_lo
	v_sub_nc_u32_e32 v8, v112, v8
	v_ashrrev_i32_e32 v11, 31, v10
	v_ashrrev_i32_e32 v9, 31, v8
	v_lshrrev_b32_e32 v11, 23, v11
	v_lshrrev_b32_e32 v9, 27, v9
	v_add_nc_u32_e32 v11, v10, v11
	v_add_nc_u32_e32 v9, v8, v9
	v_and_b32_e32 v82, 0xfffffe00, v11
	v_ashrrev_i32_e32 v11, 9, v11
	v_and_b32_e32 v12, 0xffffffe0, v9
	v_sub_nc_u32_e32 v83, v10, v82
	v_ashrrev_i32_e32 v9, 5, v9
	v_sub_nc_u32_e32 v23, v8, v12
	v_cmp_lt_i32_e64 s16, 15, v83
	v_lshlrev_b32_e32 v8, 4, v23
	v_add_co_ci_u32_e64 v11, null, 0, v11, s16
	v_lshl_add_u32 v8, v9, 9, v8
	v_sub_nc_u32_e32 v84, v11, v9
	v_sub_nc_u32_e32 v85, v10, v8
	v_cmpx_lt_i32_e32 15, v85
	s_cbranch_execz .LBB4_8443
; %bb.7736:                             ;   in Loop: Header=BB4_3351 Depth=2
	s_trap 2
	ds_read_b64 v[9:10], v0
	v_add_nc_u32_e32 v8, v8, v22
	s_bitcmp1_b32 s72, 0
	s_mov_b32 s22, 0
	s_cselect_b32 s23, -1, 0
	v_ashrrev_i32_e32 v11, 31, v8
	v_add_co_u32 v16, vcc_lo, v8, v69
	s_waitcnt vmcnt(0)
	v_add_co_ci_u32_e64 v17, null, v11, v70, vcc_lo
	s_waitcnt lgkmcnt(0)
	v_add_co_u32 v18, vcc_lo, v9, v8
	v_add_co_ci_u32_e64 v19, null, v10, v11, vcc_lo
	v_add_co_u32 v20, vcc_lo, v8, v80
	v_add_co_ci_u32_e64 v21, null, v11, v81, vcc_lo
	s_branch .LBB4_7740
.LBB4_7737:                             ;   in Loop: Header=BB4_7740 Depth=3
	s_or_b32 exec_lo, exec_lo, s17
	v_lshrrev_b32_e32 v10, 20, v10
	v_min_i32_e32 v11, 15, v9
	v_cmp_gt_i32_e32 vcc_lo, 16, v9
	v_and_b32_sdwa v8, v8, v118 dst_sel:DWORD dst_unused:UNUSED_PAD src0_sel:BYTE_3 src1_sel:DWORD
	v_lshlrev_b32_e32 v11, 3, v11
	v_cndmask_b32_e32 v10, 7, v10, vcc_lo
	v_and_b32_e32 v11, 0xf8, v11
	v_and_b32_e32 v15, 7, v10
	v_or_b32_e32 v9, v9, v10
	v_or3_b32 v8, v8, v11, v15
	v_cmp_ne_u32_e32 vcc_lo, 0, v9
	v_lshlrev_b32_e32 v8, 8, v8
	v_cndmask_b32_e32 v9, 0, v8, vcc_lo
.LBB4_7738:                             ;   in Loop: Header=BB4_7740 Depth=3
	s_or_b32 exec_lo, exec_lo, s74
.LBB4_7739:                             ;   in Loop: Header=BB4_7740 Depth=3
	s_or_b32 exec_lo, exec_lo, s73
	v_or_b32_sdwa v8, v13, v99 dst_sel:WORD_1 dst_unused:UNUSED_PAD src0_sel:DWORD src1_sel:DWORD
	v_or_b32_sdwa v10, v12, v96 dst_sel:WORD_1 dst_unused:UNUSED_PAD src0_sel:DWORD src1_sel:DWORD
	;; [unrolled: 1-line block ×4, first 2 shown]
	v_sub_nc_u32_e32 v85, v85, v44
	v_or3_b32 v9, v98, v97, v8
	v_or3_b32 v8, v87, v86, v10
	;; [unrolled: 1-line block ×4, first 2 shown]
	v_add_co_u32 v16, vcc_lo, v16, v44
	v_add_co_ci_u32_e64 v17, null, 0, v17, vcc_lo
	v_add_co_u32 v18, vcc_lo, v18, v44
	global_store_dwordx4 v[20:21], v[8:11], off glc slc
	v_add_co_ci_u32_e64 v19, null, 0, v19, vcc_lo
	v_cmp_gt_i32_e32 vcc_lo, 16, v85
	v_add_co_u32 v20, s17, v20, v44
	v_add_co_ci_u32_e64 v21, null, 0, v21, s17
	v_sub_nc_u32_e32 v84, v84, v103
	s_or_b32 s22, vcc_lo, s22
	s_andn2_b32 exec_lo, exec_lo, s22
	s_cbranch_execz .LBB4_8442
.LBB4_7740:                             ;   Parent Loop BB4_47 Depth=1
                                        ;     Parent Loop BB4_3351 Depth=2
                                        ; =>    This Inner Loop Header: Depth=3
	global_load_dwordx4 v[8:11], v[18:19], off slc
	global_load_dwordx4 v[12:15], v[16:17], off slc
	s_mov_b32 s17, -1
	s_waitcnt vmcnt(1)
	v_and_b32_e32 v86, 7, v8
	v_bfe_u32 v97, v8, 3, 4
	v_lshlrev_b32_e32 v98, 24, v8
	v_ffbh_u32_e32 v87, v86
	v_cmp_eq_u32_e32 vcc_lo, 0, v97
	v_min_u32_e32 v87, 32, v87
	v_subrev_nc_u32_e32 v96, 28, v87
	v_sub_nc_u32_e32 v87, 29, v87
	v_lshlrev_b32_e32 v96, v96, v8
	v_cndmask_b32_e32 v87, v97, v87, vcc_lo
	v_and_b32_e32 v96, 7, v96
	v_lshl_add_u32 v87, v87, 23, 0x3b800000
	v_cndmask_b32_e32 v86, v86, v96, vcc_lo
	v_and_b32_e32 v96, 0x80000000, v98
	s_and_b32 vcc_lo, exec_lo, s23
	v_lshlrev_b32_e32 v86, 20, v86
	v_or3_b32 v86, v96, v87, v86
                                        ; implicit-def: $vgpr87
	s_cbranch_vccz .LBB4_7754
; %bb.7741:                             ;   in Loop: Header=BB4_7740 Depth=3
	s_waitcnt vmcnt(0)
	v_cmp_gt_i16_sdwa s73, v12, v117 src0_sel:BYTE_0 src1_sel:DWORD
	s_mov_b32 s17, 0
	s_and_saveexec_b32 s74, s73
	s_xor_b32 s73, exec_lo, s74
	s_cbranch_execz .LBB4_8314
; %bb.7742:                             ;   in Loop: Header=BB4_7740 Depth=3
	v_cmp_eq_u16_sdwa s75, v12, v118 src0_sel:BYTE_0 src1_sel:DWORD
	s_mov_b32 s17, -1
	s_and_saveexec_b32 s74, s75
; %bb.7743:                             ;   in Loop: Header=BB4_7740 Depth=3
	s_xor_b32 s17, exec_lo, -1
; %bb.7744:                             ;   in Loop: Header=BB4_7740 Depth=3
	s_or_b32 exec_lo, exec_lo, s74
	s_and_b32 s17, s17, exec_lo
	s_or_saveexec_b32 s73, s73
	v_mov_b32_e32 v87, 0x7f800001
	s_xor_b32 exec_lo, exec_lo, s73
	s_cbranch_execnz .LBB4_8315
.LBB4_7745:                             ;   in Loop: Header=BB4_7740 Depth=3
	s_or_b32 exec_lo, exec_lo, s73
	s_and_saveexec_b32 s73, s17
	s_cbranch_execz .LBB4_7747
.LBB4_7746:                             ;   in Loop: Header=BB4_7740 Depth=3
	v_and_b32_e32 v87, 7, v12
	v_bfe_u32 v98, v12, 3, 4
	v_lshlrev_b32_e32 v99, 24, v12
	v_ffbh_u32_e32 v96, v87
	v_cmp_eq_u32_e32 vcc_lo, 0, v98
	v_min_u32_e32 v96, 32, v96
	v_subrev_nc_u32_e32 v97, 28, v96
	v_sub_nc_u32_e32 v96, 29, v96
	v_lshlrev_b32_e32 v97, v97, v12
	v_cndmask_b32_e32 v96, v98, v96, vcc_lo
	v_and_b32_e32 v97, 7, v97
	v_lshl_add_u32 v96, v96, 23, 0x3b800000
	v_cndmask_b32_e32 v87, v87, v97, vcc_lo
	v_and_b32_e32 v97, 0x80000000, v99
	v_lshlrev_b32_e32 v87, 20, v87
	v_or3_b32 v87, v97, v96, v87
.LBB4_7747:                             ;   in Loop: Header=BB4_7740 Depth=3
	s_or_b32 exec_lo, exec_lo, s73
	v_cmp_gt_i16_sdwa s73, v8, v117 src0_sel:BYTE_0 src1_sel:DWORD
	s_mov_b32 s17, 0
	s_and_saveexec_b32 s74, s73
	s_xor_b32 s73, exec_lo, s74
	s_cbranch_execz .LBB4_8316
; %bb.7748:                             ;   in Loop: Header=BB4_7740 Depth=3
	v_cmp_eq_u16_sdwa s75, v8, v118 src0_sel:BYTE_0 src1_sel:DWORD
	s_mov_b32 s17, -1
	s_and_saveexec_b32 s74, s75
; %bb.7749:                             ;   in Loop: Header=BB4_7740 Depth=3
	s_xor_b32 s17, exec_lo, -1
; %bb.7750:                             ;   in Loop: Header=BB4_7740 Depth=3
	s_or_b32 exec_lo, exec_lo, s74
	s_and_b32 s17, s17, exec_lo
	s_or_saveexec_b32 s73, s73
	v_mov_b32_e32 v96, 0x7f800001
	s_xor_b32 exec_lo, exec_lo, s73
	s_cbranch_execnz .LBB4_8317
.LBB4_7751:                             ;   in Loop: Header=BB4_7740 Depth=3
	s_or_b32 exec_lo, exec_lo, s73
	s_and_saveexec_b32 s73, s17
.LBB4_7752:                             ;   in Loop: Header=BB4_7740 Depth=3
	v_mov_b32_e32 v96, v86
.LBB4_7753:                             ;   in Loop: Header=BB4_7740 Depth=3
	s_or_b32 exec_lo, exec_lo, s73
	v_max_f32_e32 v96, v96, v96
	v_max_f32_e32 v87, v87, v87
	s_mov_b32 s17, 0
	v_max_f32_e32 v87, v87, v96
.LBB4_7754:                             ;   in Loop: Header=BB4_7740 Depth=3
	s_and_b32 vcc_lo, exec_lo, s17
	s_cbranch_vccz .LBB4_7768
; %bb.7755:                             ;   in Loop: Header=BB4_7740 Depth=3
	s_waitcnt vmcnt(0)
	v_cmp_gt_i16_sdwa s73, v12, v117 src0_sel:BYTE_0 src1_sel:DWORD
	s_mov_b32 s17, 0
	s_and_saveexec_b32 s74, s73
	s_xor_b32 s73, exec_lo, s74
	s_cbranch_execz .LBB4_8318
; %bb.7756:                             ;   in Loop: Header=BB4_7740 Depth=3
	v_cmp_eq_u16_sdwa s75, v12, v118 src0_sel:BYTE_0 src1_sel:DWORD
	s_mov_b32 s17, -1
	s_and_saveexec_b32 s74, s75
; %bb.7757:                             ;   in Loop: Header=BB4_7740 Depth=3
	s_xor_b32 s17, exec_lo, -1
; %bb.7758:                             ;   in Loop: Header=BB4_7740 Depth=3
	s_or_b32 exec_lo, exec_lo, s74
	s_and_b32 s17, s17, exec_lo
	s_or_saveexec_b32 s73, s73
	v_mov_b32_e32 v87, 0x7f800001
	s_xor_b32 exec_lo, exec_lo, s73
	s_cbranch_execnz .LBB4_8319
.LBB4_7759:                             ;   in Loop: Header=BB4_7740 Depth=3
	s_or_b32 exec_lo, exec_lo, s73
	s_and_saveexec_b32 s73, s17
	s_cbranch_execz .LBB4_7761
.LBB4_7760:                             ;   in Loop: Header=BB4_7740 Depth=3
	v_and_b32_e32 v87, 7, v12
	v_bfe_u32 v98, v12, 3, 4
	v_lshlrev_b32_e32 v99, 24, v12
	v_ffbh_u32_e32 v96, v87
	v_cmp_eq_u32_e32 vcc_lo, 0, v98
	v_min_u32_e32 v96, 32, v96
	v_subrev_nc_u32_e32 v97, 28, v96
	v_sub_nc_u32_e32 v96, 29, v96
	v_lshlrev_b32_e32 v97, v97, v12
	v_cndmask_b32_e32 v96, v98, v96, vcc_lo
	v_and_b32_e32 v97, 7, v97
	v_lshl_add_u32 v96, v96, 23, 0x3b800000
	v_cndmask_b32_e32 v87, v87, v97, vcc_lo
	v_and_b32_e32 v97, 0x80000000, v99
	v_lshlrev_b32_e32 v87, 20, v87
	v_or3_b32 v87, v97, v96, v87
.LBB4_7761:                             ;   in Loop: Header=BB4_7740 Depth=3
	s_or_b32 exec_lo, exec_lo, s73
	v_cmp_gt_i16_sdwa s73, v8, v117 src0_sel:BYTE_0 src1_sel:DWORD
	s_mov_b32 s17, 0
	s_and_saveexec_b32 s74, s73
	s_xor_b32 s73, exec_lo, s74
	s_cbranch_execz .LBB4_8320
; %bb.7762:                             ;   in Loop: Header=BB4_7740 Depth=3
	v_cmp_eq_u16_sdwa s75, v8, v118 src0_sel:BYTE_0 src1_sel:DWORD
	s_mov_b32 s17, -1
	s_and_saveexec_b32 s74, s75
; %bb.7763:                             ;   in Loop: Header=BB4_7740 Depth=3
	s_xor_b32 s17, exec_lo, -1
; %bb.7764:                             ;   in Loop: Header=BB4_7740 Depth=3
	s_or_b32 exec_lo, exec_lo, s74
	s_and_b32 s17, s17, exec_lo
	s_or_saveexec_b32 s73, s73
	v_mov_b32_e32 v96, 0x7f800001
	s_xor_b32 exec_lo, exec_lo, s73
	s_cbranch_execnz .LBB4_8321
.LBB4_7765:                             ;   in Loop: Header=BB4_7740 Depth=3
	s_or_b32 exec_lo, exec_lo, s73
	s_and_saveexec_b32 s73, s17
.LBB4_7766:                             ;   in Loop: Header=BB4_7740 Depth=3
	v_mov_b32_e32 v96, v86
.LBB4_7767:                             ;   in Loop: Header=BB4_7740 Depth=3
	s_or_b32 exec_lo, exec_lo, s73
	v_max_f32_e32 v86, v96, v96
	v_max_f32_e32 v87, v87, v87
	v_min_f32_e32 v87, v87, v86
.LBB4_7768:                             ;   in Loop: Header=BB4_7740 Depth=3
	v_and_b32_e32 v86, 0x7f800000, v87
	v_cmp_ne_u32_e32 vcc_lo, 0x7f800000, v86
	v_mov_b32_e32 v86, 0x80
	s_and_saveexec_b32 s73, vcc_lo
	s_cbranch_execz .LBB4_7776
; %bb.7769:                             ;   in Loop: Header=BB4_7740 Depth=3
	v_mov_b32_e32 v86, 0
	s_mov_b32 s74, exec_lo
	v_cmpx_ne_u32_e32 0, v87
	s_cbranch_execz .LBB4_7775
; %bb.7770:                             ;   in Loop: Header=BB4_7740 Depth=3
	v_bfe_u32 v86, v87, 23, 8
	v_and_b32_e32 v96, 0x7fffff, v87
	v_sub_nc_u32_e32 v97, 0x78, v86
	v_cmp_gt_u32_e32 vcc_lo, 0x79, v86
	v_or_b32_e32 v98, 0x800000, v96
	v_cndmask_b32_e32 v97, 0, v97, vcc_lo
	v_cmp_eq_u32_e32 vcc_lo, 0, v86
	v_add_nc_u32_e32 v86, 0xffffff89, v86
	v_cndmask_b32_e64 v97, v97, 0x77, vcc_lo
	v_cndmask_b32_e32 v96, v98, v96, vcc_lo
	v_cndmask_b32_e64 v86, v86, 0xffffff8a, vcc_lo
	v_lshl_add_u32 v98, 0x100000, v97, -1
	v_lshrrev_b32_e32 v99, v97, v96
	v_lshlrev_b32_e64 v78, v97, 0x80000
	v_add_nc_u32_e32 v97, v97, v86
	v_and_b32_e32 v96, v98, v96
	v_bfe_u32 v77, v99, 20, 1
	v_cmp_eq_u32_e64 s17, v96, v78
	v_add_nc_u32_e32 v98, -1, v77
	v_cndmask_b32_e64 v96, 0, v98, s17
	v_lshrrev_b32_e32 v98, 23, v99
	s_mov_b32 s17, exec_lo
	v_add_nc_u32_e32 v96, v96, v99
	v_xor_b32_e32 v98, 1, v98
	v_and_b32_e32 v86, 0xfffff, v96
	v_add_nc_u32_e32 v96, v86, v99
                                        ; implicit-def: $vgpr86
	v_cmpx_ne_u32_e64 v97, v98
	s_xor_b32 s17, exec_lo, s17
; %bb.7771:                             ;   in Loop: Header=BB4_7740 Depth=3
	v_cmp_lt_u32_e32 vcc_lo, 0xffffff, v96
	v_sub_nc_u32_e32 v86, v97, v98
	v_cndmask_b32_e64 v97, 0, 1, vcc_lo
	v_add_co_ci_u32_e64 v86, null, 0, v86, vcc_lo
	v_lshrrev_b32_e32 v96, v97, v96
; %bb.7772:                             ;   in Loop: Header=BB4_7740 Depth=3
	s_andn2_saveexec_b32 s17, s17
; %bb.7773:                             ;   in Loop: Header=BB4_7740 Depth=3
	v_bfe_u32 v86, v96, 23, 1
; %bb.7774:                             ;   in Loop: Header=BB4_7740 Depth=3
	s_or_b32 exec_lo, exec_lo, s17
	v_lshrrev_b32_e32 v96, 20, v96
	v_min_i32_e32 v97, 15, v86
	v_cmp_gt_i32_e32 vcc_lo, 16, v86
	v_and_b32_sdwa v87, v87, v118 dst_sel:DWORD dst_unused:UNUSED_PAD src0_sel:BYTE_3 src1_sel:DWORD
	v_lshlrev_b32_e32 v97, 3, v97
	v_cndmask_b32_e32 v96, 7, v96, vcc_lo
	v_and_b32_e32 v97, 0xf8, v97
	v_and_b32_e32 v98, 7, v96
	v_or_b32_e32 v86, v86, v96
	v_or3_b32 v87, v97, v87, v98
	v_cmp_ne_u32_e32 vcc_lo, 0, v86
	v_cndmask_b32_e32 v86, 0, v87, vcc_lo
.LBB4_7775:                             ;   in Loop: Header=BB4_7740 Depth=3
	s_or_b32 exec_lo, exec_lo, s74
.LBB4_7776:                             ;   in Loop: Header=BB4_7740 Depth=3
	s_or_b32 exec_lo, exec_lo, s73
	v_and_b32_sdwa v87, v119, v8 dst_sel:DWORD dst_unused:UNUSED_PAD src0_sel:DWORD src1_sel:BYTE_1
	s_mov_b32 s17, -1
	v_and_b32_e32 v96, 7, v87
	v_bfe_u32 v99, v87, 3, 4
	v_ffbh_u32_e32 v97, v96
	v_cmp_eq_u32_e32 vcc_lo, 0, v99
	v_min_u32_e32 v97, 32, v97
	v_subrev_nc_u32_e32 v98, 28, v97
	v_sub_nc_u32_e32 v97, 29, v97
	v_lshlrev_b32_e32 v87, v98, v87
	v_lshlrev_b32_sdwa v98, v41, v8 dst_sel:DWORD dst_unused:UNUSED_PAD src0_sel:DWORD src1_sel:BYTE_1
	v_cndmask_b32_e32 v97, v99, v97, vcc_lo
	v_and_b32_e32 v87, 7, v87
	v_lshl_add_u32 v97, v97, 23, 0x3b800000
	v_cndmask_b32_e32 v87, v96, v87, vcc_lo
	v_and_b32_e32 v96, 0x80000000, v98
	s_and_b32 vcc_lo, exec_lo, s23
	v_lshlrev_b32_e32 v87, 20, v87
	v_or3_b32 v87, v96, v97, v87
                                        ; implicit-def: $vgpr96
	s_cbranch_vccz .LBB4_7790
; %bb.7777:                             ;   in Loop: Header=BB4_7740 Depth=3
	s_waitcnt vmcnt(0)
	v_cmp_gt_i16_sdwa s73, v12, v117 src0_sel:BYTE_1 src1_sel:DWORD
	s_mov_b32 s17, 0
	s_and_saveexec_b32 s74, s73
	s_xor_b32 s73, exec_lo, s74
	s_cbranch_execz .LBB4_8322
; %bb.7778:                             ;   in Loop: Header=BB4_7740 Depth=3
	v_cmp_eq_u16_sdwa s75, v12, v118 src0_sel:BYTE_1 src1_sel:DWORD
	s_mov_b32 s17, -1
	s_and_saveexec_b32 s74, s75
; %bb.7779:                             ;   in Loop: Header=BB4_7740 Depth=3
	s_xor_b32 s17, exec_lo, -1
; %bb.7780:                             ;   in Loop: Header=BB4_7740 Depth=3
	s_or_b32 exec_lo, exec_lo, s74
	s_and_b32 s17, s17, exec_lo
	s_or_saveexec_b32 s73, s73
	v_mov_b32_e32 v96, 0x7f800001
	s_xor_b32 exec_lo, exec_lo, s73
	s_cbranch_execnz .LBB4_8323
.LBB4_7781:                             ;   in Loop: Header=BB4_7740 Depth=3
	s_or_b32 exec_lo, exec_lo, s73
	s_and_saveexec_b32 s73, s17
	s_cbranch_execz .LBB4_7783
.LBB4_7782:                             ;   in Loop: Header=BB4_7740 Depth=3
	v_and_b32_sdwa v96, v119, v12 dst_sel:DWORD dst_unused:UNUSED_PAD src0_sel:DWORD src1_sel:BYTE_1
	v_and_b32_e32 v97, 7, v96
	v_bfe_u32 v77, v96, 3, 4
	v_ffbh_u32_e32 v98, v97
	v_cmp_eq_u32_e32 vcc_lo, 0, v77
	v_min_u32_e32 v98, 32, v98
	v_subrev_nc_u32_e32 v99, 28, v98
	v_sub_nc_u32_e32 v98, 29, v98
	v_lshlrev_b32_e32 v96, v99, v96
	v_lshlrev_b32_e32 v99, 16, v12
	v_cndmask_b32_e32 v98, v77, v98, vcc_lo
	v_and_b32_e32 v96, 7, v96
	v_lshl_add_u32 v98, v98, 23, 0x3b800000
	v_cndmask_b32_e32 v96, v97, v96, vcc_lo
	v_and_b32_e32 v97, 0x80000000, v99
	v_lshlrev_b32_e32 v96, 20, v96
	v_or3_b32 v96, v97, v98, v96
.LBB4_7783:                             ;   in Loop: Header=BB4_7740 Depth=3
	s_or_b32 exec_lo, exec_lo, s73
	v_cmp_gt_i16_sdwa s73, v8, v117 src0_sel:BYTE_1 src1_sel:DWORD
	s_mov_b32 s17, 0
	s_and_saveexec_b32 s74, s73
	s_xor_b32 s73, exec_lo, s74
	s_cbranch_execz .LBB4_8324
; %bb.7784:                             ;   in Loop: Header=BB4_7740 Depth=3
	v_cmp_eq_u16_sdwa s75, v8, v118 src0_sel:BYTE_1 src1_sel:DWORD
	s_mov_b32 s17, -1
	s_and_saveexec_b32 s74, s75
; %bb.7785:                             ;   in Loop: Header=BB4_7740 Depth=3
	s_xor_b32 s17, exec_lo, -1
; %bb.7786:                             ;   in Loop: Header=BB4_7740 Depth=3
	s_or_b32 exec_lo, exec_lo, s74
	s_and_b32 s17, s17, exec_lo
	s_or_saveexec_b32 s73, s73
	v_mov_b32_e32 v97, 0x7f800001
	s_xor_b32 exec_lo, exec_lo, s73
	s_cbranch_execnz .LBB4_8325
.LBB4_7787:                             ;   in Loop: Header=BB4_7740 Depth=3
	s_or_b32 exec_lo, exec_lo, s73
	s_and_saveexec_b32 s73, s17
.LBB4_7788:                             ;   in Loop: Header=BB4_7740 Depth=3
	v_mov_b32_e32 v97, v87
.LBB4_7789:                             ;   in Loop: Header=BB4_7740 Depth=3
	s_or_b32 exec_lo, exec_lo, s73
	v_max_f32_e32 v97, v97, v97
	v_max_f32_e32 v96, v96, v96
	s_mov_b32 s17, 0
	v_max_f32_e32 v96, v96, v97
.LBB4_7790:                             ;   in Loop: Header=BB4_7740 Depth=3
	s_and_b32 vcc_lo, exec_lo, s17
	s_cbranch_vccz .LBB4_7804
; %bb.7791:                             ;   in Loop: Header=BB4_7740 Depth=3
	s_waitcnt vmcnt(0)
	v_cmp_gt_i16_sdwa s73, v12, v117 src0_sel:BYTE_1 src1_sel:DWORD
	s_mov_b32 s17, 0
	s_and_saveexec_b32 s74, s73
	s_xor_b32 s73, exec_lo, s74
	s_cbranch_execz .LBB4_8326
; %bb.7792:                             ;   in Loop: Header=BB4_7740 Depth=3
	v_cmp_eq_u16_sdwa s75, v12, v118 src0_sel:BYTE_1 src1_sel:DWORD
	s_mov_b32 s17, -1
	s_and_saveexec_b32 s74, s75
; %bb.7793:                             ;   in Loop: Header=BB4_7740 Depth=3
	s_xor_b32 s17, exec_lo, -1
; %bb.7794:                             ;   in Loop: Header=BB4_7740 Depth=3
	s_or_b32 exec_lo, exec_lo, s74
	s_and_b32 s17, s17, exec_lo
	s_or_saveexec_b32 s73, s73
	v_mov_b32_e32 v96, 0x7f800001
	s_xor_b32 exec_lo, exec_lo, s73
	s_cbranch_execnz .LBB4_8327
.LBB4_7795:                             ;   in Loop: Header=BB4_7740 Depth=3
	s_or_b32 exec_lo, exec_lo, s73
	s_and_saveexec_b32 s73, s17
	s_cbranch_execz .LBB4_7797
.LBB4_7796:                             ;   in Loop: Header=BB4_7740 Depth=3
	v_and_b32_sdwa v96, v119, v12 dst_sel:DWORD dst_unused:UNUSED_PAD src0_sel:DWORD src1_sel:BYTE_1
	v_and_b32_e32 v97, 7, v96
	v_bfe_u32 v77, v96, 3, 4
	v_ffbh_u32_e32 v98, v97
	v_cmp_eq_u32_e32 vcc_lo, 0, v77
	v_min_u32_e32 v98, 32, v98
	v_subrev_nc_u32_e32 v99, 28, v98
	v_sub_nc_u32_e32 v98, 29, v98
	v_lshlrev_b32_e32 v96, v99, v96
	v_lshlrev_b32_e32 v99, 16, v12
	v_cndmask_b32_e32 v98, v77, v98, vcc_lo
	v_and_b32_e32 v96, 7, v96
	v_lshl_add_u32 v98, v98, 23, 0x3b800000
	v_cndmask_b32_e32 v96, v97, v96, vcc_lo
	v_and_b32_e32 v97, 0x80000000, v99
	v_lshlrev_b32_e32 v96, 20, v96
	v_or3_b32 v96, v97, v98, v96
.LBB4_7797:                             ;   in Loop: Header=BB4_7740 Depth=3
	s_or_b32 exec_lo, exec_lo, s73
	v_cmp_gt_i16_sdwa s73, v8, v117 src0_sel:BYTE_1 src1_sel:DWORD
	s_mov_b32 s17, 0
	s_and_saveexec_b32 s74, s73
	s_xor_b32 s73, exec_lo, s74
	s_cbranch_execz .LBB4_8328
; %bb.7798:                             ;   in Loop: Header=BB4_7740 Depth=3
	v_cmp_eq_u16_sdwa s75, v8, v118 src0_sel:BYTE_1 src1_sel:DWORD
	s_mov_b32 s17, -1
	s_and_saveexec_b32 s74, s75
; %bb.7799:                             ;   in Loop: Header=BB4_7740 Depth=3
	s_xor_b32 s17, exec_lo, -1
; %bb.7800:                             ;   in Loop: Header=BB4_7740 Depth=3
	s_or_b32 exec_lo, exec_lo, s74
	s_and_b32 s17, s17, exec_lo
	s_or_saveexec_b32 s73, s73
	v_mov_b32_e32 v97, 0x7f800001
	s_xor_b32 exec_lo, exec_lo, s73
	s_cbranch_execnz .LBB4_8329
.LBB4_7801:                             ;   in Loop: Header=BB4_7740 Depth=3
	s_or_b32 exec_lo, exec_lo, s73
	s_and_saveexec_b32 s73, s17
.LBB4_7802:                             ;   in Loop: Header=BB4_7740 Depth=3
	v_mov_b32_e32 v97, v87
.LBB4_7803:                             ;   in Loop: Header=BB4_7740 Depth=3
	s_or_b32 exec_lo, exec_lo, s73
	v_max_f32_e32 v87, v97, v97
	v_max_f32_e32 v96, v96, v96
	v_min_f32_e32 v96, v96, v87
.LBB4_7804:                             ;   in Loop: Header=BB4_7740 Depth=3
	v_and_b32_e32 v87, 0x7f800000, v96
	v_cmp_ne_u32_e32 vcc_lo, 0x7f800000, v87
	v_mov_b32_e32 v87, 0x8000
	s_and_saveexec_b32 s73, vcc_lo
	s_cbranch_execz .LBB4_7812
; %bb.7805:                             ;   in Loop: Header=BB4_7740 Depth=3
	v_mov_b32_e32 v87, 0
	s_mov_b32 s74, exec_lo
	v_cmpx_ne_u32_e32 0, v96
	s_cbranch_execz .LBB4_7811
; %bb.7806:                             ;   in Loop: Header=BB4_7740 Depth=3
	v_bfe_u32 v87, v96, 23, 8
	v_and_b32_e32 v97, 0x7fffff, v96
	v_sub_nc_u32_e32 v98, 0x78, v87
	v_cmp_gt_u32_e32 vcc_lo, 0x79, v87
	v_or_b32_e32 v99, 0x800000, v97
	v_cndmask_b32_e32 v98, 0, v98, vcc_lo
	v_cmp_eq_u32_e32 vcc_lo, 0, v87
	v_add_nc_u32_e32 v87, 0xffffff89, v87
	v_cndmask_b32_e64 v98, v98, 0x77, vcc_lo
	v_cndmask_b32_e32 v97, v99, v97, vcc_lo
	v_cndmask_b32_e64 v87, v87, 0xffffff8a, vcc_lo
	v_lshl_add_u32 v99, 0x100000, v98, -1
	v_lshrrev_b32_e32 v77, v98, v97
	v_lshlrev_b32_e64 v79, v98, 0x80000
	v_add_nc_u32_e32 v98, v98, v87
	v_and_b32_e32 v97, v99, v97
	v_bfe_u32 v78, v77, 20, 1
	v_cmp_eq_u32_e64 s17, v97, v79
	v_add_nc_u32_e32 v99, -1, v78
	v_cndmask_b32_e64 v97, 0, v99, s17
	v_lshrrev_b32_e32 v99, 23, v77
	s_mov_b32 s17, exec_lo
	v_add_nc_u32_e32 v97, v97, v77
	v_xor_b32_e32 v99, 1, v99
	v_and_b32_e32 v87, 0xfffff, v97
	v_add_nc_u32_e32 v97, v87, v77
                                        ; implicit-def: $vgpr87
	v_cmpx_ne_u32_e64 v98, v99
	s_xor_b32 s17, exec_lo, s17
; %bb.7807:                             ;   in Loop: Header=BB4_7740 Depth=3
	v_cmp_lt_u32_e32 vcc_lo, 0xffffff, v97
	v_sub_nc_u32_e32 v87, v98, v99
	v_cndmask_b32_e64 v98, 0, 1, vcc_lo
	v_add_co_ci_u32_e64 v87, null, 0, v87, vcc_lo
	v_lshrrev_b32_e32 v97, v98, v97
; %bb.7808:                             ;   in Loop: Header=BB4_7740 Depth=3
	s_andn2_saveexec_b32 s17, s17
; %bb.7809:                             ;   in Loop: Header=BB4_7740 Depth=3
	v_bfe_u32 v87, v97, 23, 1
; %bb.7810:                             ;   in Loop: Header=BB4_7740 Depth=3
	s_or_b32 exec_lo, exec_lo, s17
	v_lshrrev_b32_e32 v97, 20, v97
	v_min_i32_e32 v98, 15, v87
	v_cmp_gt_i32_e32 vcc_lo, 16, v87
	v_and_b32_sdwa v96, v96, v118 dst_sel:DWORD dst_unused:UNUSED_PAD src0_sel:BYTE_3 src1_sel:DWORD
	v_lshlrev_b32_e32 v98, 3, v98
	v_cndmask_b32_e32 v97, 7, v97, vcc_lo
	v_and_b32_e32 v98, 0xf8, v98
	v_and_b32_e32 v99, 7, v97
	v_or_b32_e32 v87, v87, v97
	v_or3_b32 v96, v96, v98, v99
	v_cmp_ne_u32_e32 vcc_lo, 0, v87
	v_lshlrev_b32_e32 v96, 8, v96
	v_cndmask_b32_e32 v87, 0, v96, vcc_lo
.LBB4_7811:                             ;   in Loop: Header=BB4_7740 Depth=3
	s_or_b32 exec_lo, exec_lo, s74
.LBB4_7812:                             ;   in Loop: Header=BB4_7740 Depth=3
	s_or_b32 exec_lo, exec_lo, s73
	v_bfe_u32 v96, v8, 16, 3
	v_bfe_u32 v99, v8, 19, 4
	v_lshlrev_b32_e32 v77, 8, v8
	s_mov_b32 s17, -1
	v_ffbh_u32_e32 v97, v96
	v_cmp_eq_u32_e32 vcc_lo, 0, v99
	v_min_u32_e32 v97, 32, v97
	v_subrev_nc_u32_e32 v98, 28, v97
	v_sub_nc_u32_e32 v97, 29, v97
	v_lshlrev_b32_sdwa v98, v98, v8 dst_sel:DWORD dst_unused:UNUSED_PAD src0_sel:DWORD src1_sel:WORD_1
	v_cndmask_b32_e32 v97, v99, v97, vcc_lo
	v_and_b32_e32 v98, 7, v98
	v_lshl_add_u32 v97, v97, 23, 0x3b800000
	v_cndmask_b32_e32 v96, v96, v98, vcc_lo
	v_and_b32_e32 v98, 0x80000000, v77
	s_and_b32 vcc_lo, exec_lo, s23
	v_lshlrev_b32_e32 v96, 20, v96
	v_or3_b32 v96, v98, v97, v96
                                        ; implicit-def: $vgpr97
	s_cbranch_vccz .LBB4_7826
; %bb.7813:                             ;   in Loop: Header=BB4_7740 Depth=3
	s_waitcnt vmcnt(0)
	v_and_b32_sdwa v98, v12, v40 dst_sel:DWORD dst_unused:UNUSED_PAD src0_sel:WORD_1 src1_sel:DWORD
	s_mov_b32 s17, 0
	s_mov_b32 s73, exec_lo
	v_cmpx_lt_i16_e32 0x7f, v98
	s_xor_b32 s73, exec_lo, s73
	s_cbranch_execz .LBB4_8330
; %bb.7814:                             ;   in Loop: Header=BB4_7740 Depth=3
	s_mov_b32 s17, -1
	s_mov_b32 s74, exec_lo
	v_cmpx_eq_u16_e32 0x80, v98
; %bb.7815:                             ;   in Loop: Header=BB4_7740 Depth=3
	s_xor_b32 s17, exec_lo, -1
; %bb.7816:                             ;   in Loop: Header=BB4_7740 Depth=3
	s_or_b32 exec_lo, exec_lo, s74
	s_and_b32 s17, s17, exec_lo
                                        ; implicit-def: $vgpr98
	s_or_saveexec_b32 s73, s73
	v_mov_b32_e32 v97, 0x7f800001
	s_xor_b32 exec_lo, exec_lo, s73
	s_cbranch_execnz .LBB4_8331
.LBB4_7817:                             ;   in Loop: Header=BB4_7740 Depth=3
	s_or_b32 exec_lo, exec_lo, s73
	s_and_saveexec_b32 s73, s17
	s_cbranch_execz .LBB4_7819
.LBB4_7818:                             ;   in Loop: Header=BB4_7740 Depth=3
	v_bfe_u32 v97, v12, 16, 3
	v_bfe_u32 v77, v12, 19, 4
	v_lshlrev_b32_sdwa v78, v41, v12 dst_sel:DWORD dst_unused:UNUSED_PAD src0_sel:DWORD src1_sel:WORD_1
	v_ffbh_u32_e32 v98, v97
	v_cmp_eq_u32_e32 vcc_lo, 0, v77
	v_min_u32_e32 v98, 32, v98
	v_subrev_nc_u32_e32 v99, 28, v98
	v_sub_nc_u32_e32 v98, 29, v98
	v_lshlrev_b32_sdwa v99, v99, v12 dst_sel:DWORD dst_unused:UNUSED_PAD src0_sel:DWORD src1_sel:WORD_1
	v_cndmask_b32_e32 v98, v77, v98, vcc_lo
	v_and_b32_e32 v99, 7, v99
	v_lshl_add_u32 v98, v98, 23, 0x3b800000
	v_cndmask_b32_e32 v97, v97, v99, vcc_lo
	v_and_b32_e32 v99, 0x80000000, v78
	v_lshlrev_b32_e32 v97, 20, v97
	v_or3_b32 v97, v99, v98, v97
.LBB4_7819:                             ;   in Loop: Header=BB4_7740 Depth=3
	s_or_b32 exec_lo, exec_lo, s73
	v_and_b32_sdwa v99, v8, v40 dst_sel:DWORD dst_unused:UNUSED_PAD src0_sel:WORD_1 src1_sel:DWORD
	s_mov_b32 s17, 0
	s_mov_b32 s73, exec_lo
	v_cmpx_lt_i16_e32 0x7f, v99
	s_xor_b32 s73, exec_lo, s73
	s_cbranch_execz .LBB4_8332
; %bb.7820:                             ;   in Loop: Header=BB4_7740 Depth=3
	s_mov_b32 s17, -1
	s_mov_b32 s74, exec_lo
	v_cmpx_eq_u16_e32 0x80, v99
; %bb.7821:                             ;   in Loop: Header=BB4_7740 Depth=3
	s_xor_b32 s17, exec_lo, -1
; %bb.7822:                             ;   in Loop: Header=BB4_7740 Depth=3
	s_or_b32 exec_lo, exec_lo, s74
	s_and_b32 s17, s17, exec_lo
                                        ; implicit-def: $vgpr99
	s_or_saveexec_b32 s73, s73
	v_mov_b32_e32 v98, 0x7f800001
	s_xor_b32 exec_lo, exec_lo, s73
	s_cbranch_execnz .LBB4_8333
.LBB4_7823:                             ;   in Loop: Header=BB4_7740 Depth=3
	s_or_b32 exec_lo, exec_lo, s73
	s_and_saveexec_b32 s73, s17
.LBB4_7824:                             ;   in Loop: Header=BB4_7740 Depth=3
	v_mov_b32_e32 v98, v96
.LBB4_7825:                             ;   in Loop: Header=BB4_7740 Depth=3
	s_or_b32 exec_lo, exec_lo, s73
	v_max_f32_e32 v98, v98, v98
	v_max_f32_e32 v97, v97, v97
	s_mov_b32 s17, 0
	v_max_f32_e32 v97, v97, v98
.LBB4_7826:                             ;   in Loop: Header=BB4_7740 Depth=3
	s_and_b32 vcc_lo, exec_lo, s17
	s_cbranch_vccz .LBB4_7840
; %bb.7827:                             ;   in Loop: Header=BB4_7740 Depth=3
	s_waitcnt vmcnt(0)
	v_and_b32_sdwa v98, v12, v40 dst_sel:DWORD dst_unused:UNUSED_PAD src0_sel:WORD_1 src1_sel:DWORD
	s_mov_b32 s17, 0
	s_mov_b32 s73, exec_lo
	v_cmpx_lt_i16_e32 0x7f, v98
	s_xor_b32 s73, exec_lo, s73
	s_cbranch_execz .LBB4_8334
; %bb.7828:                             ;   in Loop: Header=BB4_7740 Depth=3
	s_mov_b32 s17, -1
	s_mov_b32 s74, exec_lo
	v_cmpx_eq_u16_e32 0x80, v98
; %bb.7829:                             ;   in Loop: Header=BB4_7740 Depth=3
	s_xor_b32 s17, exec_lo, -1
; %bb.7830:                             ;   in Loop: Header=BB4_7740 Depth=3
	s_or_b32 exec_lo, exec_lo, s74
	s_and_b32 s17, s17, exec_lo
                                        ; implicit-def: $vgpr98
	s_or_saveexec_b32 s73, s73
	v_mov_b32_e32 v97, 0x7f800001
	s_xor_b32 exec_lo, exec_lo, s73
	s_cbranch_execnz .LBB4_8335
.LBB4_7831:                             ;   in Loop: Header=BB4_7740 Depth=3
	s_or_b32 exec_lo, exec_lo, s73
	s_and_saveexec_b32 s73, s17
	s_cbranch_execz .LBB4_7833
.LBB4_7832:                             ;   in Loop: Header=BB4_7740 Depth=3
	v_bfe_u32 v97, v12, 16, 3
	v_bfe_u32 v77, v12, 19, 4
	v_lshlrev_b32_sdwa v78, v41, v12 dst_sel:DWORD dst_unused:UNUSED_PAD src0_sel:DWORD src1_sel:WORD_1
	v_ffbh_u32_e32 v98, v97
	v_cmp_eq_u32_e32 vcc_lo, 0, v77
	v_min_u32_e32 v98, 32, v98
	v_subrev_nc_u32_e32 v99, 28, v98
	v_sub_nc_u32_e32 v98, 29, v98
	v_lshlrev_b32_sdwa v99, v99, v12 dst_sel:DWORD dst_unused:UNUSED_PAD src0_sel:DWORD src1_sel:WORD_1
	v_cndmask_b32_e32 v98, v77, v98, vcc_lo
	v_and_b32_e32 v99, 7, v99
	v_lshl_add_u32 v98, v98, 23, 0x3b800000
	v_cndmask_b32_e32 v97, v97, v99, vcc_lo
	v_and_b32_e32 v99, 0x80000000, v78
	v_lshlrev_b32_e32 v97, 20, v97
	v_or3_b32 v97, v99, v98, v97
.LBB4_7833:                             ;   in Loop: Header=BB4_7740 Depth=3
	s_or_b32 exec_lo, exec_lo, s73
	v_and_b32_sdwa v99, v8, v40 dst_sel:DWORD dst_unused:UNUSED_PAD src0_sel:WORD_1 src1_sel:DWORD
	s_mov_b32 s17, 0
	s_mov_b32 s73, exec_lo
	v_cmpx_lt_i16_e32 0x7f, v99
	s_xor_b32 s73, exec_lo, s73
	s_cbranch_execz .LBB4_8336
; %bb.7834:                             ;   in Loop: Header=BB4_7740 Depth=3
	s_mov_b32 s17, -1
	s_mov_b32 s74, exec_lo
	v_cmpx_eq_u16_e32 0x80, v99
; %bb.7835:                             ;   in Loop: Header=BB4_7740 Depth=3
	s_xor_b32 s17, exec_lo, -1
; %bb.7836:                             ;   in Loop: Header=BB4_7740 Depth=3
	s_or_b32 exec_lo, exec_lo, s74
	s_and_b32 s17, s17, exec_lo
                                        ; implicit-def: $vgpr99
	s_or_saveexec_b32 s73, s73
	v_mov_b32_e32 v98, 0x7f800001
	s_xor_b32 exec_lo, exec_lo, s73
	s_cbranch_execnz .LBB4_8337
.LBB4_7837:                             ;   in Loop: Header=BB4_7740 Depth=3
	s_or_b32 exec_lo, exec_lo, s73
	s_and_saveexec_b32 s73, s17
.LBB4_7838:                             ;   in Loop: Header=BB4_7740 Depth=3
	v_mov_b32_e32 v98, v96
.LBB4_7839:                             ;   in Loop: Header=BB4_7740 Depth=3
	s_or_b32 exec_lo, exec_lo, s73
	v_max_f32_e32 v96, v98, v98
	v_max_f32_e32 v97, v97, v97
	v_min_f32_e32 v97, v97, v96
.LBB4_7840:                             ;   in Loop: Header=BB4_7740 Depth=3
	v_and_b32_e32 v96, 0x7f800000, v97
	v_cmp_ne_u32_e32 vcc_lo, 0x7f800000, v96
	v_mov_b32_e32 v96, 0x80
	s_and_saveexec_b32 s73, vcc_lo
	s_cbranch_execz .LBB4_7848
; %bb.7841:                             ;   in Loop: Header=BB4_7740 Depth=3
	v_mov_b32_e32 v96, 0
	s_mov_b32 s74, exec_lo
	v_cmpx_ne_u32_e32 0, v97
	s_cbranch_execz .LBB4_7847
; %bb.7842:                             ;   in Loop: Header=BB4_7740 Depth=3
	v_bfe_u32 v96, v97, 23, 8
	v_and_b32_e32 v98, 0x7fffff, v97
	v_sub_nc_u32_e32 v99, 0x78, v96
	v_cmp_gt_u32_e32 vcc_lo, 0x79, v96
	v_or_b32_e32 v77, 0x800000, v98
	v_cndmask_b32_e32 v99, 0, v99, vcc_lo
	v_cmp_eq_u32_e32 vcc_lo, 0, v96
	v_add_nc_u32_e32 v96, 0xffffff89, v96
	v_cndmask_b32_e64 v99, v99, 0x77, vcc_lo
	v_cndmask_b32_e32 v98, v77, v98, vcc_lo
	v_cndmask_b32_e64 v96, v96, 0xffffff8a, vcc_lo
	v_lshl_add_u32 v77, 0x100000, v99, -1
	v_lshrrev_b32_e32 v78, v99, v98
	v_lshlrev_b32_e64 v88, v99, 0x80000
	v_add_nc_u32_e32 v99, v99, v96
	v_and_b32_e32 v98, v77, v98
	v_bfe_u32 v79, v78, 20, 1
	v_cmp_eq_u32_e64 s17, v98, v88
	v_add_nc_u32_e32 v77, -1, v79
	v_cndmask_b32_e64 v98, 0, v77, s17
	v_lshrrev_b32_e32 v77, 23, v78
	s_mov_b32 s17, exec_lo
	v_add_nc_u32_e32 v98, v98, v78
	v_xor_b32_e32 v77, 1, v77
	v_and_b32_e32 v96, 0xfffff, v98
	v_add_nc_u32_e32 v98, v96, v78
                                        ; implicit-def: $vgpr96
	v_cmpx_ne_u32_e64 v99, v77
	s_xor_b32 s17, exec_lo, s17
; %bb.7843:                             ;   in Loop: Header=BB4_7740 Depth=3
	v_cmp_lt_u32_e32 vcc_lo, 0xffffff, v98
	v_sub_nc_u32_e32 v96, v99, v77
	v_cndmask_b32_e64 v99, 0, 1, vcc_lo
	v_add_co_ci_u32_e64 v96, null, 0, v96, vcc_lo
	v_lshrrev_b32_e32 v98, v99, v98
; %bb.7844:                             ;   in Loop: Header=BB4_7740 Depth=3
	s_andn2_saveexec_b32 s17, s17
; %bb.7845:                             ;   in Loop: Header=BB4_7740 Depth=3
	v_bfe_u32 v96, v98, 23, 1
; %bb.7846:                             ;   in Loop: Header=BB4_7740 Depth=3
	s_or_b32 exec_lo, exec_lo, s17
	v_lshrrev_b32_e32 v98, 20, v98
	v_min_i32_e32 v99, 15, v96
	v_cmp_gt_i32_e32 vcc_lo, 16, v96
	v_and_b32_sdwa v97, v97, v118 dst_sel:DWORD dst_unused:UNUSED_PAD src0_sel:BYTE_3 src1_sel:DWORD
	v_lshlrev_b32_e32 v99, 3, v99
	v_cndmask_b32_e32 v98, 7, v98, vcc_lo
	v_and_b32_e32 v99, 0xf8, v99
	v_and_b32_e32 v77, 7, v98
	v_or_b32_e32 v96, v96, v98
	v_or3_b32 v97, v99, v97, v77
	v_cmp_ne_u32_e32 vcc_lo, 0, v96
	v_cndmask_b32_e32 v96, 0, v97, vcc_lo
.LBB4_7847:                             ;   in Loop: Header=BB4_7740 Depth=3
	s_or_b32 exec_lo, exec_lo, s74
.LBB4_7848:                             ;   in Loop: Header=BB4_7740 Depth=3
	s_or_b32 exec_lo, exec_lo, s73
	v_bfe_u32 v97, v8, 24, 3
	v_bfe_u32 v77, v8, 27, 4
	s_mov_b32 s17, -1
	v_ffbh_u32_e32 v98, v97
	v_cmp_eq_u32_e32 vcc_lo, 0, v77
	v_min_u32_e32 v98, 32, v98
	v_subrev_nc_u32_e32 v99, 28, v98
	v_sub_nc_u32_e32 v98, 29, v98
	v_lshlrev_b32_sdwa v99, v99, v8 dst_sel:DWORD dst_unused:UNUSED_PAD src0_sel:DWORD src1_sel:BYTE_3
	v_cndmask_b32_e32 v98, v77, v98, vcc_lo
	v_and_b32_e32 v99, 7, v99
	v_lshl_add_u32 v98, v98, 23, 0x3b800000
	v_cndmask_b32_e32 v97, v97, v99, vcc_lo
	v_and_b32_e32 v99, 0x80000000, v8
	s_and_b32 vcc_lo, exec_lo, s23
	v_lshlrev_b32_e32 v97, 20, v97
	v_or3_b32 v97, v99, v98, v97
                                        ; implicit-def: $vgpr98
	s_cbranch_vccz .LBB4_7862
; %bb.7849:                             ;   in Loop: Header=BB4_7740 Depth=3
	s_waitcnt vmcnt(0)
	v_cmp_gt_i16_sdwa s73, v12, v117 src0_sel:BYTE_3 src1_sel:DWORD
	s_mov_b32 s17, 0
	s_and_saveexec_b32 s74, s73
	s_xor_b32 s73, exec_lo, s74
	s_cbranch_execz .LBB4_8338
; %bb.7850:                             ;   in Loop: Header=BB4_7740 Depth=3
	v_cmp_eq_u16_sdwa s75, v12, v118 src0_sel:BYTE_3 src1_sel:DWORD
	s_mov_b32 s17, -1
	s_and_saveexec_b32 s74, s75
; %bb.7851:                             ;   in Loop: Header=BB4_7740 Depth=3
	s_xor_b32 s17, exec_lo, -1
; %bb.7852:                             ;   in Loop: Header=BB4_7740 Depth=3
	s_or_b32 exec_lo, exec_lo, s74
	s_and_b32 s17, s17, exec_lo
	s_or_saveexec_b32 s73, s73
	v_mov_b32_e32 v98, 0x7f800001
	s_xor_b32 exec_lo, exec_lo, s73
	s_cbranch_execnz .LBB4_8339
.LBB4_7853:                             ;   in Loop: Header=BB4_7740 Depth=3
	s_or_b32 exec_lo, exec_lo, s73
	s_and_saveexec_b32 s73, s17
	s_cbranch_execz .LBB4_7855
.LBB4_7854:                             ;   in Loop: Header=BB4_7740 Depth=3
	v_bfe_u32 v98, v12, 24, 3
	v_bfe_u32 v78, v12, 27, 4
	v_ffbh_u32_e32 v99, v98
	v_cmp_eq_u32_e32 vcc_lo, 0, v78
	v_min_u32_e32 v99, 32, v99
	v_subrev_nc_u32_e32 v77, 28, v99
	v_sub_nc_u32_e32 v99, 29, v99
	v_lshlrev_b32_sdwa v77, v77, v12 dst_sel:DWORD dst_unused:UNUSED_PAD src0_sel:DWORD src1_sel:BYTE_3
	v_cndmask_b32_e32 v99, v78, v99, vcc_lo
	v_and_b32_e32 v77, 7, v77
	v_lshl_add_u32 v99, v99, 23, 0x3b800000
	v_cndmask_b32_e32 v98, v98, v77, vcc_lo
	v_and_b32_e32 v77, 0x80000000, v12
	v_lshlrev_b32_e32 v98, 20, v98
	v_or3_b32 v98, v77, v99, v98
.LBB4_7855:                             ;   in Loop: Header=BB4_7740 Depth=3
	s_or_b32 exec_lo, exec_lo, s73
	v_cmp_gt_i16_sdwa s73, v8, v117 src0_sel:BYTE_3 src1_sel:DWORD
	s_mov_b32 s17, 0
	s_and_saveexec_b32 s74, s73
	s_xor_b32 s73, exec_lo, s74
	s_cbranch_execz .LBB4_8340
; %bb.7856:                             ;   in Loop: Header=BB4_7740 Depth=3
	v_cmp_eq_u16_sdwa s75, v8, v118 src0_sel:BYTE_3 src1_sel:DWORD
	s_mov_b32 s17, -1
	s_and_saveexec_b32 s74, s75
; %bb.7857:                             ;   in Loop: Header=BB4_7740 Depth=3
	s_xor_b32 s17, exec_lo, -1
; %bb.7858:                             ;   in Loop: Header=BB4_7740 Depth=3
	s_or_b32 exec_lo, exec_lo, s74
	s_and_b32 s17, s17, exec_lo
	s_or_saveexec_b32 s73, s73
	v_mov_b32_e32 v99, 0x7f800001
	s_xor_b32 exec_lo, exec_lo, s73
	s_cbranch_execnz .LBB4_8341
.LBB4_7859:                             ;   in Loop: Header=BB4_7740 Depth=3
	s_or_b32 exec_lo, exec_lo, s73
	s_and_saveexec_b32 s73, s17
.LBB4_7860:                             ;   in Loop: Header=BB4_7740 Depth=3
	v_mov_b32_e32 v99, v97
.LBB4_7861:                             ;   in Loop: Header=BB4_7740 Depth=3
	s_or_b32 exec_lo, exec_lo, s73
	v_max_f32_e32 v99, v99, v99
	v_max_f32_e32 v98, v98, v98
	s_mov_b32 s17, 0
	v_max_f32_e32 v98, v98, v99
.LBB4_7862:                             ;   in Loop: Header=BB4_7740 Depth=3
	s_and_b32 vcc_lo, exec_lo, s17
	s_cbranch_vccz .LBB4_7876
; %bb.7863:                             ;   in Loop: Header=BB4_7740 Depth=3
	s_waitcnt vmcnt(0)
	v_cmp_gt_i16_sdwa s73, v12, v117 src0_sel:BYTE_3 src1_sel:DWORD
	s_mov_b32 s17, 0
	s_and_saveexec_b32 s74, s73
	s_xor_b32 s73, exec_lo, s74
	s_cbranch_execz .LBB4_8342
; %bb.7864:                             ;   in Loop: Header=BB4_7740 Depth=3
	v_cmp_eq_u16_sdwa s75, v12, v118 src0_sel:BYTE_3 src1_sel:DWORD
	s_mov_b32 s17, -1
	s_and_saveexec_b32 s74, s75
; %bb.7865:                             ;   in Loop: Header=BB4_7740 Depth=3
	s_xor_b32 s17, exec_lo, -1
; %bb.7866:                             ;   in Loop: Header=BB4_7740 Depth=3
	s_or_b32 exec_lo, exec_lo, s74
	s_and_b32 s17, s17, exec_lo
	s_or_saveexec_b32 s73, s73
	v_mov_b32_e32 v98, 0x7f800001
	s_xor_b32 exec_lo, exec_lo, s73
	s_cbranch_execnz .LBB4_8343
.LBB4_7867:                             ;   in Loop: Header=BB4_7740 Depth=3
	s_or_b32 exec_lo, exec_lo, s73
	s_and_saveexec_b32 s73, s17
	s_cbranch_execz .LBB4_7869
.LBB4_7868:                             ;   in Loop: Header=BB4_7740 Depth=3
	v_bfe_u32 v98, v12, 24, 3
	v_bfe_u32 v78, v12, 27, 4
	v_ffbh_u32_e32 v99, v98
	v_cmp_eq_u32_e32 vcc_lo, 0, v78
	v_min_u32_e32 v99, 32, v99
	v_subrev_nc_u32_e32 v77, 28, v99
	v_sub_nc_u32_e32 v99, 29, v99
	v_lshlrev_b32_sdwa v77, v77, v12 dst_sel:DWORD dst_unused:UNUSED_PAD src0_sel:DWORD src1_sel:BYTE_3
	v_cndmask_b32_e32 v99, v78, v99, vcc_lo
	v_and_b32_e32 v12, 0x80000000, v12
	v_and_b32_e32 v77, 7, v77
	v_lshl_add_u32 v99, v99, 23, 0x3b800000
	v_cndmask_b32_e32 v98, v98, v77, vcc_lo
	v_lshlrev_b32_e32 v98, 20, v98
	v_or3_b32 v98, v12, v99, v98
.LBB4_7869:                             ;   in Loop: Header=BB4_7740 Depth=3
	s_or_b32 exec_lo, exec_lo, s73
	v_cmp_gt_i16_sdwa s73, v8, v117 src0_sel:BYTE_3 src1_sel:DWORD
	s_mov_b32 s17, 0
	s_and_saveexec_b32 s74, s73
	s_xor_b32 s73, exec_lo, s74
	s_cbranch_execz .LBB4_8344
; %bb.7870:                             ;   in Loop: Header=BB4_7740 Depth=3
	v_cmp_eq_u16_sdwa s75, v8, v118 src0_sel:BYTE_3 src1_sel:DWORD
	s_mov_b32 s17, -1
	s_and_saveexec_b32 s74, s75
; %bb.7871:                             ;   in Loop: Header=BB4_7740 Depth=3
	s_xor_b32 s17, exec_lo, -1
; %bb.7872:                             ;   in Loop: Header=BB4_7740 Depth=3
	s_or_b32 exec_lo, exec_lo, s74
	s_and_b32 s17, s17, exec_lo
	s_or_saveexec_b32 s73, s73
	v_mov_b32_e32 v12, 0x7f800001
	s_xor_b32 exec_lo, exec_lo, s73
	s_cbranch_execnz .LBB4_8345
.LBB4_7873:                             ;   in Loop: Header=BB4_7740 Depth=3
	s_or_b32 exec_lo, exec_lo, s73
	s_and_saveexec_b32 s73, s17
.LBB4_7874:                             ;   in Loop: Header=BB4_7740 Depth=3
	v_mov_b32_e32 v12, v97
.LBB4_7875:                             ;   in Loop: Header=BB4_7740 Depth=3
	s_or_b32 exec_lo, exec_lo, s73
	v_max_f32_e32 v8, v12, v12
	v_max_f32_e32 v12, v98, v98
	v_min_f32_e32 v98, v12, v8
.LBB4_7876:                             ;   in Loop: Header=BB4_7740 Depth=3
	v_and_b32_e32 v8, 0x7f800000, v98
	s_waitcnt vmcnt(0)
	v_mov_b32_e32 v12, 0x8000
	s_mov_b32 s73, exec_lo
	v_cmpx_ne_u32_e32 0x7f800000, v8
	s_cbranch_execz .LBB4_7884
; %bb.7877:                             ;   in Loop: Header=BB4_7740 Depth=3
	v_mov_b32_e32 v12, 0
	s_mov_b32 s74, exec_lo
	v_cmpx_ne_u32_e32 0, v98
	s_cbranch_execz .LBB4_7883
; %bb.7878:                             ;   in Loop: Header=BB4_7740 Depth=3
	v_bfe_u32 v8, v98, 23, 8
	v_and_b32_e32 v12, 0x7fffff, v98
	v_sub_nc_u32_e32 v97, 0x78, v8
	v_cmp_gt_u32_e32 vcc_lo, 0x79, v8
	v_or_b32_e32 v99, 0x800000, v12
	v_cndmask_b32_e32 v97, 0, v97, vcc_lo
	v_cmp_eq_u32_e32 vcc_lo, 0, v8
	v_add_nc_u32_e32 v8, 0xffffff89, v8
	v_cndmask_b32_e64 v97, v97, 0x77, vcc_lo
	v_cndmask_b32_e32 v12, v99, v12, vcc_lo
	v_cndmask_b32_e64 v8, v8, 0xffffff8a, vcc_lo
	v_lshl_add_u32 v99, 0x100000, v97, -1
	v_lshrrev_b32_e32 v77, v97, v12
	v_lshlrev_b32_e64 v79, v97, 0x80000
	v_add_nc_u32_e32 v97, v97, v8
	v_and_b32_e32 v12, v99, v12
	v_bfe_u32 v78, v77, 20, 1
	v_cmp_eq_u32_e64 s17, v12, v79
	v_add_nc_u32_e32 v99, -1, v78
	v_cndmask_b32_e64 v12, 0, v99, s17
	v_lshrrev_b32_e32 v99, 23, v77
	s_mov_b32 s17, exec_lo
	v_add_nc_u32_e32 v12, v12, v77
	v_xor_b32_e32 v99, 1, v99
	v_and_b32_e32 v8, 0xfffff, v12
	v_add_nc_u32_e32 v12, v8, v77
                                        ; implicit-def: $vgpr8
	v_cmpx_ne_u32_e64 v97, v99
	s_xor_b32 s17, exec_lo, s17
; %bb.7879:                             ;   in Loop: Header=BB4_7740 Depth=3
	v_cmp_lt_u32_e32 vcc_lo, 0xffffff, v12
	v_sub_nc_u32_e32 v8, v97, v99
	v_cndmask_b32_e64 v97, 0, 1, vcc_lo
	v_add_co_ci_u32_e64 v8, null, 0, v8, vcc_lo
	v_lshrrev_b32_e32 v12, v97, v12
; %bb.7880:                             ;   in Loop: Header=BB4_7740 Depth=3
	s_andn2_saveexec_b32 s17, s17
; %bb.7881:                             ;   in Loop: Header=BB4_7740 Depth=3
	v_bfe_u32 v8, v12, 23, 1
; %bb.7882:                             ;   in Loop: Header=BB4_7740 Depth=3
	s_or_b32 exec_lo, exec_lo, s17
	v_lshrrev_b32_e32 v12, 20, v12
	v_min_i32_e32 v97, 15, v8
	v_cmp_gt_i32_e32 vcc_lo, 16, v8
	v_and_b32_sdwa v98, v98, v118 dst_sel:DWORD dst_unused:UNUSED_PAD src0_sel:BYTE_3 src1_sel:DWORD
	v_lshlrev_b32_e32 v97, 3, v97
	v_cndmask_b32_e32 v12, 7, v12, vcc_lo
	v_and_b32_e32 v97, 0xf8, v97
	v_and_b32_e32 v99, 7, v12
	v_or_b32_e32 v8, v8, v12
	v_or3_b32 v97, v98, v97, v99
	v_cmp_ne_u32_e32 vcc_lo, 0, v8
	v_lshlrev_b32_e32 v12, 8, v97
	v_cndmask_b32_e32 v12, 0, v12, vcc_lo
.LBB4_7883:                             ;   in Loop: Header=BB4_7740 Depth=3
	s_or_b32 exec_lo, exec_lo, s74
.LBB4_7884:                             ;   in Loop: Header=BB4_7740 Depth=3
	s_or_b32 exec_lo, exec_lo, s73
	v_and_b32_e32 v8, 7, v9
	v_bfe_u32 v99, v9, 3, 4
	v_lshlrev_b32_e32 v77, 24, v9
	s_mov_b32 s17, -1
	v_ffbh_u32_e32 v97, v8
	v_cmp_eq_u32_e32 vcc_lo, 0, v99
	v_min_u32_e32 v97, 32, v97
	v_subrev_nc_u32_e32 v98, 28, v97
	v_sub_nc_u32_e32 v97, 29, v97
	v_lshlrev_b32_e32 v98, v98, v9
	v_cndmask_b32_e32 v97, v99, v97, vcc_lo
	v_and_b32_e32 v98, 7, v98
	v_lshl_add_u32 v97, v97, 23, 0x3b800000
	v_cndmask_b32_e32 v8, v8, v98, vcc_lo
	v_and_b32_e32 v98, 0x80000000, v77
	s_and_b32 vcc_lo, exec_lo, s23
	v_lshlrev_b32_e32 v8, 20, v8
	v_or3_b32 v8, v98, v97, v8
                                        ; implicit-def: $vgpr98
	s_cbranch_vccz .LBB4_7898
; %bb.7885:                             ;   in Loop: Header=BB4_7740 Depth=3
	v_cmp_gt_i16_sdwa s73, v13, v117 src0_sel:BYTE_0 src1_sel:DWORD
	s_mov_b32 s17, 0
	s_and_saveexec_b32 s74, s73
	s_xor_b32 s73, exec_lo, s74
	s_cbranch_execz .LBB4_8346
; %bb.7886:                             ;   in Loop: Header=BB4_7740 Depth=3
	v_cmp_eq_u16_sdwa s75, v13, v118 src0_sel:BYTE_0 src1_sel:DWORD
	s_mov_b32 s17, -1
	s_and_saveexec_b32 s74, s75
; %bb.7887:                             ;   in Loop: Header=BB4_7740 Depth=3
	s_xor_b32 s17, exec_lo, -1
; %bb.7888:                             ;   in Loop: Header=BB4_7740 Depth=3
	s_or_b32 exec_lo, exec_lo, s74
	s_and_b32 s17, s17, exec_lo
	s_or_saveexec_b32 s73, s73
	v_mov_b32_e32 v97, 0x7f800001
	s_xor_b32 exec_lo, exec_lo, s73
	s_cbranch_execnz .LBB4_8347
.LBB4_7889:                             ;   in Loop: Header=BB4_7740 Depth=3
	s_or_b32 exec_lo, exec_lo, s73
	s_and_saveexec_b32 s73, s17
	s_cbranch_execz .LBB4_7891
.LBB4_7890:                             ;   in Loop: Header=BB4_7740 Depth=3
	v_and_b32_e32 v97, 7, v13
	v_bfe_u32 v77, v13, 3, 4
	v_lshlrev_b32_e32 v78, 24, v13
	v_ffbh_u32_e32 v98, v97
	v_cmp_eq_u32_e32 vcc_lo, 0, v77
	v_min_u32_e32 v98, 32, v98
	v_subrev_nc_u32_e32 v99, 28, v98
	v_sub_nc_u32_e32 v98, 29, v98
	v_lshlrev_b32_e32 v99, v99, v13
	v_cndmask_b32_e32 v98, v77, v98, vcc_lo
	v_and_b32_e32 v99, 7, v99
	v_lshl_add_u32 v98, v98, 23, 0x3b800000
	v_cndmask_b32_e32 v97, v97, v99, vcc_lo
	v_and_b32_e32 v99, 0x80000000, v78
	v_lshlrev_b32_e32 v97, 20, v97
	v_or3_b32 v97, v99, v98, v97
.LBB4_7891:                             ;   in Loop: Header=BB4_7740 Depth=3
	s_or_b32 exec_lo, exec_lo, s73
	v_cmp_gt_i16_sdwa s73, v9, v117 src0_sel:BYTE_0 src1_sel:DWORD
	s_mov_b32 s17, 0
	s_and_saveexec_b32 s74, s73
	s_xor_b32 s73, exec_lo, s74
	s_cbranch_execz .LBB4_8348
; %bb.7892:                             ;   in Loop: Header=BB4_7740 Depth=3
	v_cmp_eq_u16_sdwa s75, v9, v118 src0_sel:BYTE_0 src1_sel:DWORD
	s_mov_b32 s17, -1
	s_and_saveexec_b32 s74, s75
; %bb.7893:                             ;   in Loop: Header=BB4_7740 Depth=3
	s_xor_b32 s17, exec_lo, -1
; %bb.7894:                             ;   in Loop: Header=BB4_7740 Depth=3
	s_or_b32 exec_lo, exec_lo, s74
	s_and_b32 s17, s17, exec_lo
	s_or_saveexec_b32 s73, s73
	v_mov_b32_e32 v98, 0x7f800001
	s_xor_b32 exec_lo, exec_lo, s73
	s_cbranch_execnz .LBB4_8349
.LBB4_7895:                             ;   in Loop: Header=BB4_7740 Depth=3
	s_or_b32 exec_lo, exec_lo, s73
	s_and_saveexec_b32 s73, s17
.LBB4_7896:                             ;   in Loop: Header=BB4_7740 Depth=3
	v_mov_b32_e32 v98, v8
.LBB4_7897:                             ;   in Loop: Header=BB4_7740 Depth=3
	s_or_b32 exec_lo, exec_lo, s73
	v_max_f32_e32 v98, v98, v98
	v_max_f32_e32 v97, v97, v97
	s_mov_b32 s17, 0
	v_max_f32_e32 v98, v97, v98
.LBB4_7898:                             ;   in Loop: Header=BB4_7740 Depth=3
	s_and_b32 vcc_lo, exec_lo, s17
	s_cbranch_vccz .LBB4_7912
; %bb.7899:                             ;   in Loop: Header=BB4_7740 Depth=3
	v_cmp_gt_i16_sdwa s73, v13, v117 src0_sel:BYTE_0 src1_sel:DWORD
	s_mov_b32 s17, 0
	s_and_saveexec_b32 s74, s73
	s_xor_b32 s73, exec_lo, s74
	s_cbranch_execz .LBB4_8350
; %bb.7900:                             ;   in Loop: Header=BB4_7740 Depth=3
	v_cmp_eq_u16_sdwa s75, v13, v118 src0_sel:BYTE_0 src1_sel:DWORD
	s_mov_b32 s17, -1
	s_and_saveexec_b32 s74, s75
; %bb.7901:                             ;   in Loop: Header=BB4_7740 Depth=3
	s_xor_b32 s17, exec_lo, -1
; %bb.7902:                             ;   in Loop: Header=BB4_7740 Depth=3
	s_or_b32 exec_lo, exec_lo, s74
	s_and_b32 s17, s17, exec_lo
	s_or_saveexec_b32 s73, s73
	v_mov_b32_e32 v97, 0x7f800001
	s_xor_b32 exec_lo, exec_lo, s73
	s_cbranch_execnz .LBB4_8351
.LBB4_7903:                             ;   in Loop: Header=BB4_7740 Depth=3
	s_or_b32 exec_lo, exec_lo, s73
	s_and_saveexec_b32 s73, s17
	s_cbranch_execz .LBB4_7905
.LBB4_7904:                             ;   in Loop: Header=BB4_7740 Depth=3
	v_and_b32_e32 v97, 7, v13
	v_bfe_u32 v77, v13, 3, 4
	v_lshlrev_b32_e32 v78, 24, v13
	v_ffbh_u32_e32 v98, v97
	v_cmp_eq_u32_e32 vcc_lo, 0, v77
	v_min_u32_e32 v98, 32, v98
	v_subrev_nc_u32_e32 v99, 28, v98
	v_sub_nc_u32_e32 v98, 29, v98
	v_lshlrev_b32_e32 v99, v99, v13
	v_cndmask_b32_e32 v98, v77, v98, vcc_lo
	v_and_b32_e32 v99, 7, v99
	v_lshl_add_u32 v98, v98, 23, 0x3b800000
	v_cndmask_b32_e32 v97, v97, v99, vcc_lo
	v_and_b32_e32 v99, 0x80000000, v78
	v_lshlrev_b32_e32 v97, 20, v97
	v_or3_b32 v97, v99, v98, v97
.LBB4_7905:                             ;   in Loop: Header=BB4_7740 Depth=3
	s_or_b32 exec_lo, exec_lo, s73
	v_cmp_gt_i16_sdwa s73, v9, v117 src0_sel:BYTE_0 src1_sel:DWORD
	s_mov_b32 s17, 0
	s_and_saveexec_b32 s74, s73
	s_xor_b32 s73, exec_lo, s74
	s_cbranch_execz .LBB4_8352
; %bb.7906:                             ;   in Loop: Header=BB4_7740 Depth=3
	v_cmp_eq_u16_sdwa s75, v9, v118 src0_sel:BYTE_0 src1_sel:DWORD
	s_mov_b32 s17, -1
	s_and_saveexec_b32 s74, s75
; %bb.7907:                             ;   in Loop: Header=BB4_7740 Depth=3
	s_xor_b32 s17, exec_lo, -1
; %bb.7908:                             ;   in Loop: Header=BB4_7740 Depth=3
	s_or_b32 exec_lo, exec_lo, s74
	s_and_b32 s17, s17, exec_lo
	s_or_saveexec_b32 s73, s73
	v_mov_b32_e32 v98, 0x7f800001
	s_xor_b32 exec_lo, exec_lo, s73
	s_cbranch_execnz .LBB4_8353
.LBB4_7909:                             ;   in Loop: Header=BB4_7740 Depth=3
	s_or_b32 exec_lo, exec_lo, s73
	s_and_saveexec_b32 s73, s17
.LBB4_7910:                             ;   in Loop: Header=BB4_7740 Depth=3
	v_mov_b32_e32 v98, v8
.LBB4_7911:                             ;   in Loop: Header=BB4_7740 Depth=3
	s_or_b32 exec_lo, exec_lo, s73
	v_max_f32_e32 v8, v98, v98
	v_max_f32_e32 v97, v97, v97
	v_min_f32_e32 v98, v97, v8
.LBB4_7912:                             ;   in Loop: Header=BB4_7740 Depth=3
	v_and_b32_e32 v8, 0x7f800000, v98
	v_mov_b32_e32 v97, 0x80
	s_mov_b32 s73, exec_lo
	v_cmpx_ne_u32_e32 0x7f800000, v8
	s_cbranch_execz .LBB4_7920
; %bb.7913:                             ;   in Loop: Header=BB4_7740 Depth=3
	v_mov_b32_e32 v97, 0
	s_mov_b32 s74, exec_lo
	v_cmpx_ne_u32_e32 0, v98
	s_cbranch_execz .LBB4_7919
; %bb.7914:                             ;   in Loop: Header=BB4_7740 Depth=3
	v_bfe_u32 v8, v98, 23, 8
	v_and_b32_e32 v97, 0x7fffff, v98
	v_sub_nc_u32_e32 v99, 0x78, v8
	v_cmp_gt_u32_e32 vcc_lo, 0x79, v8
	v_or_b32_e32 v77, 0x800000, v97
	v_cndmask_b32_e32 v99, 0, v99, vcc_lo
	v_cmp_eq_u32_e32 vcc_lo, 0, v8
	v_add_nc_u32_e32 v8, 0xffffff89, v8
	v_cndmask_b32_e64 v99, v99, 0x77, vcc_lo
	v_cndmask_b32_e32 v97, v77, v97, vcc_lo
	v_cndmask_b32_e64 v8, v8, 0xffffff8a, vcc_lo
	v_lshl_add_u32 v77, 0x100000, v99, -1
	v_lshrrev_b32_e32 v78, v99, v97
	v_lshlrev_b32_e64 v88, v99, 0x80000
	v_add_nc_u32_e32 v99, v99, v8
	v_and_b32_e32 v97, v77, v97
	v_bfe_u32 v79, v78, 20, 1
	v_cmp_eq_u32_e64 s17, v97, v88
	v_add_nc_u32_e32 v77, -1, v79
	v_cndmask_b32_e64 v97, 0, v77, s17
	v_lshrrev_b32_e32 v77, 23, v78
	s_mov_b32 s17, exec_lo
	v_add_nc_u32_e32 v97, v97, v78
	v_xor_b32_e32 v77, 1, v77
	v_and_b32_e32 v8, 0xfffff, v97
	v_add_nc_u32_e32 v97, v8, v78
                                        ; implicit-def: $vgpr8
	v_cmpx_ne_u32_e64 v99, v77
	s_xor_b32 s17, exec_lo, s17
; %bb.7915:                             ;   in Loop: Header=BB4_7740 Depth=3
	v_cmp_lt_u32_e32 vcc_lo, 0xffffff, v97
	v_sub_nc_u32_e32 v8, v99, v77
	v_cndmask_b32_e64 v99, 0, 1, vcc_lo
	v_add_co_ci_u32_e64 v8, null, 0, v8, vcc_lo
	v_lshrrev_b32_e32 v97, v99, v97
; %bb.7916:                             ;   in Loop: Header=BB4_7740 Depth=3
	s_andn2_saveexec_b32 s17, s17
; %bb.7917:                             ;   in Loop: Header=BB4_7740 Depth=3
	v_bfe_u32 v8, v97, 23, 1
; %bb.7918:                             ;   in Loop: Header=BB4_7740 Depth=3
	s_or_b32 exec_lo, exec_lo, s17
	v_lshrrev_b32_e32 v97, 20, v97
	v_min_i32_e32 v99, 15, v8
	v_cmp_gt_i32_e32 vcc_lo, 16, v8
	v_and_b32_sdwa v98, v98, v118 dst_sel:DWORD dst_unused:UNUSED_PAD src0_sel:BYTE_3 src1_sel:DWORD
	v_lshlrev_b32_e32 v99, 3, v99
	v_cndmask_b32_e32 v97, 7, v97, vcc_lo
	v_and_b32_e32 v99, 0xf8, v99
	v_and_b32_e32 v77, 7, v97
	v_or_b32_e32 v8, v8, v97
	v_or3_b32 v97, v99, v98, v77
	v_cmp_ne_u32_e32 vcc_lo, 0, v8
	v_cndmask_b32_e32 v97, 0, v97, vcc_lo
.LBB4_7919:                             ;   in Loop: Header=BB4_7740 Depth=3
	s_or_b32 exec_lo, exec_lo, s74
.LBB4_7920:                             ;   in Loop: Header=BB4_7740 Depth=3
	s_or_b32 exec_lo, exec_lo, s73
	v_and_b32_sdwa v8, v119, v9 dst_sel:DWORD dst_unused:UNUSED_PAD src0_sel:DWORD src1_sel:BYTE_1
	s_mov_b32 s17, -1
	v_and_b32_e32 v98, 7, v8
	v_bfe_u32 v78, v8, 3, 4
	v_ffbh_u32_e32 v99, v98
	v_cmp_eq_u32_e32 vcc_lo, 0, v78
	v_min_u32_e32 v99, 32, v99
	v_subrev_nc_u32_e32 v77, 28, v99
	v_sub_nc_u32_e32 v99, 29, v99
	v_lshlrev_b32_e32 v8, v77, v8
	v_lshlrev_b32_sdwa v77, v41, v9 dst_sel:DWORD dst_unused:UNUSED_PAD src0_sel:DWORD src1_sel:BYTE_1
	v_cndmask_b32_e32 v99, v78, v99, vcc_lo
	v_and_b32_e32 v8, 7, v8
	v_lshl_add_u32 v99, v99, 23, 0x3b800000
	v_cndmask_b32_e32 v8, v98, v8, vcc_lo
	v_and_b32_e32 v98, 0x80000000, v77
	s_and_b32 vcc_lo, exec_lo, s23
	v_lshlrev_b32_e32 v8, 20, v8
	v_or3_b32 v8, v98, v99, v8
                                        ; implicit-def: $vgpr99
	s_cbranch_vccz .LBB4_7934
; %bb.7921:                             ;   in Loop: Header=BB4_7740 Depth=3
	v_cmp_gt_i16_sdwa s73, v13, v117 src0_sel:BYTE_1 src1_sel:DWORD
	s_mov_b32 s17, 0
	s_and_saveexec_b32 s74, s73
	s_xor_b32 s73, exec_lo, s74
	s_cbranch_execz .LBB4_8354
; %bb.7922:                             ;   in Loop: Header=BB4_7740 Depth=3
	v_cmp_eq_u16_sdwa s75, v13, v118 src0_sel:BYTE_1 src1_sel:DWORD
	s_mov_b32 s17, -1
	s_and_saveexec_b32 s74, s75
; %bb.7923:                             ;   in Loop: Header=BB4_7740 Depth=3
	s_xor_b32 s17, exec_lo, -1
; %bb.7924:                             ;   in Loop: Header=BB4_7740 Depth=3
	s_or_b32 exec_lo, exec_lo, s74
	s_and_b32 s17, s17, exec_lo
	s_or_saveexec_b32 s73, s73
	v_mov_b32_e32 v98, 0x7f800001
	s_xor_b32 exec_lo, exec_lo, s73
	s_cbranch_execnz .LBB4_8355
.LBB4_7925:                             ;   in Loop: Header=BB4_7740 Depth=3
	s_or_b32 exec_lo, exec_lo, s73
	s_and_saveexec_b32 s73, s17
	s_cbranch_execz .LBB4_7927
.LBB4_7926:                             ;   in Loop: Header=BB4_7740 Depth=3
	v_and_b32_sdwa v98, v119, v13 dst_sel:DWORD dst_unused:UNUSED_PAD src0_sel:DWORD src1_sel:BYTE_1
	v_and_b32_e32 v99, 7, v98
	v_bfe_u32 v79, v98, 3, 4
	v_ffbh_u32_e32 v77, v99
	v_cmp_eq_u32_e32 vcc_lo, 0, v79
	v_min_u32_e32 v77, 32, v77
	v_subrev_nc_u32_e32 v78, 28, v77
	v_sub_nc_u32_e32 v77, 29, v77
	v_lshlrev_b32_e32 v98, v78, v98
	v_lshlrev_b32_e32 v78, 16, v13
	v_cndmask_b32_e32 v77, v79, v77, vcc_lo
	v_and_b32_e32 v98, 7, v98
	v_lshl_add_u32 v77, v77, 23, 0x3b800000
	v_cndmask_b32_e32 v98, v99, v98, vcc_lo
	v_and_b32_e32 v99, 0x80000000, v78
	v_lshlrev_b32_e32 v98, 20, v98
	v_or3_b32 v98, v99, v77, v98
.LBB4_7927:                             ;   in Loop: Header=BB4_7740 Depth=3
	s_or_b32 exec_lo, exec_lo, s73
	v_cmp_gt_i16_sdwa s73, v9, v117 src0_sel:BYTE_1 src1_sel:DWORD
	s_mov_b32 s17, 0
	s_and_saveexec_b32 s74, s73
	s_xor_b32 s73, exec_lo, s74
	s_cbranch_execz .LBB4_8356
; %bb.7928:                             ;   in Loop: Header=BB4_7740 Depth=3
	v_cmp_eq_u16_sdwa s75, v9, v118 src0_sel:BYTE_1 src1_sel:DWORD
	s_mov_b32 s17, -1
	s_and_saveexec_b32 s74, s75
; %bb.7929:                             ;   in Loop: Header=BB4_7740 Depth=3
	s_xor_b32 s17, exec_lo, -1
; %bb.7930:                             ;   in Loop: Header=BB4_7740 Depth=3
	s_or_b32 exec_lo, exec_lo, s74
	s_and_b32 s17, s17, exec_lo
	s_or_saveexec_b32 s73, s73
	v_mov_b32_e32 v99, 0x7f800001
	s_xor_b32 exec_lo, exec_lo, s73
	s_cbranch_execnz .LBB4_8357
.LBB4_7931:                             ;   in Loop: Header=BB4_7740 Depth=3
	s_or_b32 exec_lo, exec_lo, s73
	s_and_saveexec_b32 s73, s17
.LBB4_7932:                             ;   in Loop: Header=BB4_7740 Depth=3
	v_mov_b32_e32 v99, v8
.LBB4_7933:                             ;   in Loop: Header=BB4_7740 Depth=3
	s_or_b32 exec_lo, exec_lo, s73
	v_max_f32_e32 v99, v99, v99
	v_max_f32_e32 v98, v98, v98
	s_mov_b32 s17, 0
	v_max_f32_e32 v99, v98, v99
.LBB4_7934:                             ;   in Loop: Header=BB4_7740 Depth=3
	s_and_b32 vcc_lo, exec_lo, s17
	s_cbranch_vccz .LBB4_7948
; %bb.7935:                             ;   in Loop: Header=BB4_7740 Depth=3
	v_cmp_gt_i16_sdwa s73, v13, v117 src0_sel:BYTE_1 src1_sel:DWORD
	s_mov_b32 s17, 0
	s_and_saveexec_b32 s74, s73
	s_xor_b32 s73, exec_lo, s74
	s_cbranch_execz .LBB4_8358
; %bb.7936:                             ;   in Loop: Header=BB4_7740 Depth=3
	v_cmp_eq_u16_sdwa s75, v13, v118 src0_sel:BYTE_1 src1_sel:DWORD
	s_mov_b32 s17, -1
	s_and_saveexec_b32 s74, s75
; %bb.7937:                             ;   in Loop: Header=BB4_7740 Depth=3
	s_xor_b32 s17, exec_lo, -1
; %bb.7938:                             ;   in Loop: Header=BB4_7740 Depth=3
	s_or_b32 exec_lo, exec_lo, s74
	s_and_b32 s17, s17, exec_lo
	s_or_saveexec_b32 s73, s73
	v_mov_b32_e32 v98, 0x7f800001
	s_xor_b32 exec_lo, exec_lo, s73
	s_cbranch_execnz .LBB4_8359
.LBB4_7939:                             ;   in Loop: Header=BB4_7740 Depth=3
	s_or_b32 exec_lo, exec_lo, s73
	s_and_saveexec_b32 s73, s17
	s_cbranch_execz .LBB4_7941
.LBB4_7940:                             ;   in Loop: Header=BB4_7740 Depth=3
	v_and_b32_sdwa v98, v119, v13 dst_sel:DWORD dst_unused:UNUSED_PAD src0_sel:DWORD src1_sel:BYTE_1
	v_and_b32_e32 v99, 7, v98
	v_bfe_u32 v79, v98, 3, 4
	v_ffbh_u32_e32 v77, v99
	v_cmp_eq_u32_e32 vcc_lo, 0, v79
	v_min_u32_e32 v77, 32, v77
	v_subrev_nc_u32_e32 v78, 28, v77
	v_sub_nc_u32_e32 v77, 29, v77
	v_lshlrev_b32_e32 v98, v78, v98
	v_lshlrev_b32_e32 v78, 16, v13
	v_cndmask_b32_e32 v77, v79, v77, vcc_lo
	v_and_b32_e32 v98, 7, v98
	v_lshl_add_u32 v77, v77, 23, 0x3b800000
	v_cndmask_b32_e32 v98, v99, v98, vcc_lo
	v_and_b32_e32 v99, 0x80000000, v78
	v_lshlrev_b32_e32 v98, 20, v98
	v_or3_b32 v98, v99, v77, v98
.LBB4_7941:                             ;   in Loop: Header=BB4_7740 Depth=3
	s_or_b32 exec_lo, exec_lo, s73
	v_cmp_gt_i16_sdwa s73, v9, v117 src0_sel:BYTE_1 src1_sel:DWORD
	s_mov_b32 s17, 0
	s_and_saveexec_b32 s74, s73
	s_xor_b32 s73, exec_lo, s74
	s_cbranch_execz .LBB4_8360
; %bb.7942:                             ;   in Loop: Header=BB4_7740 Depth=3
	v_cmp_eq_u16_sdwa s75, v9, v118 src0_sel:BYTE_1 src1_sel:DWORD
	s_mov_b32 s17, -1
	s_and_saveexec_b32 s74, s75
; %bb.7943:                             ;   in Loop: Header=BB4_7740 Depth=3
	s_xor_b32 s17, exec_lo, -1
; %bb.7944:                             ;   in Loop: Header=BB4_7740 Depth=3
	s_or_b32 exec_lo, exec_lo, s74
	s_and_b32 s17, s17, exec_lo
	s_or_saveexec_b32 s73, s73
	v_mov_b32_e32 v99, 0x7f800001
	s_xor_b32 exec_lo, exec_lo, s73
	s_cbranch_execnz .LBB4_8361
.LBB4_7945:                             ;   in Loop: Header=BB4_7740 Depth=3
	s_or_b32 exec_lo, exec_lo, s73
	s_and_saveexec_b32 s73, s17
.LBB4_7946:                             ;   in Loop: Header=BB4_7740 Depth=3
	v_mov_b32_e32 v99, v8
.LBB4_7947:                             ;   in Loop: Header=BB4_7740 Depth=3
	s_or_b32 exec_lo, exec_lo, s73
	v_max_f32_e32 v8, v99, v99
	v_max_f32_e32 v98, v98, v98
	v_min_f32_e32 v99, v98, v8
.LBB4_7948:                             ;   in Loop: Header=BB4_7740 Depth=3
	v_and_b32_e32 v8, 0x7f800000, v99
	v_mov_b32_e32 v98, 0x8000
	s_mov_b32 s73, exec_lo
	v_cmpx_ne_u32_e32 0x7f800000, v8
	s_cbranch_execz .LBB4_7956
; %bb.7949:                             ;   in Loop: Header=BB4_7740 Depth=3
	v_mov_b32_e32 v98, 0
	s_mov_b32 s74, exec_lo
	v_cmpx_ne_u32_e32 0, v99
	s_cbranch_execz .LBB4_7955
; %bb.7950:                             ;   in Loop: Header=BB4_7740 Depth=3
	v_bfe_u32 v8, v99, 23, 8
	v_and_b32_e32 v98, 0x7fffff, v99
	v_sub_nc_u32_e32 v77, 0x78, v8
	v_cmp_gt_u32_e32 vcc_lo, 0x79, v8
	v_or_b32_e32 v78, 0x800000, v98
	v_cndmask_b32_e32 v77, 0, v77, vcc_lo
	v_cmp_eq_u32_e32 vcc_lo, 0, v8
	v_add_nc_u32_e32 v8, 0xffffff89, v8
	v_cndmask_b32_e64 v77, v77, 0x77, vcc_lo
	v_cndmask_b32_e32 v98, v78, v98, vcc_lo
	v_cndmask_b32_e64 v8, v8, 0xffffff8a, vcc_lo
	v_lshl_add_u32 v78, 0x100000, v77, -1
	v_lshrrev_b32_e32 v79, v77, v98
	v_lshlrev_b32_e64 v89, v77, 0x80000
	v_add_nc_u32_e32 v77, v77, v8
	v_and_b32_e32 v98, v78, v98
	v_bfe_u32 v88, v79, 20, 1
	v_cmp_eq_u32_e64 s17, v98, v89
	v_add_nc_u32_e32 v78, -1, v88
	v_cndmask_b32_e64 v98, 0, v78, s17
	v_lshrrev_b32_e32 v78, 23, v79
	s_mov_b32 s17, exec_lo
	v_add_nc_u32_e32 v98, v98, v79
	v_xor_b32_e32 v78, 1, v78
	v_and_b32_e32 v8, 0xfffff, v98
	v_add_nc_u32_e32 v98, v8, v79
                                        ; implicit-def: $vgpr8
	v_cmpx_ne_u32_e64 v77, v78
	s_xor_b32 s17, exec_lo, s17
; %bb.7951:                             ;   in Loop: Header=BB4_7740 Depth=3
	v_cmp_lt_u32_e32 vcc_lo, 0xffffff, v98
	v_sub_nc_u32_e32 v8, v77, v78
	v_cndmask_b32_e64 v77, 0, 1, vcc_lo
	v_add_co_ci_u32_e64 v8, null, 0, v8, vcc_lo
	v_lshrrev_b32_e32 v98, v77, v98
; %bb.7952:                             ;   in Loop: Header=BB4_7740 Depth=3
	s_andn2_saveexec_b32 s17, s17
; %bb.7953:                             ;   in Loop: Header=BB4_7740 Depth=3
	v_bfe_u32 v8, v98, 23, 1
; %bb.7954:                             ;   in Loop: Header=BB4_7740 Depth=3
	s_or_b32 exec_lo, exec_lo, s17
	v_lshrrev_b32_e32 v98, 20, v98
	v_min_i32_e32 v77, 15, v8
	v_cmp_gt_i32_e32 vcc_lo, 16, v8
	v_and_b32_sdwa v99, v99, v118 dst_sel:DWORD dst_unused:UNUSED_PAD src0_sel:BYTE_3 src1_sel:DWORD
	v_lshlrev_b32_e32 v77, 3, v77
	v_cndmask_b32_e32 v98, 7, v98, vcc_lo
	v_and_b32_e32 v77, 0xf8, v77
	v_and_b32_e32 v78, 7, v98
	v_or_b32_e32 v8, v8, v98
	v_or3_b32 v99, v99, v77, v78
	v_cmp_ne_u32_e32 vcc_lo, 0, v8
	v_lshlrev_b32_e32 v98, 8, v99
	v_cndmask_b32_e32 v98, 0, v98, vcc_lo
.LBB4_7955:                             ;   in Loop: Header=BB4_7740 Depth=3
	s_or_b32 exec_lo, exec_lo, s74
.LBB4_7956:                             ;   in Loop: Header=BB4_7740 Depth=3
	s_or_b32 exec_lo, exec_lo, s73
	v_bfe_u32 v8, v9, 16, 3
	v_bfe_u32 v78, v9, 19, 4
	v_lshlrev_b32_e32 v79, 8, v9
	s_mov_b32 s17, -1
	v_ffbh_u32_e32 v99, v8
	v_cmp_eq_u32_e32 vcc_lo, 0, v78
	v_min_u32_e32 v99, 32, v99
	v_subrev_nc_u32_e32 v77, 28, v99
	v_sub_nc_u32_e32 v99, 29, v99
	v_lshlrev_b32_sdwa v77, v77, v9 dst_sel:DWORD dst_unused:UNUSED_PAD src0_sel:DWORD src1_sel:WORD_1
	v_cndmask_b32_e32 v99, v78, v99, vcc_lo
	v_and_b32_e32 v77, 7, v77
	v_lshl_add_u32 v99, v99, 23, 0x3b800000
	v_cndmask_b32_e32 v8, v8, v77, vcc_lo
	v_and_b32_e32 v77, 0x80000000, v79
	s_and_b32 vcc_lo, exec_lo, s23
	v_lshlrev_b32_e32 v8, 20, v8
	v_or3_b32 v8, v77, v99, v8
                                        ; implicit-def: $vgpr77
	s_cbranch_vccz .LBB4_7970
; %bb.7957:                             ;   in Loop: Header=BB4_7740 Depth=3
	v_and_b32_sdwa v77, v13, v40 dst_sel:DWORD dst_unused:UNUSED_PAD src0_sel:WORD_1 src1_sel:DWORD
	s_mov_b32 s17, 0
	s_mov_b32 s73, exec_lo
	v_cmpx_lt_i16_e32 0x7f, v77
	s_xor_b32 s73, exec_lo, s73
	s_cbranch_execz .LBB4_8362
; %bb.7958:                             ;   in Loop: Header=BB4_7740 Depth=3
	s_mov_b32 s17, -1
	s_mov_b32 s74, exec_lo
	v_cmpx_eq_u16_e32 0x80, v77
; %bb.7959:                             ;   in Loop: Header=BB4_7740 Depth=3
	s_xor_b32 s17, exec_lo, -1
; %bb.7960:                             ;   in Loop: Header=BB4_7740 Depth=3
	s_or_b32 exec_lo, exec_lo, s74
	s_and_b32 s17, s17, exec_lo
                                        ; implicit-def: $vgpr77
	s_or_saveexec_b32 s73, s73
	v_mov_b32_e32 v99, 0x7f800001
	s_xor_b32 exec_lo, exec_lo, s73
	s_cbranch_execnz .LBB4_8363
.LBB4_7961:                             ;   in Loop: Header=BB4_7740 Depth=3
	s_or_b32 exec_lo, exec_lo, s73
	s_and_saveexec_b32 s73, s17
	s_cbranch_execz .LBB4_7963
.LBB4_7962:                             ;   in Loop: Header=BB4_7740 Depth=3
	v_bfe_u32 v99, v13, 16, 3
	v_bfe_u32 v79, v13, 19, 4
	v_lshlrev_b32_sdwa v88, v41, v13 dst_sel:DWORD dst_unused:UNUSED_PAD src0_sel:DWORD src1_sel:WORD_1
	v_ffbh_u32_e32 v77, v99
	v_cmp_eq_u32_e32 vcc_lo, 0, v79
	v_min_u32_e32 v77, 32, v77
	v_subrev_nc_u32_e32 v78, 28, v77
	v_sub_nc_u32_e32 v77, 29, v77
	v_lshlrev_b32_sdwa v78, v78, v13 dst_sel:DWORD dst_unused:UNUSED_PAD src0_sel:DWORD src1_sel:WORD_1
	v_cndmask_b32_e32 v77, v79, v77, vcc_lo
	v_and_b32_e32 v78, 7, v78
	v_lshl_add_u32 v77, v77, 23, 0x3b800000
	v_cndmask_b32_e32 v99, v99, v78, vcc_lo
	v_and_b32_e32 v78, 0x80000000, v88
	v_lshlrev_b32_e32 v99, 20, v99
	v_or3_b32 v99, v78, v77, v99
.LBB4_7963:                             ;   in Loop: Header=BB4_7740 Depth=3
	s_or_b32 exec_lo, exec_lo, s73
	v_and_b32_sdwa v78, v9, v40 dst_sel:DWORD dst_unused:UNUSED_PAD src0_sel:WORD_1 src1_sel:DWORD
	s_mov_b32 s17, 0
	s_mov_b32 s73, exec_lo
	v_cmpx_lt_i16_e32 0x7f, v78
	s_xor_b32 s73, exec_lo, s73
	s_cbranch_execz .LBB4_8364
; %bb.7964:                             ;   in Loop: Header=BB4_7740 Depth=3
	s_mov_b32 s17, -1
	s_mov_b32 s74, exec_lo
	v_cmpx_eq_u16_e32 0x80, v78
; %bb.7965:                             ;   in Loop: Header=BB4_7740 Depth=3
	s_xor_b32 s17, exec_lo, -1
; %bb.7966:                             ;   in Loop: Header=BB4_7740 Depth=3
	s_or_b32 exec_lo, exec_lo, s74
	s_and_b32 s17, s17, exec_lo
                                        ; implicit-def: $vgpr78
	s_or_saveexec_b32 s73, s73
	v_mov_b32_e32 v77, 0x7f800001
	s_xor_b32 exec_lo, exec_lo, s73
	s_cbranch_execnz .LBB4_8365
.LBB4_7967:                             ;   in Loop: Header=BB4_7740 Depth=3
	s_or_b32 exec_lo, exec_lo, s73
	s_and_saveexec_b32 s73, s17
.LBB4_7968:                             ;   in Loop: Header=BB4_7740 Depth=3
	v_mov_b32_e32 v77, v8
.LBB4_7969:                             ;   in Loop: Header=BB4_7740 Depth=3
	s_or_b32 exec_lo, exec_lo, s73
	v_max_f32_e32 v77, v77, v77
	v_max_f32_e32 v99, v99, v99
	s_mov_b32 s17, 0
	v_max_f32_e32 v77, v99, v77
.LBB4_7970:                             ;   in Loop: Header=BB4_7740 Depth=3
	s_and_b32 vcc_lo, exec_lo, s17
	s_cbranch_vccz .LBB4_7984
; %bb.7971:                             ;   in Loop: Header=BB4_7740 Depth=3
	v_and_b32_sdwa v77, v13, v40 dst_sel:DWORD dst_unused:UNUSED_PAD src0_sel:WORD_1 src1_sel:DWORD
	s_mov_b32 s17, 0
	s_mov_b32 s73, exec_lo
	v_cmpx_lt_i16_e32 0x7f, v77
	s_xor_b32 s73, exec_lo, s73
	s_cbranch_execz .LBB4_8366
; %bb.7972:                             ;   in Loop: Header=BB4_7740 Depth=3
	s_mov_b32 s17, -1
	s_mov_b32 s74, exec_lo
	v_cmpx_eq_u16_e32 0x80, v77
; %bb.7973:                             ;   in Loop: Header=BB4_7740 Depth=3
	s_xor_b32 s17, exec_lo, -1
; %bb.7974:                             ;   in Loop: Header=BB4_7740 Depth=3
	s_or_b32 exec_lo, exec_lo, s74
	s_and_b32 s17, s17, exec_lo
                                        ; implicit-def: $vgpr77
	s_or_saveexec_b32 s73, s73
	v_mov_b32_e32 v99, 0x7f800001
	s_xor_b32 exec_lo, exec_lo, s73
	s_cbranch_execnz .LBB4_8367
.LBB4_7975:                             ;   in Loop: Header=BB4_7740 Depth=3
	s_or_b32 exec_lo, exec_lo, s73
	s_and_saveexec_b32 s73, s17
	s_cbranch_execz .LBB4_7977
.LBB4_7976:                             ;   in Loop: Header=BB4_7740 Depth=3
	v_bfe_u32 v99, v13, 16, 3
	v_bfe_u32 v79, v13, 19, 4
	v_lshlrev_b32_sdwa v88, v41, v13 dst_sel:DWORD dst_unused:UNUSED_PAD src0_sel:DWORD src1_sel:WORD_1
	v_ffbh_u32_e32 v77, v99
	v_cmp_eq_u32_e32 vcc_lo, 0, v79
	v_min_u32_e32 v77, 32, v77
	v_subrev_nc_u32_e32 v78, 28, v77
	v_sub_nc_u32_e32 v77, 29, v77
	v_lshlrev_b32_sdwa v78, v78, v13 dst_sel:DWORD dst_unused:UNUSED_PAD src0_sel:DWORD src1_sel:WORD_1
	v_cndmask_b32_e32 v77, v79, v77, vcc_lo
	v_and_b32_e32 v78, 7, v78
	v_lshl_add_u32 v77, v77, 23, 0x3b800000
	v_cndmask_b32_e32 v99, v99, v78, vcc_lo
	v_and_b32_e32 v78, 0x80000000, v88
	v_lshlrev_b32_e32 v99, 20, v99
	v_or3_b32 v99, v78, v77, v99
.LBB4_7977:                             ;   in Loop: Header=BB4_7740 Depth=3
	s_or_b32 exec_lo, exec_lo, s73
	v_and_b32_sdwa v78, v9, v40 dst_sel:DWORD dst_unused:UNUSED_PAD src0_sel:WORD_1 src1_sel:DWORD
	s_mov_b32 s17, 0
	s_mov_b32 s73, exec_lo
	v_cmpx_lt_i16_e32 0x7f, v78
	s_xor_b32 s73, exec_lo, s73
	s_cbranch_execz .LBB4_8368
; %bb.7978:                             ;   in Loop: Header=BB4_7740 Depth=3
	s_mov_b32 s17, -1
	s_mov_b32 s74, exec_lo
	v_cmpx_eq_u16_e32 0x80, v78
; %bb.7979:                             ;   in Loop: Header=BB4_7740 Depth=3
	s_xor_b32 s17, exec_lo, -1
; %bb.7980:                             ;   in Loop: Header=BB4_7740 Depth=3
	s_or_b32 exec_lo, exec_lo, s74
	s_and_b32 s17, s17, exec_lo
                                        ; implicit-def: $vgpr78
	s_or_saveexec_b32 s73, s73
	v_mov_b32_e32 v77, 0x7f800001
	s_xor_b32 exec_lo, exec_lo, s73
	s_cbranch_execnz .LBB4_8369
.LBB4_7981:                             ;   in Loop: Header=BB4_7740 Depth=3
	s_or_b32 exec_lo, exec_lo, s73
	s_and_saveexec_b32 s73, s17
.LBB4_7982:                             ;   in Loop: Header=BB4_7740 Depth=3
	v_mov_b32_e32 v77, v8
.LBB4_7983:                             ;   in Loop: Header=BB4_7740 Depth=3
	s_or_b32 exec_lo, exec_lo, s73
	v_max_f32_e32 v8, v77, v77
	v_max_f32_e32 v99, v99, v99
	v_min_f32_e32 v77, v99, v8
.LBB4_7984:                             ;   in Loop: Header=BB4_7740 Depth=3
	v_and_b32_e32 v8, 0x7f800000, v77
	v_mov_b32_e32 v99, 0x80
	s_mov_b32 s73, exec_lo
	v_cmpx_ne_u32_e32 0x7f800000, v8
	s_cbranch_execz .LBB4_7992
; %bb.7985:                             ;   in Loop: Header=BB4_7740 Depth=3
	v_mov_b32_e32 v99, 0
	s_mov_b32 s74, exec_lo
	v_cmpx_ne_u32_e32 0, v77
	s_cbranch_execz .LBB4_7991
; %bb.7986:                             ;   in Loop: Header=BB4_7740 Depth=3
	v_bfe_u32 v8, v77, 23, 8
	v_and_b32_e32 v99, 0x7fffff, v77
	v_sub_nc_u32_e32 v78, 0x78, v8
	v_cmp_gt_u32_e32 vcc_lo, 0x79, v8
	v_or_b32_e32 v79, 0x800000, v99
	v_cndmask_b32_e32 v78, 0, v78, vcc_lo
	v_cmp_eq_u32_e32 vcc_lo, 0, v8
	v_add_nc_u32_e32 v8, 0xffffff89, v8
	v_cndmask_b32_e64 v78, v78, 0x77, vcc_lo
	v_cndmask_b32_e32 v99, v79, v99, vcc_lo
	v_cndmask_b32_e64 v8, v8, 0xffffff8a, vcc_lo
	v_lshl_add_u32 v79, 0x100000, v78, -1
	v_lshrrev_b32_e32 v88, v78, v99
	v_lshlrev_b32_e64 v90, v78, 0x80000
	v_add_nc_u32_e32 v78, v78, v8
	v_and_b32_e32 v99, v79, v99
	v_bfe_u32 v89, v88, 20, 1
	v_cmp_eq_u32_e64 s17, v99, v90
	v_add_nc_u32_e32 v79, -1, v89
	v_cndmask_b32_e64 v99, 0, v79, s17
	v_lshrrev_b32_e32 v79, 23, v88
	s_mov_b32 s17, exec_lo
	v_add_nc_u32_e32 v99, v99, v88
	v_xor_b32_e32 v79, 1, v79
	v_and_b32_e32 v8, 0xfffff, v99
	v_add_nc_u32_e32 v99, v8, v88
                                        ; implicit-def: $vgpr8
	v_cmpx_ne_u32_e64 v78, v79
	s_xor_b32 s17, exec_lo, s17
; %bb.7987:                             ;   in Loop: Header=BB4_7740 Depth=3
	v_cmp_lt_u32_e32 vcc_lo, 0xffffff, v99
	v_sub_nc_u32_e32 v8, v78, v79
	v_cndmask_b32_e64 v78, 0, 1, vcc_lo
	v_add_co_ci_u32_e64 v8, null, 0, v8, vcc_lo
	v_lshrrev_b32_e32 v99, v78, v99
; %bb.7988:                             ;   in Loop: Header=BB4_7740 Depth=3
	s_andn2_saveexec_b32 s17, s17
; %bb.7989:                             ;   in Loop: Header=BB4_7740 Depth=3
	v_bfe_u32 v8, v99, 23, 1
; %bb.7990:                             ;   in Loop: Header=BB4_7740 Depth=3
	s_or_b32 exec_lo, exec_lo, s17
	v_lshrrev_b32_e32 v99, 20, v99
	v_min_i32_e32 v78, 15, v8
	v_cmp_gt_i32_e32 vcc_lo, 16, v8
	v_and_b32_sdwa v77, v77, v118 dst_sel:DWORD dst_unused:UNUSED_PAD src0_sel:BYTE_3 src1_sel:DWORD
	v_lshlrev_b32_e32 v78, 3, v78
	v_cndmask_b32_e32 v99, 7, v99, vcc_lo
	v_and_b32_e32 v78, 0xf8, v78
	v_and_b32_e32 v79, 7, v99
	v_or_b32_e32 v8, v8, v99
	v_or3_b32 v99, v78, v77, v79
	v_cmp_ne_u32_e32 vcc_lo, 0, v8
	v_cndmask_b32_e32 v99, 0, v99, vcc_lo
.LBB4_7991:                             ;   in Loop: Header=BB4_7740 Depth=3
	s_or_b32 exec_lo, exec_lo, s74
.LBB4_7992:                             ;   in Loop: Header=BB4_7740 Depth=3
	s_or_b32 exec_lo, exec_lo, s73
	v_bfe_u32 v8, v9, 24, 3
	v_bfe_u32 v79, v9, 27, 4
	s_mov_b32 s17, -1
	v_ffbh_u32_e32 v77, v8
	v_cmp_eq_u32_e32 vcc_lo, 0, v79
	v_min_u32_e32 v77, 32, v77
	v_subrev_nc_u32_e32 v78, 28, v77
	v_sub_nc_u32_e32 v77, 29, v77
	v_lshlrev_b32_sdwa v78, v78, v9 dst_sel:DWORD dst_unused:UNUSED_PAD src0_sel:DWORD src1_sel:BYTE_3
	v_cndmask_b32_e32 v77, v79, v77, vcc_lo
	v_and_b32_e32 v78, 7, v78
	v_lshl_add_u32 v77, v77, 23, 0x3b800000
	v_cndmask_b32_e32 v8, v8, v78, vcc_lo
	v_and_b32_e32 v78, 0x80000000, v9
	s_and_b32 vcc_lo, exec_lo, s23
	v_lshlrev_b32_e32 v8, 20, v8
	v_or3_b32 v8, v78, v77, v8
                                        ; implicit-def: $vgpr77
	s_cbranch_vccz .LBB4_8006
; %bb.7993:                             ;   in Loop: Header=BB4_7740 Depth=3
	v_cmp_gt_i16_sdwa s73, v13, v117 src0_sel:BYTE_3 src1_sel:DWORD
	s_mov_b32 s17, 0
	s_and_saveexec_b32 s74, s73
	s_xor_b32 s73, exec_lo, s74
	s_cbranch_execz .LBB4_8370
; %bb.7994:                             ;   in Loop: Header=BB4_7740 Depth=3
	v_cmp_eq_u16_sdwa s75, v13, v118 src0_sel:BYTE_3 src1_sel:DWORD
	s_mov_b32 s17, -1
	s_and_saveexec_b32 s74, s75
; %bb.7995:                             ;   in Loop: Header=BB4_7740 Depth=3
	s_xor_b32 s17, exec_lo, -1
; %bb.7996:                             ;   in Loop: Header=BB4_7740 Depth=3
	s_or_b32 exec_lo, exec_lo, s74
	s_and_b32 s17, s17, exec_lo
	s_or_saveexec_b32 s73, s73
	v_mov_b32_e32 v77, 0x7f800001
	s_xor_b32 exec_lo, exec_lo, s73
	s_cbranch_execnz .LBB4_8371
.LBB4_7997:                             ;   in Loop: Header=BB4_7740 Depth=3
	s_or_b32 exec_lo, exec_lo, s73
	s_and_saveexec_b32 s73, s17
	s_cbranch_execz .LBB4_7999
.LBB4_7998:                             ;   in Loop: Header=BB4_7740 Depth=3
	v_bfe_u32 v77, v13, 24, 3
	v_bfe_u32 v88, v13, 27, 4
	v_ffbh_u32_e32 v78, v77
	v_cmp_eq_u32_e32 vcc_lo, 0, v88
	v_min_u32_e32 v78, 32, v78
	v_subrev_nc_u32_e32 v79, 28, v78
	v_sub_nc_u32_e32 v78, 29, v78
	v_lshlrev_b32_sdwa v79, v79, v13 dst_sel:DWORD dst_unused:UNUSED_PAD src0_sel:DWORD src1_sel:BYTE_3
	v_cndmask_b32_e32 v78, v88, v78, vcc_lo
	v_and_b32_e32 v79, 7, v79
	v_lshl_add_u32 v78, v78, 23, 0x3b800000
	v_cndmask_b32_e32 v77, v77, v79, vcc_lo
	v_and_b32_e32 v79, 0x80000000, v13
	v_lshlrev_b32_e32 v77, 20, v77
	v_or3_b32 v77, v79, v78, v77
.LBB4_7999:                             ;   in Loop: Header=BB4_7740 Depth=3
	s_or_b32 exec_lo, exec_lo, s73
	v_cmp_gt_i16_sdwa s73, v9, v117 src0_sel:BYTE_3 src1_sel:DWORD
	s_mov_b32 s17, 0
	s_and_saveexec_b32 s74, s73
	s_xor_b32 s73, exec_lo, s74
	s_cbranch_execz .LBB4_8372
; %bb.8000:                             ;   in Loop: Header=BB4_7740 Depth=3
	v_cmp_eq_u16_sdwa s75, v9, v118 src0_sel:BYTE_3 src1_sel:DWORD
	s_mov_b32 s17, -1
	s_and_saveexec_b32 s74, s75
; %bb.8001:                             ;   in Loop: Header=BB4_7740 Depth=3
	s_xor_b32 s17, exec_lo, -1
; %bb.8002:                             ;   in Loop: Header=BB4_7740 Depth=3
	s_or_b32 exec_lo, exec_lo, s74
	s_and_b32 s17, s17, exec_lo
	s_or_saveexec_b32 s73, s73
	v_mov_b32_e32 v78, 0x7f800001
	s_xor_b32 exec_lo, exec_lo, s73
	s_cbranch_execnz .LBB4_8373
.LBB4_8003:                             ;   in Loop: Header=BB4_7740 Depth=3
	s_or_b32 exec_lo, exec_lo, s73
	s_and_saveexec_b32 s73, s17
.LBB4_8004:                             ;   in Loop: Header=BB4_7740 Depth=3
	v_mov_b32_e32 v78, v8
.LBB4_8005:                             ;   in Loop: Header=BB4_7740 Depth=3
	s_or_b32 exec_lo, exec_lo, s73
	v_max_f32_e32 v78, v78, v78
	v_max_f32_e32 v77, v77, v77
	s_mov_b32 s17, 0
	v_max_f32_e32 v77, v77, v78
.LBB4_8006:                             ;   in Loop: Header=BB4_7740 Depth=3
	s_and_b32 vcc_lo, exec_lo, s17
	s_cbranch_vccz .LBB4_8020
; %bb.8007:                             ;   in Loop: Header=BB4_7740 Depth=3
	v_cmp_gt_i16_sdwa s73, v13, v117 src0_sel:BYTE_3 src1_sel:DWORD
	s_mov_b32 s17, 0
	s_and_saveexec_b32 s74, s73
	s_xor_b32 s73, exec_lo, s74
	s_cbranch_execz .LBB4_8374
; %bb.8008:                             ;   in Loop: Header=BB4_7740 Depth=3
	v_cmp_eq_u16_sdwa s75, v13, v118 src0_sel:BYTE_3 src1_sel:DWORD
	s_mov_b32 s17, -1
	s_and_saveexec_b32 s74, s75
; %bb.8009:                             ;   in Loop: Header=BB4_7740 Depth=3
	s_xor_b32 s17, exec_lo, -1
; %bb.8010:                             ;   in Loop: Header=BB4_7740 Depth=3
	s_or_b32 exec_lo, exec_lo, s74
	s_and_b32 s17, s17, exec_lo
	s_or_saveexec_b32 s73, s73
	v_mov_b32_e32 v77, 0x7f800001
	s_xor_b32 exec_lo, exec_lo, s73
	s_cbranch_execnz .LBB4_8375
.LBB4_8011:                             ;   in Loop: Header=BB4_7740 Depth=3
	s_or_b32 exec_lo, exec_lo, s73
	s_and_saveexec_b32 s73, s17
	s_cbranch_execz .LBB4_8013
.LBB4_8012:                             ;   in Loop: Header=BB4_7740 Depth=3
	v_bfe_u32 v77, v13, 24, 3
	v_bfe_u32 v88, v13, 27, 4
	v_ffbh_u32_e32 v78, v77
	v_cmp_eq_u32_e32 vcc_lo, 0, v88
	v_min_u32_e32 v78, 32, v78
	v_subrev_nc_u32_e32 v79, 28, v78
	v_sub_nc_u32_e32 v78, 29, v78
	v_lshlrev_b32_sdwa v79, v79, v13 dst_sel:DWORD dst_unused:UNUSED_PAD src0_sel:DWORD src1_sel:BYTE_3
	v_cndmask_b32_e32 v78, v88, v78, vcc_lo
	v_and_b32_e32 v13, 0x80000000, v13
	v_and_b32_e32 v79, 7, v79
	v_lshl_add_u32 v78, v78, 23, 0x3b800000
	v_cndmask_b32_e32 v77, v77, v79, vcc_lo
	v_lshlrev_b32_e32 v77, 20, v77
	v_or3_b32 v77, v13, v78, v77
.LBB4_8013:                             ;   in Loop: Header=BB4_7740 Depth=3
	s_or_b32 exec_lo, exec_lo, s73
	v_cmp_gt_i16_sdwa s73, v9, v117 src0_sel:BYTE_3 src1_sel:DWORD
	s_mov_b32 s17, 0
	s_and_saveexec_b32 s74, s73
	s_xor_b32 s73, exec_lo, s74
	s_cbranch_execz .LBB4_8376
; %bb.8014:                             ;   in Loop: Header=BB4_7740 Depth=3
	v_cmp_eq_u16_sdwa s75, v9, v118 src0_sel:BYTE_3 src1_sel:DWORD
	s_mov_b32 s17, -1
	s_and_saveexec_b32 s74, s75
; %bb.8015:                             ;   in Loop: Header=BB4_7740 Depth=3
	s_xor_b32 s17, exec_lo, -1
; %bb.8016:                             ;   in Loop: Header=BB4_7740 Depth=3
	s_or_b32 exec_lo, exec_lo, s74
	s_and_b32 s17, s17, exec_lo
	s_or_saveexec_b32 s73, s73
	v_mov_b32_e32 v13, 0x7f800001
	s_xor_b32 exec_lo, exec_lo, s73
	s_cbranch_execnz .LBB4_8377
.LBB4_8017:                             ;   in Loop: Header=BB4_7740 Depth=3
	s_or_b32 exec_lo, exec_lo, s73
	s_and_saveexec_b32 s73, s17
.LBB4_8018:                             ;   in Loop: Header=BB4_7740 Depth=3
	v_mov_b32_e32 v13, v8
.LBB4_8019:                             ;   in Loop: Header=BB4_7740 Depth=3
	s_or_b32 exec_lo, exec_lo, s73
	v_max_f32_e32 v8, v13, v13
	v_max_f32_e32 v9, v77, v77
	v_min_f32_e32 v77, v9, v8
.LBB4_8020:                             ;   in Loop: Header=BB4_7740 Depth=3
	v_and_b32_e32 v8, 0x7f800000, v77
	v_mov_b32_e32 v13, 0x8000
	s_mov_b32 s73, exec_lo
	v_cmpx_ne_u32_e32 0x7f800000, v8
	s_cbranch_execz .LBB4_8028
; %bb.8021:                             ;   in Loop: Header=BB4_7740 Depth=3
	v_mov_b32_e32 v13, 0
	s_mov_b32 s74, exec_lo
	v_cmpx_ne_u32_e32 0, v77
	s_cbranch_execz .LBB4_8027
; %bb.8022:                             ;   in Loop: Header=BB4_7740 Depth=3
	v_bfe_u32 v8, v77, 23, 8
	v_and_b32_e32 v9, 0x7fffff, v77
	v_sub_nc_u32_e32 v13, 0x78, v8
	v_cmp_gt_u32_e32 vcc_lo, 0x79, v8
	v_or_b32_e32 v78, 0x800000, v9
	v_cndmask_b32_e32 v13, 0, v13, vcc_lo
	v_cmp_eq_u32_e32 vcc_lo, 0, v8
	v_add_nc_u32_e32 v8, 0xffffff89, v8
	v_cndmask_b32_e64 v13, v13, 0x77, vcc_lo
	v_cndmask_b32_e32 v9, v78, v9, vcc_lo
	v_cndmask_b32_e64 v8, v8, 0xffffff8a, vcc_lo
	v_lshl_add_u32 v78, 0x100000, v13, -1
	v_lshrrev_b32_e32 v79, v13, v9
	v_lshlrev_b32_e64 v89, v13, 0x80000
	v_add_nc_u32_e32 v13, v13, v8
	v_and_b32_e32 v9, v78, v9
	v_bfe_u32 v88, v79, 20, 1
	v_cmp_eq_u32_e64 s17, v9, v89
	v_add_nc_u32_e32 v78, -1, v88
	v_cndmask_b32_e64 v9, 0, v78, s17
	v_lshrrev_b32_e32 v78, 23, v79
	s_mov_b32 s17, exec_lo
	v_add_nc_u32_e32 v9, v9, v79
	v_xor_b32_e32 v78, 1, v78
	v_and_b32_e32 v8, 0xfffff, v9
	v_add_nc_u32_e32 v9, v8, v79
                                        ; implicit-def: $vgpr8
	v_cmpx_ne_u32_e64 v13, v78
	s_xor_b32 s17, exec_lo, s17
; %bb.8023:                             ;   in Loop: Header=BB4_7740 Depth=3
	v_cmp_lt_u32_e32 vcc_lo, 0xffffff, v9
	v_sub_nc_u32_e32 v8, v13, v78
	v_cndmask_b32_e64 v13, 0, 1, vcc_lo
	v_add_co_ci_u32_e64 v8, null, 0, v8, vcc_lo
	v_lshrrev_b32_e32 v9, v13, v9
; %bb.8024:                             ;   in Loop: Header=BB4_7740 Depth=3
	s_andn2_saveexec_b32 s17, s17
; %bb.8025:                             ;   in Loop: Header=BB4_7740 Depth=3
	v_bfe_u32 v8, v9, 23, 1
; %bb.8026:                             ;   in Loop: Header=BB4_7740 Depth=3
	s_or_b32 exec_lo, exec_lo, s17
	v_lshrrev_b32_e32 v9, 20, v9
	v_min_i32_e32 v13, 15, v8
	v_cmp_gt_i32_e32 vcc_lo, 16, v8
	v_and_b32_sdwa v77, v77, v118 dst_sel:DWORD dst_unused:UNUSED_PAD src0_sel:BYTE_3 src1_sel:DWORD
	v_lshlrev_b32_e32 v13, 3, v13
	v_cndmask_b32_e32 v9, 7, v9, vcc_lo
	v_and_b32_e32 v13, 0xf8, v13
	v_and_b32_e32 v78, 7, v9
	v_or_b32_e32 v8, v8, v9
	v_or3_b32 v13, v77, v13, v78
	v_cmp_ne_u32_e32 vcc_lo, 0, v8
	v_lshlrev_b32_e32 v9, 8, v13
	v_cndmask_b32_e32 v13, 0, v9, vcc_lo
.LBB4_8027:                             ;   in Loop: Header=BB4_7740 Depth=3
	s_or_b32 exec_lo, exec_lo, s74
.LBB4_8028:                             ;   in Loop: Header=BB4_7740 Depth=3
	s_or_b32 exec_lo, exec_lo, s73
	v_and_b32_e32 v8, 7, v10
	v_bfe_u32 v78, v10, 3, 4
	v_lshlrev_b32_e32 v79, 24, v10
	s_mov_b32 s17, -1
	v_ffbh_u32_e32 v9, v8
	v_cmp_eq_u32_e32 vcc_lo, 0, v78
	v_min_u32_e32 v9, 32, v9
	v_subrev_nc_u32_e32 v77, 28, v9
	v_sub_nc_u32_e32 v9, 29, v9
	v_lshlrev_b32_e32 v77, v77, v10
	v_cndmask_b32_e32 v9, v78, v9, vcc_lo
	v_and_b32_e32 v77, 7, v77
	v_lshl_add_u32 v9, v9, 23, 0x3b800000
	v_cndmask_b32_e32 v8, v8, v77, vcc_lo
	v_and_b32_e32 v77, 0x80000000, v79
	s_and_b32 vcc_lo, exec_lo, s23
	v_lshlrev_b32_e32 v8, 20, v8
	v_or3_b32 v8, v77, v9, v8
                                        ; implicit-def: $vgpr9
	s_cbranch_vccz .LBB4_8042
; %bb.8029:                             ;   in Loop: Header=BB4_7740 Depth=3
	v_cmp_gt_i16_sdwa s73, v14, v117 src0_sel:BYTE_0 src1_sel:DWORD
	s_mov_b32 s17, 0
	s_and_saveexec_b32 s74, s73
	s_xor_b32 s73, exec_lo, s74
	s_cbranch_execz .LBB4_8378
; %bb.8030:                             ;   in Loop: Header=BB4_7740 Depth=3
	v_cmp_eq_u16_sdwa s75, v14, v118 src0_sel:BYTE_0 src1_sel:DWORD
	s_mov_b32 s17, -1
	s_and_saveexec_b32 s74, s75
; %bb.8031:                             ;   in Loop: Header=BB4_7740 Depth=3
	s_xor_b32 s17, exec_lo, -1
; %bb.8032:                             ;   in Loop: Header=BB4_7740 Depth=3
	s_or_b32 exec_lo, exec_lo, s74
	s_and_b32 s17, s17, exec_lo
	s_or_saveexec_b32 s73, s73
	v_mov_b32_e32 v9, 0x7f800001
	s_xor_b32 exec_lo, exec_lo, s73
	s_cbranch_execnz .LBB4_8379
.LBB4_8033:                             ;   in Loop: Header=BB4_7740 Depth=3
	s_or_b32 exec_lo, exec_lo, s73
	s_and_saveexec_b32 s73, s17
	s_cbranch_execz .LBB4_8035
.LBB4_8034:                             ;   in Loop: Header=BB4_7740 Depth=3
	v_and_b32_e32 v9, 7, v14
	v_bfe_u32 v79, v14, 3, 4
	v_lshlrev_b32_e32 v88, 24, v14
	v_ffbh_u32_e32 v77, v9
	v_cmp_eq_u32_e32 vcc_lo, 0, v79
	v_min_u32_e32 v77, 32, v77
	v_subrev_nc_u32_e32 v78, 28, v77
	v_sub_nc_u32_e32 v77, 29, v77
	v_lshlrev_b32_e32 v78, v78, v14
	v_cndmask_b32_e32 v77, v79, v77, vcc_lo
	v_and_b32_e32 v78, 7, v78
	v_lshl_add_u32 v77, v77, 23, 0x3b800000
	v_cndmask_b32_e32 v9, v9, v78, vcc_lo
	v_and_b32_e32 v78, 0x80000000, v88
	v_lshlrev_b32_e32 v9, 20, v9
	v_or3_b32 v9, v78, v77, v9
.LBB4_8035:                             ;   in Loop: Header=BB4_7740 Depth=3
	s_or_b32 exec_lo, exec_lo, s73
	v_cmp_gt_i16_sdwa s73, v10, v117 src0_sel:BYTE_0 src1_sel:DWORD
	s_mov_b32 s17, 0
	s_and_saveexec_b32 s74, s73
	s_xor_b32 s73, exec_lo, s74
	s_cbranch_execz .LBB4_8380
; %bb.8036:                             ;   in Loop: Header=BB4_7740 Depth=3
	v_cmp_eq_u16_sdwa s75, v10, v118 src0_sel:BYTE_0 src1_sel:DWORD
	s_mov_b32 s17, -1
	s_and_saveexec_b32 s74, s75
; %bb.8037:                             ;   in Loop: Header=BB4_7740 Depth=3
	s_xor_b32 s17, exec_lo, -1
; %bb.8038:                             ;   in Loop: Header=BB4_7740 Depth=3
	s_or_b32 exec_lo, exec_lo, s74
	s_and_b32 s17, s17, exec_lo
	s_or_saveexec_b32 s73, s73
	v_mov_b32_e32 v77, 0x7f800001
	s_xor_b32 exec_lo, exec_lo, s73
	s_cbranch_execnz .LBB4_8381
.LBB4_8039:                             ;   in Loop: Header=BB4_7740 Depth=3
	s_or_b32 exec_lo, exec_lo, s73
	s_and_saveexec_b32 s73, s17
.LBB4_8040:                             ;   in Loop: Header=BB4_7740 Depth=3
	v_mov_b32_e32 v77, v8
.LBB4_8041:                             ;   in Loop: Header=BB4_7740 Depth=3
	s_or_b32 exec_lo, exec_lo, s73
	v_max_f32_e32 v77, v77, v77
	v_max_f32_e32 v9, v9, v9
	s_mov_b32 s17, 0
	v_max_f32_e32 v9, v9, v77
.LBB4_8042:                             ;   in Loop: Header=BB4_7740 Depth=3
	s_and_b32 vcc_lo, exec_lo, s17
	s_cbranch_vccz .LBB4_8056
; %bb.8043:                             ;   in Loop: Header=BB4_7740 Depth=3
	v_cmp_gt_i16_sdwa s73, v14, v117 src0_sel:BYTE_0 src1_sel:DWORD
	s_mov_b32 s17, 0
	s_and_saveexec_b32 s74, s73
	s_xor_b32 s73, exec_lo, s74
	s_cbranch_execz .LBB4_8382
; %bb.8044:                             ;   in Loop: Header=BB4_7740 Depth=3
	v_cmp_eq_u16_sdwa s75, v14, v118 src0_sel:BYTE_0 src1_sel:DWORD
	s_mov_b32 s17, -1
	s_and_saveexec_b32 s74, s75
; %bb.8045:                             ;   in Loop: Header=BB4_7740 Depth=3
	s_xor_b32 s17, exec_lo, -1
; %bb.8046:                             ;   in Loop: Header=BB4_7740 Depth=3
	s_or_b32 exec_lo, exec_lo, s74
	s_and_b32 s17, s17, exec_lo
	s_or_saveexec_b32 s73, s73
	v_mov_b32_e32 v9, 0x7f800001
	s_xor_b32 exec_lo, exec_lo, s73
	s_cbranch_execnz .LBB4_8383
.LBB4_8047:                             ;   in Loop: Header=BB4_7740 Depth=3
	s_or_b32 exec_lo, exec_lo, s73
	s_and_saveexec_b32 s73, s17
	s_cbranch_execz .LBB4_8049
.LBB4_8048:                             ;   in Loop: Header=BB4_7740 Depth=3
	v_and_b32_e32 v9, 7, v14
	v_bfe_u32 v79, v14, 3, 4
	v_lshlrev_b32_e32 v88, 24, v14
	v_ffbh_u32_e32 v77, v9
	v_cmp_eq_u32_e32 vcc_lo, 0, v79
	v_min_u32_e32 v77, 32, v77
	v_subrev_nc_u32_e32 v78, 28, v77
	v_sub_nc_u32_e32 v77, 29, v77
	v_lshlrev_b32_e32 v78, v78, v14
	v_cndmask_b32_e32 v77, v79, v77, vcc_lo
	v_and_b32_e32 v78, 7, v78
	v_lshl_add_u32 v77, v77, 23, 0x3b800000
	v_cndmask_b32_e32 v9, v9, v78, vcc_lo
	v_and_b32_e32 v78, 0x80000000, v88
	v_lshlrev_b32_e32 v9, 20, v9
	v_or3_b32 v9, v78, v77, v9
.LBB4_8049:                             ;   in Loop: Header=BB4_7740 Depth=3
	s_or_b32 exec_lo, exec_lo, s73
	v_cmp_gt_i16_sdwa s73, v10, v117 src0_sel:BYTE_0 src1_sel:DWORD
	s_mov_b32 s17, 0
	s_and_saveexec_b32 s74, s73
	s_xor_b32 s73, exec_lo, s74
	s_cbranch_execz .LBB4_8384
; %bb.8050:                             ;   in Loop: Header=BB4_7740 Depth=3
	v_cmp_eq_u16_sdwa s75, v10, v118 src0_sel:BYTE_0 src1_sel:DWORD
	s_mov_b32 s17, -1
	s_and_saveexec_b32 s74, s75
; %bb.8051:                             ;   in Loop: Header=BB4_7740 Depth=3
	s_xor_b32 s17, exec_lo, -1
; %bb.8052:                             ;   in Loop: Header=BB4_7740 Depth=3
	s_or_b32 exec_lo, exec_lo, s74
	s_and_b32 s17, s17, exec_lo
	s_or_saveexec_b32 s73, s73
	v_mov_b32_e32 v77, 0x7f800001
	s_xor_b32 exec_lo, exec_lo, s73
	s_cbranch_execnz .LBB4_8385
.LBB4_8053:                             ;   in Loop: Header=BB4_7740 Depth=3
	s_or_b32 exec_lo, exec_lo, s73
	s_and_saveexec_b32 s73, s17
.LBB4_8054:                             ;   in Loop: Header=BB4_7740 Depth=3
	v_mov_b32_e32 v77, v8
.LBB4_8055:                             ;   in Loop: Header=BB4_7740 Depth=3
	s_or_b32 exec_lo, exec_lo, s73
	v_max_f32_e32 v8, v77, v77
	v_max_f32_e32 v9, v9, v9
	v_min_f32_e32 v9, v9, v8
.LBB4_8056:                             ;   in Loop: Header=BB4_7740 Depth=3
	v_and_b32_e32 v8, 0x7f800000, v9
	v_mov_b32_e32 v77, 0x80
	s_mov_b32 s73, exec_lo
	v_cmpx_ne_u32_e32 0x7f800000, v8
	s_cbranch_execz .LBB4_8064
; %bb.8057:                             ;   in Loop: Header=BB4_7740 Depth=3
	v_mov_b32_e32 v77, 0
	s_mov_b32 s74, exec_lo
	v_cmpx_ne_u32_e32 0, v9
	s_cbranch_execz .LBB4_8063
; %bb.8058:                             ;   in Loop: Header=BB4_7740 Depth=3
	v_bfe_u32 v8, v9, 23, 8
	v_and_b32_e32 v77, 0x7fffff, v9
	v_sub_nc_u32_e32 v78, 0x78, v8
	v_cmp_gt_u32_e32 vcc_lo, 0x79, v8
	v_or_b32_e32 v79, 0x800000, v77
	v_cndmask_b32_e32 v78, 0, v78, vcc_lo
	v_cmp_eq_u32_e32 vcc_lo, 0, v8
	v_add_nc_u32_e32 v8, 0xffffff89, v8
	v_cndmask_b32_e64 v78, v78, 0x77, vcc_lo
	v_cndmask_b32_e32 v77, v79, v77, vcc_lo
	v_cndmask_b32_e64 v8, v8, 0xffffff8a, vcc_lo
	v_lshl_add_u32 v79, 0x100000, v78, -1
	v_lshrrev_b32_e32 v88, v78, v77
	v_lshlrev_b32_e64 v90, v78, 0x80000
	v_add_nc_u32_e32 v78, v78, v8
	v_and_b32_e32 v77, v79, v77
	v_bfe_u32 v89, v88, 20, 1
	v_cmp_eq_u32_e64 s17, v77, v90
	v_add_nc_u32_e32 v79, -1, v89
	v_cndmask_b32_e64 v77, 0, v79, s17
	v_lshrrev_b32_e32 v79, 23, v88
	s_mov_b32 s17, exec_lo
	v_add_nc_u32_e32 v77, v77, v88
	v_xor_b32_e32 v79, 1, v79
	v_and_b32_e32 v8, 0xfffff, v77
	v_add_nc_u32_e32 v77, v8, v88
                                        ; implicit-def: $vgpr8
	v_cmpx_ne_u32_e64 v78, v79
	s_xor_b32 s17, exec_lo, s17
; %bb.8059:                             ;   in Loop: Header=BB4_7740 Depth=3
	v_cmp_lt_u32_e32 vcc_lo, 0xffffff, v77
	v_sub_nc_u32_e32 v8, v78, v79
	v_cndmask_b32_e64 v78, 0, 1, vcc_lo
	v_add_co_ci_u32_e64 v8, null, 0, v8, vcc_lo
	v_lshrrev_b32_e32 v77, v78, v77
; %bb.8060:                             ;   in Loop: Header=BB4_7740 Depth=3
	s_andn2_saveexec_b32 s17, s17
; %bb.8061:                             ;   in Loop: Header=BB4_7740 Depth=3
	v_bfe_u32 v8, v77, 23, 1
; %bb.8062:                             ;   in Loop: Header=BB4_7740 Depth=3
	s_or_b32 exec_lo, exec_lo, s17
	v_lshrrev_b32_e32 v77, 20, v77
	v_min_i32_e32 v78, 15, v8
	v_cmp_gt_i32_e32 vcc_lo, 16, v8
	v_and_b32_sdwa v9, v9, v118 dst_sel:DWORD dst_unused:UNUSED_PAD src0_sel:BYTE_3 src1_sel:DWORD
	v_lshlrev_b32_e32 v78, 3, v78
	v_cndmask_b32_e32 v77, 7, v77, vcc_lo
	v_and_b32_e32 v78, 0xf8, v78
	v_and_b32_e32 v79, 7, v77
	v_or_b32_e32 v8, v8, v77
	v_or3_b32 v9, v78, v9, v79
	v_cmp_ne_u32_e32 vcc_lo, 0, v8
	v_cndmask_b32_e32 v77, 0, v9, vcc_lo
.LBB4_8063:                             ;   in Loop: Header=BB4_7740 Depth=3
	s_or_b32 exec_lo, exec_lo, s74
.LBB4_8064:                             ;   in Loop: Header=BB4_7740 Depth=3
	s_or_b32 exec_lo, exec_lo, s73
	v_and_b32_sdwa v8, v119, v10 dst_sel:DWORD dst_unused:UNUSED_PAD src0_sel:DWORD src1_sel:BYTE_1
	s_mov_b32 s17, -1
	v_and_b32_e32 v9, 7, v8
	v_bfe_u32 v88, v8, 3, 4
	v_ffbh_u32_e32 v78, v9
	v_cmp_eq_u32_e32 vcc_lo, 0, v88
	v_min_u32_e32 v78, 32, v78
	v_subrev_nc_u32_e32 v79, 28, v78
	v_sub_nc_u32_e32 v78, 29, v78
	v_lshlrev_b32_e32 v8, v79, v8
	v_lshlrev_b32_sdwa v79, v41, v10 dst_sel:DWORD dst_unused:UNUSED_PAD src0_sel:DWORD src1_sel:BYTE_1
	v_cndmask_b32_e32 v78, v88, v78, vcc_lo
	v_and_b32_e32 v8, 7, v8
	v_lshl_add_u32 v78, v78, 23, 0x3b800000
	v_cndmask_b32_e32 v8, v9, v8, vcc_lo
	v_and_b32_e32 v9, 0x80000000, v79
	s_and_b32 vcc_lo, exec_lo, s23
	v_lshlrev_b32_e32 v8, 20, v8
	v_or3_b32 v8, v9, v78, v8
                                        ; implicit-def: $vgpr9
	s_cbranch_vccz .LBB4_8078
; %bb.8065:                             ;   in Loop: Header=BB4_7740 Depth=3
	v_cmp_gt_i16_sdwa s73, v14, v117 src0_sel:BYTE_1 src1_sel:DWORD
	s_mov_b32 s17, 0
	s_and_saveexec_b32 s74, s73
	s_xor_b32 s73, exec_lo, s74
	s_cbranch_execz .LBB4_8386
; %bb.8066:                             ;   in Loop: Header=BB4_7740 Depth=3
	v_cmp_eq_u16_sdwa s75, v14, v118 src0_sel:BYTE_1 src1_sel:DWORD
	s_mov_b32 s17, -1
	s_and_saveexec_b32 s74, s75
; %bb.8067:                             ;   in Loop: Header=BB4_7740 Depth=3
	s_xor_b32 s17, exec_lo, -1
; %bb.8068:                             ;   in Loop: Header=BB4_7740 Depth=3
	s_or_b32 exec_lo, exec_lo, s74
	s_and_b32 s17, s17, exec_lo
	s_or_saveexec_b32 s73, s73
	v_mov_b32_e32 v9, 0x7f800001
	s_xor_b32 exec_lo, exec_lo, s73
	s_cbranch_execnz .LBB4_8387
.LBB4_8069:                             ;   in Loop: Header=BB4_7740 Depth=3
	s_or_b32 exec_lo, exec_lo, s73
	s_and_saveexec_b32 s73, s17
	s_cbranch_execz .LBB4_8071
.LBB4_8070:                             ;   in Loop: Header=BB4_7740 Depth=3
	v_and_b32_sdwa v9, v119, v14 dst_sel:DWORD dst_unused:UNUSED_PAD src0_sel:DWORD src1_sel:BYTE_1
	v_and_b32_e32 v78, 7, v9
	v_bfe_u32 v89, v9, 3, 4
	v_ffbh_u32_e32 v79, v78
	v_cmp_eq_u32_e32 vcc_lo, 0, v89
	v_min_u32_e32 v79, 32, v79
	v_subrev_nc_u32_e32 v88, 28, v79
	v_sub_nc_u32_e32 v79, 29, v79
	v_lshlrev_b32_e32 v9, v88, v9
	v_lshlrev_b32_e32 v88, 16, v14
	v_cndmask_b32_e32 v79, v89, v79, vcc_lo
	v_and_b32_e32 v9, 7, v9
	v_lshl_add_u32 v79, v79, 23, 0x3b800000
	v_cndmask_b32_e32 v9, v78, v9, vcc_lo
	v_and_b32_e32 v78, 0x80000000, v88
	v_lshlrev_b32_e32 v9, 20, v9
	v_or3_b32 v9, v78, v79, v9
.LBB4_8071:                             ;   in Loop: Header=BB4_7740 Depth=3
	s_or_b32 exec_lo, exec_lo, s73
	v_cmp_gt_i16_sdwa s73, v10, v117 src0_sel:BYTE_1 src1_sel:DWORD
	s_mov_b32 s17, 0
	s_and_saveexec_b32 s74, s73
	s_xor_b32 s73, exec_lo, s74
	s_cbranch_execz .LBB4_8388
; %bb.8072:                             ;   in Loop: Header=BB4_7740 Depth=3
	v_cmp_eq_u16_sdwa s75, v10, v118 src0_sel:BYTE_1 src1_sel:DWORD
	s_mov_b32 s17, -1
	s_and_saveexec_b32 s74, s75
; %bb.8073:                             ;   in Loop: Header=BB4_7740 Depth=3
	s_xor_b32 s17, exec_lo, -1
; %bb.8074:                             ;   in Loop: Header=BB4_7740 Depth=3
	s_or_b32 exec_lo, exec_lo, s74
	s_and_b32 s17, s17, exec_lo
	s_or_saveexec_b32 s73, s73
	v_mov_b32_e32 v78, 0x7f800001
	s_xor_b32 exec_lo, exec_lo, s73
	s_cbranch_execnz .LBB4_8389
.LBB4_8075:                             ;   in Loop: Header=BB4_7740 Depth=3
	s_or_b32 exec_lo, exec_lo, s73
	s_and_saveexec_b32 s73, s17
.LBB4_8076:                             ;   in Loop: Header=BB4_7740 Depth=3
	v_mov_b32_e32 v78, v8
.LBB4_8077:                             ;   in Loop: Header=BB4_7740 Depth=3
	s_or_b32 exec_lo, exec_lo, s73
	v_max_f32_e32 v78, v78, v78
	v_max_f32_e32 v9, v9, v9
	s_mov_b32 s17, 0
	v_max_f32_e32 v9, v9, v78
.LBB4_8078:                             ;   in Loop: Header=BB4_7740 Depth=3
	s_and_b32 vcc_lo, exec_lo, s17
	s_cbranch_vccz .LBB4_8092
; %bb.8079:                             ;   in Loop: Header=BB4_7740 Depth=3
	v_cmp_gt_i16_sdwa s73, v14, v117 src0_sel:BYTE_1 src1_sel:DWORD
	s_mov_b32 s17, 0
	s_and_saveexec_b32 s74, s73
	s_xor_b32 s73, exec_lo, s74
	s_cbranch_execz .LBB4_8390
; %bb.8080:                             ;   in Loop: Header=BB4_7740 Depth=3
	v_cmp_eq_u16_sdwa s75, v14, v118 src0_sel:BYTE_1 src1_sel:DWORD
	s_mov_b32 s17, -1
	s_and_saveexec_b32 s74, s75
; %bb.8081:                             ;   in Loop: Header=BB4_7740 Depth=3
	s_xor_b32 s17, exec_lo, -1
; %bb.8082:                             ;   in Loop: Header=BB4_7740 Depth=3
	s_or_b32 exec_lo, exec_lo, s74
	s_and_b32 s17, s17, exec_lo
	s_or_saveexec_b32 s73, s73
	v_mov_b32_e32 v9, 0x7f800001
	s_xor_b32 exec_lo, exec_lo, s73
	s_cbranch_execnz .LBB4_8391
.LBB4_8083:                             ;   in Loop: Header=BB4_7740 Depth=3
	s_or_b32 exec_lo, exec_lo, s73
	s_and_saveexec_b32 s73, s17
	s_cbranch_execz .LBB4_8085
.LBB4_8084:                             ;   in Loop: Header=BB4_7740 Depth=3
	v_and_b32_sdwa v9, v119, v14 dst_sel:DWORD dst_unused:UNUSED_PAD src0_sel:DWORD src1_sel:BYTE_1
	v_and_b32_e32 v78, 7, v9
	v_bfe_u32 v89, v9, 3, 4
	v_ffbh_u32_e32 v79, v78
	v_cmp_eq_u32_e32 vcc_lo, 0, v89
	v_min_u32_e32 v79, 32, v79
	v_subrev_nc_u32_e32 v88, 28, v79
	v_sub_nc_u32_e32 v79, 29, v79
	v_lshlrev_b32_e32 v9, v88, v9
	v_lshlrev_b32_e32 v88, 16, v14
	v_cndmask_b32_e32 v79, v89, v79, vcc_lo
	v_and_b32_e32 v9, 7, v9
	v_lshl_add_u32 v79, v79, 23, 0x3b800000
	v_cndmask_b32_e32 v9, v78, v9, vcc_lo
	v_and_b32_e32 v78, 0x80000000, v88
	v_lshlrev_b32_e32 v9, 20, v9
	v_or3_b32 v9, v78, v79, v9
.LBB4_8085:                             ;   in Loop: Header=BB4_7740 Depth=3
	s_or_b32 exec_lo, exec_lo, s73
	v_cmp_gt_i16_sdwa s73, v10, v117 src0_sel:BYTE_1 src1_sel:DWORD
	s_mov_b32 s17, 0
	s_and_saveexec_b32 s74, s73
	s_xor_b32 s73, exec_lo, s74
	s_cbranch_execz .LBB4_8392
; %bb.8086:                             ;   in Loop: Header=BB4_7740 Depth=3
	v_cmp_eq_u16_sdwa s75, v10, v118 src0_sel:BYTE_1 src1_sel:DWORD
	s_mov_b32 s17, -1
	s_and_saveexec_b32 s74, s75
; %bb.8087:                             ;   in Loop: Header=BB4_7740 Depth=3
	s_xor_b32 s17, exec_lo, -1
; %bb.8088:                             ;   in Loop: Header=BB4_7740 Depth=3
	s_or_b32 exec_lo, exec_lo, s74
	s_and_b32 s17, s17, exec_lo
	s_or_saveexec_b32 s73, s73
	v_mov_b32_e32 v78, 0x7f800001
	s_xor_b32 exec_lo, exec_lo, s73
	s_cbranch_execnz .LBB4_8393
.LBB4_8089:                             ;   in Loop: Header=BB4_7740 Depth=3
	s_or_b32 exec_lo, exec_lo, s73
	s_and_saveexec_b32 s73, s17
.LBB4_8090:                             ;   in Loop: Header=BB4_7740 Depth=3
	v_mov_b32_e32 v78, v8
.LBB4_8091:                             ;   in Loop: Header=BB4_7740 Depth=3
	s_or_b32 exec_lo, exec_lo, s73
	v_max_f32_e32 v8, v78, v78
	v_max_f32_e32 v9, v9, v9
	v_min_f32_e32 v9, v9, v8
.LBB4_8092:                             ;   in Loop: Header=BB4_7740 Depth=3
	v_and_b32_e32 v8, 0x7f800000, v9
	v_mov_b32_e32 v78, 0x8000
	s_mov_b32 s73, exec_lo
	v_cmpx_ne_u32_e32 0x7f800000, v8
	s_cbranch_execz .LBB4_8100
; %bb.8093:                             ;   in Loop: Header=BB4_7740 Depth=3
	v_mov_b32_e32 v78, 0
	s_mov_b32 s74, exec_lo
	v_cmpx_ne_u32_e32 0, v9
	s_cbranch_execz .LBB4_8099
; %bb.8094:                             ;   in Loop: Header=BB4_7740 Depth=3
	v_bfe_u32 v8, v9, 23, 8
	v_and_b32_e32 v78, 0x7fffff, v9
	v_sub_nc_u32_e32 v79, 0x78, v8
	v_cmp_gt_u32_e32 vcc_lo, 0x79, v8
	v_or_b32_e32 v88, 0x800000, v78
	v_cndmask_b32_e32 v79, 0, v79, vcc_lo
	v_cmp_eq_u32_e32 vcc_lo, 0, v8
	v_add_nc_u32_e32 v8, 0xffffff89, v8
	v_cndmask_b32_e64 v79, v79, 0x77, vcc_lo
	v_cndmask_b32_e32 v78, v88, v78, vcc_lo
	v_cndmask_b32_e64 v8, v8, 0xffffff8a, vcc_lo
	v_lshl_add_u32 v88, 0x100000, v79, -1
	v_lshrrev_b32_e32 v89, v79, v78
	v_lshlrev_b32_e64 v91, v79, 0x80000
	v_add_nc_u32_e32 v79, v79, v8
	v_and_b32_e32 v78, v88, v78
	v_bfe_u32 v90, v89, 20, 1
	v_cmp_eq_u32_e64 s17, v78, v91
	v_add_nc_u32_e32 v88, -1, v90
	v_cndmask_b32_e64 v78, 0, v88, s17
	v_lshrrev_b32_e32 v88, 23, v89
	s_mov_b32 s17, exec_lo
	v_add_nc_u32_e32 v78, v78, v89
	v_xor_b32_e32 v88, 1, v88
	v_and_b32_e32 v8, 0xfffff, v78
	v_add_nc_u32_e32 v78, v8, v89
                                        ; implicit-def: $vgpr8
	v_cmpx_ne_u32_e64 v79, v88
	s_xor_b32 s17, exec_lo, s17
; %bb.8095:                             ;   in Loop: Header=BB4_7740 Depth=3
	v_cmp_lt_u32_e32 vcc_lo, 0xffffff, v78
	v_sub_nc_u32_e32 v8, v79, v88
	v_cndmask_b32_e64 v79, 0, 1, vcc_lo
	v_add_co_ci_u32_e64 v8, null, 0, v8, vcc_lo
	v_lshrrev_b32_e32 v78, v79, v78
; %bb.8096:                             ;   in Loop: Header=BB4_7740 Depth=3
	s_andn2_saveexec_b32 s17, s17
; %bb.8097:                             ;   in Loop: Header=BB4_7740 Depth=3
	v_bfe_u32 v8, v78, 23, 1
; %bb.8098:                             ;   in Loop: Header=BB4_7740 Depth=3
	s_or_b32 exec_lo, exec_lo, s17
	v_lshrrev_b32_e32 v78, 20, v78
	v_min_i32_e32 v79, 15, v8
	v_cmp_gt_i32_e32 vcc_lo, 16, v8
	v_and_b32_sdwa v9, v9, v118 dst_sel:DWORD dst_unused:UNUSED_PAD src0_sel:BYTE_3 src1_sel:DWORD
	v_lshlrev_b32_e32 v79, 3, v79
	v_cndmask_b32_e32 v78, 7, v78, vcc_lo
	v_and_b32_e32 v79, 0xf8, v79
	v_and_b32_e32 v88, 7, v78
	v_or_b32_e32 v8, v8, v78
	v_or3_b32 v9, v9, v79, v88
	v_cmp_ne_u32_e32 vcc_lo, 0, v8
	v_lshlrev_b32_e32 v9, 8, v9
	v_cndmask_b32_e32 v78, 0, v9, vcc_lo
.LBB4_8099:                             ;   in Loop: Header=BB4_7740 Depth=3
	s_or_b32 exec_lo, exec_lo, s74
.LBB4_8100:                             ;   in Loop: Header=BB4_7740 Depth=3
	s_or_b32 exec_lo, exec_lo, s73
	v_bfe_u32 v8, v10, 16, 3
	v_bfe_u32 v88, v10, 19, 4
	v_lshlrev_b32_e32 v89, 8, v10
	s_mov_b32 s17, -1
	v_ffbh_u32_e32 v9, v8
	v_cmp_eq_u32_e32 vcc_lo, 0, v88
	v_min_u32_e32 v9, 32, v9
	v_subrev_nc_u32_e32 v79, 28, v9
	v_sub_nc_u32_e32 v9, 29, v9
	v_lshlrev_b32_sdwa v79, v79, v10 dst_sel:DWORD dst_unused:UNUSED_PAD src0_sel:DWORD src1_sel:WORD_1
	v_cndmask_b32_e32 v9, v88, v9, vcc_lo
	v_and_b32_e32 v79, 7, v79
	v_lshl_add_u32 v9, v9, 23, 0x3b800000
	v_cndmask_b32_e32 v8, v8, v79, vcc_lo
	v_and_b32_e32 v79, 0x80000000, v89
	s_and_b32 vcc_lo, exec_lo, s23
	v_lshlrev_b32_e32 v8, 20, v8
	v_or3_b32 v8, v79, v9, v8
                                        ; implicit-def: $vgpr9
	s_cbranch_vccz .LBB4_8114
; %bb.8101:                             ;   in Loop: Header=BB4_7740 Depth=3
	v_and_b32_sdwa v79, v14, v40 dst_sel:DWORD dst_unused:UNUSED_PAD src0_sel:WORD_1 src1_sel:DWORD
	s_mov_b32 s17, 0
	s_mov_b32 s73, exec_lo
	v_cmpx_lt_i16_e32 0x7f, v79
	s_xor_b32 s73, exec_lo, s73
	s_cbranch_execz .LBB4_8394
; %bb.8102:                             ;   in Loop: Header=BB4_7740 Depth=3
	s_mov_b32 s17, -1
	s_mov_b32 s74, exec_lo
	v_cmpx_eq_u16_e32 0x80, v79
; %bb.8103:                             ;   in Loop: Header=BB4_7740 Depth=3
	s_xor_b32 s17, exec_lo, -1
; %bb.8104:                             ;   in Loop: Header=BB4_7740 Depth=3
	s_or_b32 exec_lo, exec_lo, s74
	s_and_b32 s17, s17, exec_lo
                                        ; implicit-def: $vgpr79
	s_or_saveexec_b32 s73, s73
	v_mov_b32_e32 v9, 0x7f800001
	s_xor_b32 exec_lo, exec_lo, s73
	s_cbranch_execnz .LBB4_8395
.LBB4_8105:                             ;   in Loop: Header=BB4_7740 Depth=3
	s_or_b32 exec_lo, exec_lo, s73
	s_and_saveexec_b32 s73, s17
	s_cbranch_execz .LBB4_8107
.LBB4_8106:                             ;   in Loop: Header=BB4_7740 Depth=3
	v_bfe_u32 v9, v14, 16, 3
	v_bfe_u32 v89, v14, 19, 4
	v_lshlrev_b32_sdwa v90, v41, v14 dst_sel:DWORD dst_unused:UNUSED_PAD src0_sel:DWORD src1_sel:WORD_1
	v_ffbh_u32_e32 v79, v9
	v_cmp_eq_u32_e32 vcc_lo, 0, v89
	v_min_u32_e32 v79, 32, v79
	v_subrev_nc_u32_e32 v88, 28, v79
	v_sub_nc_u32_e32 v79, 29, v79
	v_lshlrev_b32_sdwa v88, v88, v14 dst_sel:DWORD dst_unused:UNUSED_PAD src0_sel:DWORD src1_sel:WORD_1
	v_cndmask_b32_e32 v79, v89, v79, vcc_lo
	v_and_b32_e32 v88, 7, v88
	v_lshl_add_u32 v79, v79, 23, 0x3b800000
	v_cndmask_b32_e32 v9, v9, v88, vcc_lo
	v_and_b32_e32 v88, 0x80000000, v90
	v_lshlrev_b32_e32 v9, 20, v9
	v_or3_b32 v9, v88, v79, v9
.LBB4_8107:                             ;   in Loop: Header=BB4_7740 Depth=3
	s_or_b32 exec_lo, exec_lo, s73
	v_and_b32_sdwa v88, v10, v40 dst_sel:DWORD dst_unused:UNUSED_PAD src0_sel:WORD_1 src1_sel:DWORD
	s_mov_b32 s17, 0
	s_mov_b32 s73, exec_lo
	v_cmpx_lt_i16_e32 0x7f, v88
	s_xor_b32 s73, exec_lo, s73
	s_cbranch_execz .LBB4_8396
; %bb.8108:                             ;   in Loop: Header=BB4_7740 Depth=3
	s_mov_b32 s17, -1
	s_mov_b32 s74, exec_lo
	v_cmpx_eq_u16_e32 0x80, v88
; %bb.8109:                             ;   in Loop: Header=BB4_7740 Depth=3
	s_xor_b32 s17, exec_lo, -1
; %bb.8110:                             ;   in Loop: Header=BB4_7740 Depth=3
	s_or_b32 exec_lo, exec_lo, s74
	s_and_b32 s17, s17, exec_lo
                                        ; implicit-def: $vgpr88
	s_or_saveexec_b32 s73, s73
	v_mov_b32_e32 v79, 0x7f800001
	s_xor_b32 exec_lo, exec_lo, s73
	s_cbranch_execnz .LBB4_8397
.LBB4_8111:                             ;   in Loop: Header=BB4_7740 Depth=3
	s_or_b32 exec_lo, exec_lo, s73
	s_and_saveexec_b32 s73, s17
.LBB4_8112:                             ;   in Loop: Header=BB4_7740 Depth=3
	v_mov_b32_e32 v79, v8
.LBB4_8113:                             ;   in Loop: Header=BB4_7740 Depth=3
	s_or_b32 exec_lo, exec_lo, s73
	v_max_f32_e32 v79, v79, v79
	v_max_f32_e32 v9, v9, v9
	s_mov_b32 s17, 0
	v_max_f32_e32 v9, v9, v79
.LBB4_8114:                             ;   in Loop: Header=BB4_7740 Depth=3
	s_and_b32 vcc_lo, exec_lo, s17
	s_cbranch_vccz .LBB4_8128
; %bb.8115:                             ;   in Loop: Header=BB4_7740 Depth=3
	v_and_b32_sdwa v79, v14, v40 dst_sel:DWORD dst_unused:UNUSED_PAD src0_sel:WORD_1 src1_sel:DWORD
	s_mov_b32 s17, 0
	s_mov_b32 s73, exec_lo
	v_cmpx_lt_i16_e32 0x7f, v79
	s_xor_b32 s73, exec_lo, s73
	s_cbranch_execz .LBB4_8398
; %bb.8116:                             ;   in Loop: Header=BB4_7740 Depth=3
	s_mov_b32 s17, -1
	s_mov_b32 s74, exec_lo
	v_cmpx_eq_u16_e32 0x80, v79
; %bb.8117:                             ;   in Loop: Header=BB4_7740 Depth=3
	s_xor_b32 s17, exec_lo, -1
; %bb.8118:                             ;   in Loop: Header=BB4_7740 Depth=3
	s_or_b32 exec_lo, exec_lo, s74
	s_and_b32 s17, s17, exec_lo
                                        ; implicit-def: $vgpr79
	s_or_saveexec_b32 s73, s73
	v_mov_b32_e32 v9, 0x7f800001
	s_xor_b32 exec_lo, exec_lo, s73
	s_cbranch_execnz .LBB4_8399
.LBB4_8119:                             ;   in Loop: Header=BB4_7740 Depth=3
	s_or_b32 exec_lo, exec_lo, s73
	s_and_saveexec_b32 s73, s17
	s_cbranch_execz .LBB4_8121
.LBB4_8120:                             ;   in Loop: Header=BB4_7740 Depth=3
	v_bfe_u32 v9, v14, 16, 3
	v_bfe_u32 v89, v14, 19, 4
	v_lshlrev_b32_sdwa v90, v41, v14 dst_sel:DWORD dst_unused:UNUSED_PAD src0_sel:DWORD src1_sel:WORD_1
	v_ffbh_u32_e32 v79, v9
	v_cmp_eq_u32_e32 vcc_lo, 0, v89
	v_min_u32_e32 v79, 32, v79
	v_subrev_nc_u32_e32 v88, 28, v79
	v_sub_nc_u32_e32 v79, 29, v79
	v_lshlrev_b32_sdwa v88, v88, v14 dst_sel:DWORD dst_unused:UNUSED_PAD src0_sel:DWORD src1_sel:WORD_1
	v_cndmask_b32_e32 v79, v89, v79, vcc_lo
	v_and_b32_e32 v88, 7, v88
	v_lshl_add_u32 v79, v79, 23, 0x3b800000
	v_cndmask_b32_e32 v9, v9, v88, vcc_lo
	v_and_b32_e32 v88, 0x80000000, v90
	v_lshlrev_b32_e32 v9, 20, v9
	v_or3_b32 v9, v88, v79, v9
.LBB4_8121:                             ;   in Loop: Header=BB4_7740 Depth=3
	s_or_b32 exec_lo, exec_lo, s73
	v_and_b32_sdwa v88, v10, v40 dst_sel:DWORD dst_unused:UNUSED_PAD src0_sel:WORD_1 src1_sel:DWORD
	s_mov_b32 s17, 0
	s_mov_b32 s73, exec_lo
	v_cmpx_lt_i16_e32 0x7f, v88
	s_xor_b32 s73, exec_lo, s73
	s_cbranch_execz .LBB4_8400
; %bb.8122:                             ;   in Loop: Header=BB4_7740 Depth=3
	s_mov_b32 s17, -1
	s_mov_b32 s74, exec_lo
	v_cmpx_eq_u16_e32 0x80, v88
; %bb.8123:                             ;   in Loop: Header=BB4_7740 Depth=3
	s_xor_b32 s17, exec_lo, -1
; %bb.8124:                             ;   in Loop: Header=BB4_7740 Depth=3
	s_or_b32 exec_lo, exec_lo, s74
	s_and_b32 s17, s17, exec_lo
                                        ; implicit-def: $vgpr88
	s_or_saveexec_b32 s73, s73
	v_mov_b32_e32 v79, 0x7f800001
	s_xor_b32 exec_lo, exec_lo, s73
	s_cbranch_execnz .LBB4_8401
.LBB4_8125:                             ;   in Loop: Header=BB4_7740 Depth=3
	s_or_b32 exec_lo, exec_lo, s73
	s_and_saveexec_b32 s73, s17
.LBB4_8126:                             ;   in Loop: Header=BB4_7740 Depth=3
	v_mov_b32_e32 v79, v8
.LBB4_8127:                             ;   in Loop: Header=BB4_7740 Depth=3
	s_or_b32 exec_lo, exec_lo, s73
	v_max_f32_e32 v8, v79, v79
	v_max_f32_e32 v9, v9, v9
	v_min_f32_e32 v9, v9, v8
.LBB4_8128:                             ;   in Loop: Header=BB4_7740 Depth=3
	v_and_b32_e32 v8, 0x7f800000, v9
	v_mov_b32_e32 v79, 0x80
	s_mov_b32 s73, exec_lo
	v_cmpx_ne_u32_e32 0x7f800000, v8
	s_cbranch_execz .LBB4_8136
; %bb.8129:                             ;   in Loop: Header=BB4_7740 Depth=3
	v_mov_b32_e32 v79, 0
	s_mov_b32 s74, exec_lo
	v_cmpx_ne_u32_e32 0, v9
	s_cbranch_execz .LBB4_8135
; %bb.8130:                             ;   in Loop: Header=BB4_7740 Depth=3
	v_bfe_u32 v8, v9, 23, 8
	v_and_b32_e32 v79, 0x7fffff, v9
	v_sub_nc_u32_e32 v88, 0x78, v8
	v_cmp_gt_u32_e32 vcc_lo, 0x79, v8
	v_or_b32_e32 v89, 0x800000, v79
	v_cndmask_b32_e32 v88, 0, v88, vcc_lo
	v_cmp_eq_u32_e32 vcc_lo, 0, v8
	v_add_nc_u32_e32 v8, 0xffffff89, v8
	v_cndmask_b32_e64 v88, v88, 0x77, vcc_lo
	v_cndmask_b32_e32 v79, v89, v79, vcc_lo
	v_cndmask_b32_e64 v8, v8, 0xffffff8a, vcc_lo
	v_lshl_add_u32 v89, 0x100000, v88, -1
	v_lshrrev_b32_e32 v90, v88, v79
	v_lshlrev_b32_e64 v92, v88, 0x80000
	v_add_nc_u32_e32 v88, v88, v8
	v_and_b32_e32 v79, v89, v79
	v_bfe_u32 v91, v90, 20, 1
	v_cmp_eq_u32_e64 s17, v79, v92
	v_add_nc_u32_e32 v89, -1, v91
	v_cndmask_b32_e64 v79, 0, v89, s17
	v_lshrrev_b32_e32 v89, 23, v90
	s_mov_b32 s17, exec_lo
	v_add_nc_u32_e32 v79, v79, v90
	v_xor_b32_e32 v89, 1, v89
	v_and_b32_e32 v8, 0xfffff, v79
	v_add_nc_u32_e32 v79, v8, v90
                                        ; implicit-def: $vgpr8
	v_cmpx_ne_u32_e64 v88, v89
	s_xor_b32 s17, exec_lo, s17
; %bb.8131:                             ;   in Loop: Header=BB4_7740 Depth=3
	v_cmp_lt_u32_e32 vcc_lo, 0xffffff, v79
	v_sub_nc_u32_e32 v8, v88, v89
	v_cndmask_b32_e64 v88, 0, 1, vcc_lo
	v_add_co_ci_u32_e64 v8, null, 0, v8, vcc_lo
	v_lshrrev_b32_e32 v79, v88, v79
; %bb.8132:                             ;   in Loop: Header=BB4_7740 Depth=3
	s_andn2_saveexec_b32 s17, s17
; %bb.8133:                             ;   in Loop: Header=BB4_7740 Depth=3
	v_bfe_u32 v8, v79, 23, 1
; %bb.8134:                             ;   in Loop: Header=BB4_7740 Depth=3
	s_or_b32 exec_lo, exec_lo, s17
	v_lshrrev_b32_e32 v79, 20, v79
	v_min_i32_e32 v88, 15, v8
	v_cmp_gt_i32_e32 vcc_lo, 16, v8
	v_and_b32_sdwa v9, v9, v118 dst_sel:DWORD dst_unused:UNUSED_PAD src0_sel:BYTE_3 src1_sel:DWORD
	v_lshlrev_b32_e32 v88, 3, v88
	v_cndmask_b32_e32 v79, 7, v79, vcc_lo
	v_and_b32_e32 v88, 0xf8, v88
	v_and_b32_e32 v89, 7, v79
	v_or_b32_e32 v8, v8, v79
	v_or3_b32 v9, v88, v9, v89
	v_cmp_ne_u32_e32 vcc_lo, 0, v8
	v_cndmask_b32_e32 v79, 0, v9, vcc_lo
.LBB4_8135:                             ;   in Loop: Header=BB4_7740 Depth=3
	s_or_b32 exec_lo, exec_lo, s74
.LBB4_8136:                             ;   in Loop: Header=BB4_7740 Depth=3
	s_or_b32 exec_lo, exec_lo, s73
	v_bfe_u32 v8, v10, 24, 3
	v_bfe_u32 v89, v10, 27, 4
	s_mov_b32 s17, -1
	v_ffbh_u32_e32 v9, v8
	v_cmp_eq_u32_e32 vcc_lo, 0, v89
	v_min_u32_e32 v9, 32, v9
	v_subrev_nc_u32_e32 v88, 28, v9
	v_sub_nc_u32_e32 v9, 29, v9
	v_lshlrev_b32_sdwa v88, v88, v10 dst_sel:DWORD dst_unused:UNUSED_PAD src0_sel:DWORD src1_sel:BYTE_3
	v_cndmask_b32_e32 v9, v89, v9, vcc_lo
	v_and_b32_e32 v88, 7, v88
	v_lshl_add_u32 v9, v9, 23, 0x3b800000
	v_cndmask_b32_e32 v8, v8, v88, vcc_lo
	v_and_b32_e32 v88, 0x80000000, v10
	s_and_b32 vcc_lo, exec_lo, s23
	v_lshlrev_b32_e32 v8, 20, v8
	v_or3_b32 v8, v88, v9, v8
                                        ; implicit-def: $vgpr9
	s_cbranch_vccz .LBB4_8150
; %bb.8137:                             ;   in Loop: Header=BB4_7740 Depth=3
	v_cmp_gt_i16_sdwa s73, v14, v117 src0_sel:BYTE_3 src1_sel:DWORD
	s_mov_b32 s17, 0
	s_and_saveexec_b32 s74, s73
	s_xor_b32 s73, exec_lo, s74
	s_cbranch_execz .LBB4_8402
; %bb.8138:                             ;   in Loop: Header=BB4_7740 Depth=3
	v_cmp_eq_u16_sdwa s75, v14, v118 src0_sel:BYTE_3 src1_sel:DWORD
	s_mov_b32 s17, -1
	s_and_saveexec_b32 s74, s75
; %bb.8139:                             ;   in Loop: Header=BB4_7740 Depth=3
	s_xor_b32 s17, exec_lo, -1
; %bb.8140:                             ;   in Loop: Header=BB4_7740 Depth=3
	s_or_b32 exec_lo, exec_lo, s74
	s_and_b32 s17, s17, exec_lo
	s_or_saveexec_b32 s73, s73
	v_mov_b32_e32 v9, 0x7f800001
	s_xor_b32 exec_lo, exec_lo, s73
	s_cbranch_execnz .LBB4_8403
.LBB4_8141:                             ;   in Loop: Header=BB4_7740 Depth=3
	s_or_b32 exec_lo, exec_lo, s73
	s_and_saveexec_b32 s73, s17
	s_cbranch_execz .LBB4_8143
.LBB4_8142:                             ;   in Loop: Header=BB4_7740 Depth=3
	v_bfe_u32 v9, v14, 24, 3
	v_bfe_u32 v90, v14, 27, 4
	v_ffbh_u32_e32 v88, v9
	v_cmp_eq_u32_e32 vcc_lo, 0, v90
	v_min_u32_e32 v88, 32, v88
	v_subrev_nc_u32_e32 v89, 28, v88
	v_sub_nc_u32_e32 v88, 29, v88
	v_lshlrev_b32_sdwa v89, v89, v14 dst_sel:DWORD dst_unused:UNUSED_PAD src0_sel:DWORD src1_sel:BYTE_3
	v_cndmask_b32_e32 v88, v90, v88, vcc_lo
	v_and_b32_e32 v89, 7, v89
	v_lshl_add_u32 v88, v88, 23, 0x3b800000
	v_cndmask_b32_e32 v9, v9, v89, vcc_lo
	v_and_b32_e32 v89, 0x80000000, v14
	v_lshlrev_b32_e32 v9, 20, v9
	v_or3_b32 v9, v89, v88, v9
.LBB4_8143:                             ;   in Loop: Header=BB4_7740 Depth=3
	s_or_b32 exec_lo, exec_lo, s73
	v_cmp_gt_i16_sdwa s73, v10, v117 src0_sel:BYTE_3 src1_sel:DWORD
	s_mov_b32 s17, 0
	s_and_saveexec_b32 s74, s73
	s_xor_b32 s73, exec_lo, s74
	s_cbranch_execz .LBB4_8404
; %bb.8144:                             ;   in Loop: Header=BB4_7740 Depth=3
	v_cmp_eq_u16_sdwa s75, v10, v118 src0_sel:BYTE_3 src1_sel:DWORD
	s_mov_b32 s17, -1
	s_and_saveexec_b32 s74, s75
; %bb.8145:                             ;   in Loop: Header=BB4_7740 Depth=3
	s_xor_b32 s17, exec_lo, -1
; %bb.8146:                             ;   in Loop: Header=BB4_7740 Depth=3
	s_or_b32 exec_lo, exec_lo, s74
	s_and_b32 s17, s17, exec_lo
	s_or_saveexec_b32 s73, s73
	v_mov_b32_e32 v88, 0x7f800001
	s_xor_b32 exec_lo, exec_lo, s73
	s_cbranch_execnz .LBB4_8405
.LBB4_8147:                             ;   in Loop: Header=BB4_7740 Depth=3
	s_or_b32 exec_lo, exec_lo, s73
	s_and_saveexec_b32 s73, s17
.LBB4_8148:                             ;   in Loop: Header=BB4_7740 Depth=3
	v_mov_b32_e32 v88, v8
.LBB4_8149:                             ;   in Loop: Header=BB4_7740 Depth=3
	s_or_b32 exec_lo, exec_lo, s73
	v_max_f32_e32 v88, v88, v88
	v_max_f32_e32 v9, v9, v9
	s_mov_b32 s17, 0
	v_max_f32_e32 v9, v9, v88
.LBB4_8150:                             ;   in Loop: Header=BB4_7740 Depth=3
	s_and_b32 vcc_lo, exec_lo, s17
	s_cbranch_vccz .LBB4_8164
; %bb.8151:                             ;   in Loop: Header=BB4_7740 Depth=3
	v_cmp_gt_i16_sdwa s73, v14, v117 src0_sel:BYTE_3 src1_sel:DWORD
	s_mov_b32 s17, 0
	s_and_saveexec_b32 s74, s73
	s_xor_b32 s73, exec_lo, s74
	s_cbranch_execz .LBB4_8406
; %bb.8152:                             ;   in Loop: Header=BB4_7740 Depth=3
	v_cmp_eq_u16_sdwa s75, v14, v118 src0_sel:BYTE_3 src1_sel:DWORD
	s_mov_b32 s17, -1
	s_and_saveexec_b32 s74, s75
; %bb.8153:                             ;   in Loop: Header=BB4_7740 Depth=3
	s_xor_b32 s17, exec_lo, -1
; %bb.8154:                             ;   in Loop: Header=BB4_7740 Depth=3
	s_or_b32 exec_lo, exec_lo, s74
	s_and_b32 s17, s17, exec_lo
	s_or_saveexec_b32 s73, s73
	v_mov_b32_e32 v9, 0x7f800001
	s_xor_b32 exec_lo, exec_lo, s73
	s_cbranch_execnz .LBB4_8407
.LBB4_8155:                             ;   in Loop: Header=BB4_7740 Depth=3
	s_or_b32 exec_lo, exec_lo, s73
	s_and_saveexec_b32 s73, s17
	s_cbranch_execz .LBB4_8157
.LBB4_8156:                             ;   in Loop: Header=BB4_7740 Depth=3
	v_bfe_u32 v9, v14, 24, 3
	v_bfe_u32 v90, v14, 27, 4
	v_ffbh_u32_e32 v88, v9
	v_cmp_eq_u32_e32 vcc_lo, 0, v90
	v_min_u32_e32 v88, 32, v88
	v_subrev_nc_u32_e32 v89, 28, v88
	v_sub_nc_u32_e32 v88, 29, v88
	v_lshlrev_b32_sdwa v89, v89, v14 dst_sel:DWORD dst_unused:UNUSED_PAD src0_sel:DWORD src1_sel:BYTE_3
	v_cndmask_b32_e32 v88, v90, v88, vcc_lo
	v_and_b32_e32 v14, 0x80000000, v14
	v_and_b32_e32 v89, 7, v89
	v_lshl_add_u32 v88, v88, 23, 0x3b800000
	v_cndmask_b32_e32 v9, v9, v89, vcc_lo
	v_lshlrev_b32_e32 v9, 20, v9
	v_or3_b32 v9, v14, v88, v9
.LBB4_8157:                             ;   in Loop: Header=BB4_7740 Depth=3
	s_or_b32 exec_lo, exec_lo, s73
	v_cmp_gt_i16_sdwa s73, v10, v117 src0_sel:BYTE_3 src1_sel:DWORD
	s_mov_b32 s17, 0
	s_and_saveexec_b32 s74, s73
	s_xor_b32 s73, exec_lo, s74
	s_cbranch_execz .LBB4_8408
; %bb.8158:                             ;   in Loop: Header=BB4_7740 Depth=3
	v_cmp_eq_u16_sdwa s75, v10, v118 src0_sel:BYTE_3 src1_sel:DWORD
	s_mov_b32 s17, -1
	s_and_saveexec_b32 s74, s75
; %bb.8159:                             ;   in Loop: Header=BB4_7740 Depth=3
	s_xor_b32 s17, exec_lo, -1
; %bb.8160:                             ;   in Loop: Header=BB4_7740 Depth=3
	s_or_b32 exec_lo, exec_lo, s74
	s_and_b32 s17, s17, exec_lo
	s_or_saveexec_b32 s73, s73
	v_mov_b32_e32 v14, 0x7f800001
	s_xor_b32 exec_lo, exec_lo, s73
	s_cbranch_execnz .LBB4_8409
.LBB4_8161:                             ;   in Loop: Header=BB4_7740 Depth=3
	s_or_b32 exec_lo, exec_lo, s73
	s_and_saveexec_b32 s73, s17
.LBB4_8162:                             ;   in Loop: Header=BB4_7740 Depth=3
	v_mov_b32_e32 v14, v8
.LBB4_8163:                             ;   in Loop: Header=BB4_7740 Depth=3
	s_or_b32 exec_lo, exec_lo, s73
	v_max_f32_e32 v8, v14, v14
	v_max_f32_e32 v9, v9, v9
	v_min_f32_e32 v9, v9, v8
.LBB4_8164:                             ;   in Loop: Header=BB4_7740 Depth=3
	v_and_b32_e32 v8, 0x7f800000, v9
	v_mov_b32_e32 v14, 0x8000
	s_mov_b32 s73, exec_lo
	v_cmpx_ne_u32_e32 0x7f800000, v8
	s_cbranch_execz .LBB4_8172
; %bb.8165:                             ;   in Loop: Header=BB4_7740 Depth=3
	v_mov_b32_e32 v14, 0
	s_mov_b32 s74, exec_lo
	v_cmpx_ne_u32_e32 0, v9
	s_cbranch_execz .LBB4_8171
; %bb.8166:                             ;   in Loop: Header=BB4_7740 Depth=3
	v_bfe_u32 v8, v9, 23, 8
	v_and_b32_e32 v10, 0x7fffff, v9
	v_sub_nc_u32_e32 v14, 0x78, v8
	v_cmp_gt_u32_e32 vcc_lo, 0x79, v8
	v_or_b32_e32 v88, 0x800000, v10
	v_cndmask_b32_e32 v14, 0, v14, vcc_lo
	v_cmp_eq_u32_e32 vcc_lo, 0, v8
	v_add_nc_u32_e32 v8, 0xffffff89, v8
	v_cndmask_b32_e64 v14, v14, 0x77, vcc_lo
	v_cndmask_b32_e32 v10, v88, v10, vcc_lo
	v_cndmask_b32_e64 v8, v8, 0xffffff8a, vcc_lo
	v_lshl_add_u32 v88, 0x100000, v14, -1
	v_lshrrev_b32_e32 v89, v14, v10
	v_lshlrev_b32_e64 v91, v14, 0x80000
	v_add_nc_u32_e32 v14, v14, v8
	v_and_b32_e32 v10, v88, v10
	v_bfe_u32 v90, v89, 20, 1
	v_cmp_eq_u32_e64 s17, v10, v91
	v_add_nc_u32_e32 v88, -1, v90
	v_cndmask_b32_e64 v10, 0, v88, s17
	v_lshrrev_b32_e32 v88, 23, v89
	s_mov_b32 s17, exec_lo
	v_add_nc_u32_e32 v10, v10, v89
	v_xor_b32_e32 v88, 1, v88
	v_and_b32_e32 v8, 0xfffff, v10
	v_add_nc_u32_e32 v10, v8, v89
                                        ; implicit-def: $vgpr8
	v_cmpx_ne_u32_e64 v14, v88
	s_xor_b32 s17, exec_lo, s17
; %bb.8167:                             ;   in Loop: Header=BB4_7740 Depth=3
	v_cmp_lt_u32_e32 vcc_lo, 0xffffff, v10
	v_sub_nc_u32_e32 v8, v14, v88
	v_cndmask_b32_e64 v14, 0, 1, vcc_lo
	v_add_co_ci_u32_e64 v8, null, 0, v8, vcc_lo
	v_lshrrev_b32_e32 v10, v14, v10
; %bb.8168:                             ;   in Loop: Header=BB4_7740 Depth=3
	s_andn2_saveexec_b32 s17, s17
; %bb.8169:                             ;   in Loop: Header=BB4_7740 Depth=3
	v_bfe_u32 v8, v10, 23, 1
; %bb.8170:                             ;   in Loop: Header=BB4_7740 Depth=3
	s_or_b32 exec_lo, exec_lo, s17
	v_lshrrev_b32_e32 v10, 20, v10
	v_min_i32_e32 v14, 15, v8
	v_cmp_gt_i32_e32 vcc_lo, 16, v8
	v_and_b32_sdwa v9, v9, v118 dst_sel:DWORD dst_unused:UNUSED_PAD src0_sel:BYTE_3 src1_sel:DWORD
	v_lshlrev_b32_e32 v14, 3, v14
	v_cndmask_b32_e32 v10, 7, v10, vcc_lo
	v_and_b32_e32 v14, 0xf8, v14
	v_and_b32_e32 v88, 7, v10
	v_or_b32_e32 v8, v8, v10
	v_or3_b32 v9, v9, v14, v88
	v_cmp_ne_u32_e32 vcc_lo, 0, v8
	v_lshlrev_b32_e32 v9, 8, v9
	v_cndmask_b32_e32 v14, 0, v9, vcc_lo
.LBB4_8171:                             ;   in Loop: Header=BB4_7740 Depth=3
	s_or_b32 exec_lo, exec_lo, s74
.LBB4_8172:                             ;   in Loop: Header=BB4_7740 Depth=3
	s_or_b32 exec_lo, exec_lo, s73
	v_and_b32_e32 v8, 7, v11
	v_bfe_u32 v88, v11, 3, 4
	v_lshlrev_b32_e32 v89, 24, v11
	s_mov_b32 s17, -1
	v_ffbh_u32_e32 v9, v8
	v_cmp_eq_u32_e32 vcc_lo, 0, v88
	v_min_u32_e32 v9, 32, v9
	v_subrev_nc_u32_e32 v10, 28, v9
	v_sub_nc_u32_e32 v9, 29, v9
	v_lshlrev_b32_e32 v10, v10, v11
	v_cndmask_b32_e32 v9, v88, v9, vcc_lo
	v_and_b32_e32 v10, 7, v10
	v_lshl_add_u32 v9, v9, 23, 0x3b800000
	v_cndmask_b32_e32 v8, v8, v10, vcc_lo
	v_and_b32_e32 v10, 0x80000000, v89
	s_and_b32 vcc_lo, exec_lo, s23
	v_lshlrev_b32_e32 v8, 20, v8
	v_or3_b32 v8, v10, v9, v8
                                        ; implicit-def: $vgpr9
	s_cbranch_vccz .LBB4_8186
; %bb.8173:                             ;   in Loop: Header=BB4_7740 Depth=3
	v_cmp_gt_i16_sdwa s73, v15, v117 src0_sel:BYTE_0 src1_sel:DWORD
	s_mov_b32 s17, 0
	s_and_saveexec_b32 s74, s73
	s_xor_b32 s73, exec_lo, s74
	s_cbranch_execz .LBB4_8410
; %bb.8174:                             ;   in Loop: Header=BB4_7740 Depth=3
	v_cmp_eq_u16_sdwa s75, v15, v118 src0_sel:BYTE_0 src1_sel:DWORD
	s_mov_b32 s17, -1
	s_and_saveexec_b32 s74, s75
; %bb.8175:                             ;   in Loop: Header=BB4_7740 Depth=3
	s_xor_b32 s17, exec_lo, -1
; %bb.8176:                             ;   in Loop: Header=BB4_7740 Depth=3
	s_or_b32 exec_lo, exec_lo, s74
	s_and_b32 s17, s17, exec_lo
	s_or_saveexec_b32 s73, s73
	v_mov_b32_e32 v9, 0x7f800001
	s_xor_b32 exec_lo, exec_lo, s73
	s_cbranch_execnz .LBB4_8411
.LBB4_8177:                             ;   in Loop: Header=BB4_7740 Depth=3
	s_or_b32 exec_lo, exec_lo, s73
	s_and_saveexec_b32 s73, s17
	s_cbranch_execz .LBB4_8179
.LBB4_8178:                             ;   in Loop: Header=BB4_7740 Depth=3
	v_and_b32_e32 v9, 7, v15
	v_bfe_u32 v89, v15, 3, 4
	v_lshlrev_b32_e32 v90, 24, v15
	v_ffbh_u32_e32 v10, v9
	v_cmp_eq_u32_e32 vcc_lo, 0, v89
	v_min_u32_e32 v10, 32, v10
	v_subrev_nc_u32_e32 v88, 28, v10
	v_sub_nc_u32_e32 v10, 29, v10
	v_lshlrev_b32_e32 v88, v88, v15
	v_cndmask_b32_e32 v10, v89, v10, vcc_lo
	v_and_b32_e32 v88, 7, v88
	v_lshl_add_u32 v10, v10, 23, 0x3b800000
	v_cndmask_b32_e32 v9, v9, v88, vcc_lo
	v_and_b32_e32 v88, 0x80000000, v90
	v_lshlrev_b32_e32 v9, 20, v9
	v_or3_b32 v9, v88, v10, v9
.LBB4_8179:                             ;   in Loop: Header=BB4_7740 Depth=3
	s_or_b32 exec_lo, exec_lo, s73
	v_cmp_gt_i16_sdwa s73, v11, v117 src0_sel:BYTE_0 src1_sel:DWORD
	s_mov_b32 s17, 0
	s_and_saveexec_b32 s74, s73
	s_xor_b32 s73, exec_lo, s74
	s_cbranch_execz .LBB4_8412
; %bb.8180:                             ;   in Loop: Header=BB4_7740 Depth=3
	v_cmp_eq_u16_sdwa s75, v11, v118 src0_sel:BYTE_0 src1_sel:DWORD
	s_mov_b32 s17, -1
	s_and_saveexec_b32 s74, s75
; %bb.8181:                             ;   in Loop: Header=BB4_7740 Depth=3
	s_xor_b32 s17, exec_lo, -1
; %bb.8182:                             ;   in Loop: Header=BB4_7740 Depth=3
	s_or_b32 exec_lo, exec_lo, s74
	s_and_b32 s17, s17, exec_lo
	s_or_saveexec_b32 s73, s73
	v_mov_b32_e32 v10, 0x7f800001
	s_xor_b32 exec_lo, exec_lo, s73
	s_cbranch_execnz .LBB4_8413
.LBB4_8183:                             ;   in Loop: Header=BB4_7740 Depth=3
	s_or_b32 exec_lo, exec_lo, s73
	s_and_saveexec_b32 s73, s17
.LBB4_8184:                             ;   in Loop: Header=BB4_7740 Depth=3
	v_mov_b32_e32 v10, v8
.LBB4_8185:                             ;   in Loop: Header=BB4_7740 Depth=3
	s_or_b32 exec_lo, exec_lo, s73
	v_max_f32_e32 v10, v10, v10
	v_max_f32_e32 v9, v9, v9
	s_mov_b32 s17, 0
	v_max_f32_e32 v9, v9, v10
.LBB4_8186:                             ;   in Loop: Header=BB4_7740 Depth=3
	s_and_b32 vcc_lo, exec_lo, s17
	s_cbranch_vccz .LBB4_8200
; %bb.8187:                             ;   in Loop: Header=BB4_7740 Depth=3
	v_cmp_gt_i16_sdwa s73, v15, v117 src0_sel:BYTE_0 src1_sel:DWORD
	s_mov_b32 s17, 0
	s_and_saveexec_b32 s74, s73
	s_xor_b32 s73, exec_lo, s74
	s_cbranch_execz .LBB4_8414
; %bb.8188:                             ;   in Loop: Header=BB4_7740 Depth=3
	v_cmp_eq_u16_sdwa s75, v15, v118 src0_sel:BYTE_0 src1_sel:DWORD
	s_mov_b32 s17, -1
	s_and_saveexec_b32 s74, s75
; %bb.8189:                             ;   in Loop: Header=BB4_7740 Depth=3
	s_xor_b32 s17, exec_lo, -1
; %bb.8190:                             ;   in Loop: Header=BB4_7740 Depth=3
	s_or_b32 exec_lo, exec_lo, s74
	s_and_b32 s17, s17, exec_lo
	s_or_saveexec_b32 s73, s73
	v_mov_b32_e32 v9, 0x7f800001
	s_xor_b32 exec_lo, exec_lo, s73
	s_cbranch_execnz .LBB4_8415
.LBB4_8191:                             ;   in Loop: Header=BB4_7740 Depth=3
	s_or_b32 exec_lo, exec_lo, s73
	s_and_saveexec_b32 s73, s17
	s_cbranch_execz .LBB4_8193
.LBB4_8192:                             ;   in Loop: Header=BB4_7740 Depth=3
	v_and_b32_e32 v9, 7, v15
	v_bfe_u32 v89, v15, 3, 4
	v_lshlrev_b32_e32 v90, 24, v15
	v_ffbh_u32_e32 v10, v9
	v_cmp_eq_u32_e32 vcc_lo, 0, v89
	v_min_u32_e32 v10, 32, v10
	v_subrev_nc_u32_e32 v88, 28, v10
	v_sub_nc_u32_e32 v10, 29, v10
	v_lshlrev_b32_e32 v88, v88, v15
	v_cndmask_b32_e32 v10, v89, v10, vcc_lo
	v_and_b32_e32 v88, 7, v88
	v_lshl_add_u32 v10, v10, 23, 0x3b800000
	v_cndmask_b32_e32 v9, v9, v88, vcc_lo
	v_and_b32_e32 v88, 0x80000000, v90
	v_lshlrev_b32_e32 v9, 20, v9
	v_or3_b32 v9, v88, v10, v9
.LBB4_8193:                             ;   in Loop: Header=BB4_7740 Depth=3
	s_or_b32 exec_lo, exec_lo, s73
	v_cmp_gt_i16_sdwa s73, v11, v117 src0_sel:BYTE_0 src1_sel:DWORD
	s_mov_b32 s17, 0
	s_and_saveexec_b32 s74, s73
	s_xor_b32 s73, exec_lo, s74
	s_cbranch_execz .LBB4_8416
; %bb.8194:                             ;   in Loop: Header=BB4_7740 Depth=3
	v_cmp_eq_u16_sdwa s75, v11, v118 src0_sel:BYTE_0 src1_sel:DWORD
	s_mov_b32 s17, -1
	s_and_saveexec_b32 s74, s75
; %bb.8195:                             ;   in Loop: Header=BB4_7740 Depth=3
	s_xor_b32 s17, exec_lo, -1
; %bb.8196:                             ;   in Loop: Header=BB4_7740 Depth=3
	s_or_b32 exec_lo, exec_lo, s74
	s_and_b32 s17, s17, exec_lo
	s_or_saveexec_b32 s73, s73
	v_mov_b32_e32 v10, 0x7f800001
	s_xor_b32 exec_lo, exec_lo, s73
	s_cbranch_execnz .LBB4_8417
.LBB4_8197:                             ;   in Loop: Header=BB4_7740 Depth=3
	s_or_b32 exec_lo, exec_lo, s73
	s_and_saveexec_b32 s73, s17
.LBB4_8198:                             ;   in Loop: Header=BB4_7740 Depth=3
	v_mov_b32_e32 v10, v8
.LBB4_8199:                             ;   in Loop: Header=BB4_7740 Depth=3
	s_or_b32 exec_lo, exec_lo, s73
	v_max_f32_e32 v8, v10, v10
	v_max_f32_e32 v9, v9, v9
	v_min_f32_e32 v9, v9, v8
.LBB4_8200:                             ;   in Loop: Header=BB4_7740 Depth=3
	v_and_b32_e32 v8, 0x7f800000, v9
	v_mov_b32_e32 v88, 0x80
	s_mov_b32 s73, exec_lo
	v_cmpx_ne_u32_e32 0x7f800000, v8
	s_cbranch_execz .LBB4_8208
; %bb.8201:                             ;   in Loop: Header=BB4_7740 Depth=3
	v_mov_b32_e32 v88, 0
	s_mov_b32 s74, exec_lo
	v_cmpx_ne_u32_e32 0, v9
	s_cbranch_execz .LBB4_8207
; %bb.8202:                             ;   in Loop: Header=BB4_7740 Depth=3
	v_bfe_u32 v8, v9, 23, 8
	v_and_b32_e32 v10, 0x7fffff, v9
	v_sub_nc_u32_e32 v88, 0x78, v8
	v_cmp_gt_u32_e32 vcc_lo, 0x79, v8
	v_or_b32_e32 v89, 0x800000, v10
	v_cndmask_b32_e32 v88, 0, v88, vcc_lo
	v_cmp_eq_u32_e32 vcc_lo, 0, v8
	v_add_nc_u32_e32 v8, 0xffffff89, v8
	v_cndmask_b32_e64 v88, v88, 0x77, vcc_lo
	v_cndmask_b32_e32 v10, v89, v10, vcc_lo
	v_cndmask_b32_e64 v8, v8, 0xffffff8a, vcc_lo
	v_lshl_add_u32 v89, 0x100000, v88, -1
	v_lshrrev_b32_e32 v90, v88, v10
	v_lshlrev_b32_e64 v92, v88, 0x80000
	v_add_nc_u32_e32 v88, v88, v8
	v_and_b32_e32 v10, v89, v10
	v_bfe_u32 v91, v90, 20, 1
	v_cmp_eq_u32_e64 s17, v10, v92
	v_add_nc_u32_e32 v89, -1, v91
	v_cndmask_b32_e64 v10, 0, v89, s17
	v_lshrrev_b32_e32 v89, 23, v90
	s_mov_b32 s17, exec_lo
	v_add_nc_u32_e32 v10, v10, v90
	v_xor_b32_e32 v89, 1, v89
	v_and_b32_e32 v8, 0xfffff, v10
	v_add_nc_u32_e32 v10, v8, v90
                                        ; implicit-def: $vgpr8
	v_cmpx_ne_u32_e64 v88, v89
	s_xor_b32 s17, exec_lo, s17
; %bb.8203:                             ;   in Loop: Header=BB4_7740 Depth=3
	v_cmp_lt_u32_e32 vcc_lo, 0xffffff, v10
	v_sub_nc_u32_e32 v8, v88, v89
	v_cndmask_b32_e64 v88, 0, 1, vcc_lo
	v_add_co_ci_u32_e64 v8, null, 0, v8, vcc_lo
	v_lshrrev_b32_e32 v10, v88, v10
; %bb.8204:                             ;   in Loop: Header=BB4_7740 Depth=3
	s_andn2_saveexec_b32 s17, s17
; %bb.8205:                             ;   in Loop: Header=BB4_7740 Depth=3
	v_bfe_u32 v8, v10, 23, 1
; %bb.8206:                             ;   in Loop: Header=BB4_7740 Depth=3
	s_or_b32 exec_lo, exec_lo, s17
	v_lshrrev_b32_e32 v10, 20, v10
	v_min_i32_e32 v88, 15, v8
	v_cmp_gt_i32_e32 vcc_lo, 16, v8
	v_and_b32_sdwa v9, v9, v118 dst_sel:DWORD dst_unused:UNUSED_PAD src0_sel:BYTE_3 src1_sel:DWORD
	v_lshlrev_b32_e32 v88, 3, v88
	v_cndmask_b32_e32 v10, 7, v10, vcc_lo
	v_and_b32_e32 v88, 0xf8, v88
	v_and_b32_e32 v89, 7, v10
	v_or_b32_e32 v8, v8, v10
	v_or3_b32 v9, v88, v9, v89
	v_cmp_ne_u32_e32 vcc_lo, 0, v8
	v_cndmask_b32_e32 v88, 0, v9, vcc_lo
.LBB4_8207:                             ;   in Loop: Header=BB4_7740 Depth=3
	s_or_b32 exec_lo, exec_lo, s74
.LBB4_8208:                             ;   in Loop: Header=BB4_7740 Depth=3
	s_or_b32 exec_lo, exec_lo, s73
	v_and_b32_sdwa v8, v119, v11 dst_sel:DWORD dst_unused:UNUSED_PAD src0_sel:DWORD src1_sel:BYTE_1
	s_mov_b32 s17, -1
	v_and_b32_e32 v9, 7, v8
	v_bfe_u32 v90, v8, 3, 4
	v_ffbh_u32_e32 v10, v9
	v_cmp_eq_u32_e32 vcc_lo, 0, v90
	v_min_u32_e32 v10, 32, v10
	v_subrev_nc_u32_e32 v89, 28, v10
	v_sub_nc_u32_e32 v10, 29, v10
	v_lshlrev_b32_e32 v8, v89, v8
	v_lshlrev_b32_sdwa v89, v41, v11 dst_sel:DWORD dst_unused:UNUSED_PAD src0_sel:DWORD src1_sel:BYTE_1
	v_cndmask_b32_e32 v10, v90, v10, vcc_lo
	v_and_b32_e32 v8, 7, v8
	v_lshl_add_u32 v10, v10, 23, 0x3b800000
	v_cndmask_b32_e32 v8, v9, v8, vcc_lo
	v_and_b32_e32 v9, 0x80000000, v89
	s_and_b32 vcc_lo, exec_lo, s23
	v_lshlrev_b32_e32 v8, 20, v8
	v_or3_b32 v8, v9, v10, v8
                                        ; implicit-def: $vgpr9
	s_cbranch_vccz .LBB4_8222
; %bb.8209:                             ;   in Loop: Header=BB4_7740 Depth=3
	v_cmp_gt_i16_sdwa s73, v15, v117 src0_sel:BYTE_1 src1_sel:DWORD
	s_mov_b32 s17, 0
	s_and_saveexec_b32 s74, s73
	s_xor_b32 s73, exec_lo, s74
	s_cbranch_execz .LBB4_8418
; %bb.8210:                             ;   in Loop: Header=BB4_7740 Depth=3
	v_cmp_eq_u16_sdwa s75, v15, v118 src0_sel:BYTE_1 src1_sel:DWORD
	s_mov_b32 s17, -1
	s_and_saveexec_b32 s74, s75
; %bb.8211:                             ;   in Loop: Header=BB4_7740 Depth=3
	s_xor_b32 s17, exec_lo, -1
; %bb.8212:                             ;   in Loop: Header=BB4_7740 Depth=3
	s_or_b32 exec_lo, exec_lo, s74
	s_and_b32 s17, s17, exec_lo
	s_or_saveexec_b32 s73, s73
	v_mov_b32_e32 v9, 0x7f800001
	s_xor_b32 exec_lo, exec_lo, s73
	s_cbranch_execnz .LBB4_8419
.LBB4_8213:                             ;   in Loop: Header=BB4_7740 Depth=3
	s_or_b32 exec_lo, exec_lo, s73
	s_and_saveexec_b32 s73, s17
	s_cbranch_execz .LBB4_8215
.LBB4_8214:                             ;   in Loop: Header=BB4_7740 Depth=3
	v_and_b32_sdwa v9, v119, v15 dst_sel:DWORD dst_unused:UNUSED_PAD src0_sel:DWORD src1_sel:BYTE_1
	v_and_b32_e32 v10, 7, v9
	v_bfe_u32 v91, v9, 3, 4
	v_ffbh_u32_e32 v89, v10
	v_cmp_eq_u32_e32 vcc_lo, 0, v91
	v_min_u32_e32 v89, 32, v89
	v_subrev_nc_u32_e32 v90, 28, v89
	v_sub_nc_u32_e32 v89, 29, v89
	v_lshlrev_b32_e32 v9, v90, v9
	v_lshlrev_b32_e32 v90, 16, v15
	v_cndmask_b32_e32 v89, v91, v89, vcc_lo
	v_and_b32_e32 v9, 7, v9
	v_lshl_add_u32 v89, v89, 23, 0x3b800000
	v_cndmask_b32_e32 v9, v10, v9, vcc_lo
	v_and_b32_e32 v10, 0x80000000, v90
	v_lshlrev_b32_e32 v9, 20, v9
	v_or3_b32 v9, v10, v89, v9
.LBB4_8215:                             ;   in Loop: Header=BB4_7740 Depth=3
	s_or_b32 exec_lo, exec_lo, s73
	v_cmp_gt_i16_sdwa s73, v11, v117 src0_sel:BYTE_1 src1_sel:DWORD
	s_mov_b32 s17, 0
	s_and_saveexec_b32 s74, s73
	s_xor_b32 s73, exec_lo, s74
	s_cbranch_execz .LBB4_8420
; %bb.8216:                             ;   in Loop: Header=BB4_7740 Depth=3
	v_cmp_eq_u16_sdwa s75, v11, v118 src0_sel:BYTE_1 src1_sel:DWORD
	s_mov_b32 s17, -1
	s_and_saveexec_b32 s74, s75
; %bb.8217:                             ;   in Loop: Header=BB4_7740 Depth=3
	s_xor_b32 s17, exec_lo, -1
; %bb.8218:                             ;   in Loop: Header=BB4_7740 Depth=3
	s_or_b32 exec_lo, exec_lo, s74
	s_and_b32 s17, s17, exec_lo
	s_or_saveexec_b32 s73, s73
	v_mov_b32_e32 v10, 0x7f800001
	s_xor_b32 exec_lo, exec_lo, s73
	s_cbranch_execnz .LBB4_8421
.LBB4_8219:                             ;   in Loop: Header=BB4_7740 Depth=3
	s_or_b32 exec_lo, exec_lo, s73
	s_and_saveexec_b32 s73, s17
.LBB4_8220:                             ;   in Loop: Header=BB4_7740 Depth=3
	v_mov_b32_e32 v10, v8
.LBB4_8221:                             ;   in Loop: Header=BB4_7740 Depth=3
	s_or_b32 exec_lo, exec_lo, s73
	v_max_f32_e32 v10, v10, v10
	v_max_f32_e32 v9, v9, v9
	s_mov_b32 s17, 0
	v_max_f32_e32 v9, v9, v10
.LBB4_8222:                             ;   in Loop: Header=BB4_7740 Depth=3
	s_and_b32 vcc_lo, exec_lo, s17
	s_cbranch_vccz .LBB4_8236
; %bb.8223:                             ;   in Loop: Header=BB4_7740 Depth=3
	v_cmp_gt_i16_sdwa s73, v15, v117 src0_sel:BYTE_1 src1_sel:DWORD
	s_mov_b32 s17, 0
	s_and_saveexec_b32 s74, s73
	s_xor_b32 s73, exec_lo, s74
	s_cbranch_execz .LBB4_8422
; %bb.8224:                             ;   in Loop: Header=BB4_7740 Depth=3
	v_cmp_eq_u16_sdwa s75, v15, v118 src0_sel:BYTE_1 src1_sel:DWORD
	s_mov_b32 s17, -1
	s_and_saveexec_b32 s74, s75
; %bb.8225:                             ;   in Loop: Header=BB4_7740 Depth=3
	s_xor_b32 s17, exec_lo, -1
; %bb.8226:                             ;   in Loop: Header=BB4_7740 Depth=3
	s_or_b32 exec_lo, exec_lo, s74
	s_and_b32 s17, s17, exec_lo
	s_or_saveexec_b32 s73, s73
	v_mov_b32_e32 v9, 0x7f800001
	s_xor_b32 exec_lo, exec_lo, s73
	s_cbranch_execnz .LBB4_8423
.LBB4_8227:                             ;   in Loop: Header=BB4_7740 Depth=3
	s_or_b32 exec_lo, exec_lo, s73
	s_and_saveexec_b32 s73, s17
	s_cbranch_execz .LBB4_8229
.LBB4_8228:                             ;   in Loop: Header=BB4_7740 Depth=3
	v_and_b32_sdwa v9, v119, v15 dst_sel:DWORD dst_unused:UNUSED_PAD src0_sel:DWORD src1_sel:BYTE_1
	v_and_b32_e32 v10, 7, v9
	v_bfe_u32 v91, v9, 3, 4
	v_ffbh_u32_e32 v89, v10
	v_cmp_eq_u32_e32 vcc_lo, 0, v91
	v_min_u32_e32 v89, 32, v89
	v_subrev_nc_u32_e32 v90, 28, v89
	v_sub_nc_u32_e32 v89, 29, v89
	v_lshlrev_b32_e32 v9, v90, v9
	v_lshlrev_b32_e32 v90, 16, v15
	v_cndmask_b32_e32 v89, v91, v89, vcc_lo
	v_and_b32_e32 v9, 7, v9
	v_lshl_add_u32 v89, v89, 23, 0x3b800000
	v_cndmask_b32_e32 v9, v10, v9, vcc_lo
	v_and_b32_e32 v10, 0x80000000, v90
	v_lshlrev_b32_e32 v9, 20, v9
	v_or3_b32 v9, v10, v89, v9
.LBB4_8229:                             ;   in Loop: Header=BB4_7740 Depth=3
	s_or_b32 exec_lo, exec_lo, s73
	v_cmp_gt_i16_sdwa s73, v11, v117 src0_sel:BYTE_1 src1_sel:DWORD
	s_mov_b32 s17, 0
	s_and_saveexec_b32 s74, s73
	s_xor_b32 s73, exec_lo, s74
	s_cbranch_execz .LBB4_8424
; %bb.8230:                             ;   in Loop: Header=BB4_7740 Depth=3
	v_cmp_eq_u16_sdwa s75, v11, v118 src0_sel:BYTE_1 src1_sel:DWORD
	s_mov_b32 s17, -1
	s_and_saveexec_b32 s74, s75
; %bb.8231:                             ;   in Loop: Header=BB4_7740 Depth=3
	s_xor_b32 s17, exec_lo, -1
; %bb.8232:                             ;   in Loop: Header=BB4_7740 Depth=3
	s_or_b32 exec_lo, exec_lo, s74
	s_and_b32 s17, s17, exec_lo
	s_or_saveexec_b32 s73, s73
	v_mov_b32_e32 v10, 0x7f800001
	s_xor_b32 exec_lo, exec_lo, s73
	s_cbranch_execnz .LBB4_8425
.LBB4_8233:                             ;   in Loop: Header=BB4_7740 Depth=3
	s_or_b32 exec_lo, exec_lo, s73
	s_and_saveexec_b32 s73, s17
.LBB4_8234:                             ;   in Loop: Header=BB4_7740 Depth=3
	v_mov_b32_e32 v10, v8
.LBB4_8235:                             ;   in Loop: Header=BB4_7740 Depth=3
	s_or_b32 exec_lo, exec_lo, s73
	v_max_f32_e32 v8, v10, v10
	v_max_f32_e32 v9, v9, v9
	v_min_f32_e32 v9, v9, v8
.LBB4_8236:                             ;   in Loop: Header=BB4_7740 Depth=3
	v_and_b32_e32 v8, 0x7f800000, v9
	v_mov_b32_e32 v89, 0x8000
	s_mov_b32 s73, exec_lo
	v_cmpx_ne_u32_e32 0x7f800000, v8
	s_cbranch_execz .LBB4_8244
; %bb.8237:                             ;   in Loop: Header=BB4_7740 Depth=3
	v_mov_b32_e32 v89, 0
	s_mov_b32 s74, exec_lo
	v_cmpx_ne_u32_e32 0, v9
	s_cbranch_execz .LBB4_8243
; %bb.8238:                             ;   in Loop: Header=BB4_7740 Depth=3
	v_bfe_u32 v8, v9, 23, 8
	v_and_b32_e32 v10, 0x7fffff, v9
	v_sub_nc_u32_e32 v89, 0x78, v8
	v_cmp_gt_u32_e32 vcc_lo, 0x79, v8
	v_or_b32_e32 v90, 0x800000, v10
	v_cndmask_b32_e32 v89, 0, v89, vcc_lo
	v_cmp_eq_u32_e32 vcc_lo, 0, v8
	v_add_nc_u32_e32 v8, 0xffffff89, v8
	v_cndmask_b32_e64 v89, v89, 0x77, vcc_lo
	v_cndmask_b32_e32 v10, v90, v10, vcc_lo
	v_cndmask_b32_e64 v8, v8, 0xffffff8a, vcc_lo
	v_lshl_add_u32 v90, 0x100000, v89, -1
	v_lshrrev_b32_e32 v91, v89, v10
	v_lshlrev_b32_e64 v93, v89, 0x80000
	v_add_nc_u32_e32 v89, v89, v8
	v_and_b32_e32 v10, v90, v10
	v_bfe_u32 v92, v91, 20, 1
	v_cmp_eq_u32_e64 s17, v10, v93
	v_add_nc_u32_e32 v90, -1, v92
	v_cndmask_b32_e64 v10, 0, v90, s17
	v_lshrrev_b32_e32 v90, 23, v91
	s_mov_b32 s17, exec_lo
	v_add_nc_u32_e32 v10, v10, v91
	v_xor_b32_e32 v90, 1, v90
	v_and_b32_e32 v8, 0xfffff, v10
	v_add_nc_u32_e32 v10, v8, v91
                                        ; implicit-def: $vgpr8
	v_cmpx_ne_u32_e64 v89, v90
	s_xor_b32 s17, exec_lo, s17
; %bb.8239:                             ;   in Loop: Header=BB4_7740 Depth=3
	v_cmp_lt_u32_e32 vcc_lo, 0xffffff, v10
	v_sub_nc_u32_e32 v8, v89, v90
	v_cndmask_b32_e64 v89, 0, 1, vcc_lo
	v_add_co_ci_u32_e64 v8, null, 0, v8, vcc_lo
	v_lshrrev_b32_e32 v10, v89, v10
; %bb.8240:                             ;   in Loop: Header=BB4_7740 Depth=3
	s_andn2_saveexec_b32 s17, s17
; %bb.8241:                             ;   in Loop: Header=BB4_7740 Depth=3
	v_bfe_u32 v8, v10, 23, 1
; %bb.8242:                             ;   in Loop: Header=BB4_7740 Depth=3
	s_or_b32 exec_lo, exec_lo, s17
	v_lshrrev_b32_e32 v10, 20, v10
	v_min_i32_e32 v89, 15, v8
	v_cmp_gt_i32_e32 vcc_lo, 16, v8
	v_and_b32_sdwa v9, v9, v118 dst_sel:DWORD dst_unused:UNUSED_PAD src0_sel:BYTE_3 src1_sel:DWORD
	v_lshlrev_b32_e32 v89, 3, v89
	v_cndmask_b32_e32 v10, 7, v10, vcc_lo
	v_and_b32_e32 v89, 0xf8, v89
	v_and_b32_e32 v90, 7, v10
	v_or_b32_e32 v8, v8, v10
	v_or3_b32 v9, v9, v89, v90
	v_cmp_ne_u32_e32 vcc_lo, 0, v8
	v_lshlrev_b32_e32 v9, 8, v9
	v_cndmask_b32_e32 v89, 0, v9, vcc_lo
.LBB4_8243:                             ;   in Loop: Header=BB4_7740 Depth=3
	s_or_b32 exec_lo, exec_lo, s74
.LBB4_8244:                             ;   in Loop: Header=BB4_7740 Depth=3
	s_or_b32 exec_lo, exec_lo, s73
	v_bfe_u32 v8, v11, 16, 3
	v_bfe_u32 v90, v11, 19, 4
	v_lshlrev_b32_e32 v91, 8, v11
	s_mov_b32 s17, -1
	v_ffbh_u32_e32 v9, v8
	v_cmp_eq_u32_e32 vcc_lo, 0, v90
	v_min_u32_e32 v9, 32, v9
	v_subrev_nc_u32_e32 v10, 28, v9
	v_sub_nc_u32_e32 v9, 29, v9
	v_lshlrev_b32_sdwa v10, v10, v11 dst_sel:DWORD dst_unused:UNUSED_PAD src0_sel:DWORD src1_sel:WORD_1
	v_cndmask_b32_e32 v9, v90, v9, vcc_lo
	v_and_b32_e32 v10, 7, v10
	v_lshl_add_u32 v9, v9, 23, 0x3b800000
	v_cndmask_b32_e32 v8, v8, v10, vcc_lo
	v_and_b32_e32 v10, 0x80000000, v91
	s_and_b32 vcc_lo, exec_lo, s23
	v_lshlrev_b32_e32 v8, 20, v8
	v_or3_b32 v8, v10, v9, v8
                                        ; implicit-def: $vgpr9
	s_cbranch_vccz .LBB4_8258
; %bb.8245:                             ;   in Loop: Header=BB4_7740 Depth=3
	v_and_b32_sdwa v10, v15, v40 dst_sel:DWORD dst_unused:UNUSED_PAD src0_sel:WORD_1 src1_sel:DWORD
	s_mov_b32 s17, 0
	s_mov_b32 s73, exec_lo
	v_cmpx_lt_i16_e32 0x7f, v10
	s_xor_b32 s73, exec_lo, s73
	s_cbranch_execz .LBB4_8426
; %bb.8246:                             ;   in Loop: Header=BB4_7740 Depth=3
	s_mov_b32 s17, -1
	s_mov_b32 s74, exec_lo
	v_cmpx_eq_u16_e32 0x80, v10
; %bb.8247:                             ;   in Loop: Header=BB4_7740 Depth=3
	s_xor_b32 s17, exec_lo, -1
; %bb.8248:                             ;   in Loop: Header=BB4_7740 Depth=3
	s_or_b32 exec_lo, exec_lo, s74
	s_and_b32 s17, s17, exec_lo
                                        ; implicit-def: $vgpr10
	s_or_saveexec_b32 s73, s73
	v_mov_b32_e32 v9, 0x7f800001
	s_xor_b32 exec_lo, exec_lo, s73
	s_cbranch_execnz .LBB4_8427
.LBB4_8249:                             ;   in Loop: Header=BB4_7740 Depth=3
	s_or_b32 exec_lo, exec_lo, s73
	s_and_saveexec_b32 s73, s17
	s_cbranch_execz .LBB4_8251
.LBB4_8250:                             ;   in Loop: Header=BB4_7740 Depth=3
	v_bfe_u32 v9, v15, 16, 3
	v_bfe_u32 v91, v15, 19, 4
	v_lshlrev_b32_sdwa v92, v41, v15 dst_sel:DWORD dst_unused:UNUSED_PAD src0_sel:DWORD src1_sel:WORD_1
	v_ffbh_u32_e32 v10, v9
	v_cmp_eq_u32_e32 vcc_lo, 0, v91
	v_min_u32_e32 v10, 32, v10
	v_subrev_nc_u32_e32 v90, 28, v10
	v_sub_nc_u32_e32 v10, 29, v10
	v_lshlrev_b32_sdwa v90, v90, v15 dst_sel:DWORD dst_unused:UNUSED_PAD src0_sel:DWORD src1_sel:WORD_1
	v_cndmask_b32_e32 v10, v91, v10, vcc_lo
	v_and_b32_e32 v90, 7, v90
	v_lshl_add_u32 v10, v10, 23, 0x3b800000
	v_cndmask_b32_e32 v9, v9, v90, vcc_lo
	v_and_b32_e32 v90, 0x80000000, v92
	v_lshlrev_b32_e32 v9, 20, v9
	v_or3_b32 v9, v90, v10, v9
.LBB4_8251:                             ;   in Loop: Header=BB4_7740 Depth=3
	s_or_b32 exec_lo, exec_lo, s73
	v_and_b32_sdwa v90, v11, v40 dst_sel:DWORD dst_unused:UNUSED_PAD src0_sel:WORD_1 src1_sel:DWORD
	s_mov_b32 s17, 0
	s_mov_b32 s73, exec_lo
	v_cmpx_lt_i16_e32 0x7f, v90
	s_xor_b32 s73, exec_lo, s73
	s_cbranch_execz .LBB4_8428
; %bb.8252:                             ;   in Loop: Header=BB4_7740 Depth=3
	s_mov_b32 s17, -1
	s_mov_b32 s74, exec_lo
	v_cmpx_eq_u16_e32 0x80, v90
; %bb.8253:                             ;   in Loop: Header=BB4_7740 Depth=3
	s_xor_b32 s17, exec_lo, -1
; %bb.8254:                             ;   in Loop: Header=BB4_7740 Depth=3
	s_or_b32 exec_lo, exec_lo, s74
	s_and_b32 s17, s17, exec_lo
                                        ; implicit-def: $vgpr90
	s_or_saveexec_b32 s73, s73
	v_mov_b32_e32 v10, 0x7f800001
	s_xor_b32 exec_lo, exec_lo, s73
	s_cbranch_execnz .LBB4_8429
.LBB4_8255:                             ;   in Loop: Header=BB4_7740 Depth=3
	s_or_b32 exec_lo, exec_lo, s73
	s_and_saveexec_b32 s73, s17
.LBB4_8256:                             ;   in Loop: Header=BB4_7740 Depth=3
	v_mov_b32_e32 v10, v8
.LBB4_8257:                             ;   in Loop: Header=BB4_7740 Depth=3
	s_or_b32 exec_lo, exec_lo, s73
	v_max_f32_e32 v10, v10, v10
	v_max_f32_e32 v9, v9, v9
	s_mov_b32 s17, 0
	v_max_f32_e32 v9, v9, v10
.LBB4_8258:                             ;   in Loop: Header=BB4_7740 Depth=3
	s_and_b32 vcc_lo, exec_lo, s17
	s_cbranch_vccz .LBB4_8272
; %bb.8259:                             ;   in Loop: Header=BB4_7740 Depth=3
	v_and_b32_sdwa v10, v15, v40 dst_sel:DWORD dst_unused:UNUSED_PAD src0_sel:WORD_1 src1_sel:DWORD
	s_mov_b32 s17, 0
	s_mov_b32 s73, exec_lo
	v_cmpx_lt_i16_e32 0x7f, v10
	s_xor_b32 s73, exec_lo, s73
	s_cbranch_execz .LBB4_8430
; %bb.8260:                             ;   in Loop: Header=BB4_7740 Depth=3
	s_mov_b32 s17, -1
	s_mov_b32 s74, exec_lo
	v_cmpx_eq_u16_e32 0x80, v10
; %bb.8261:                             ;   in Loop: Header=BB4_7740 Depth=3
	s_xor_b32 s17, exec_lo, -1
; %bb.8262:                             ;   in Loop: Header=BB4_7740 Depth=3
	s_or_b32 exec_lo, exec_lo, s74
	s_and_b32 s17, s17, exec_lo
                                        ; implicit-def: $vgpr10
	s_or_saveexec_b32 s73, s73
	v_mov_b32_e32 v9, 0x7f800001
	s_xor_b32 exec_lo, exec_lo, s73
	s_cbranch_execnz .LBB4_8431
.LBB4_8263:                             ;   in Loop: Header=BB4_7740 Depth=3
	s_or_b32 exec_lo, exec_lo, s73
	s_and_saveexec_b32 s73, s17
	s_cbranch_execz .LBB4_8265
.LBB4_8264:                             ;   in Loop: Header=BB4_7740 Depth=3
	v_bfe_u32 v9, v15, 16, 3
	v_bfe_u32 v91, v15, 19, 4
	v_lshlrev_b32_sdwa v92, v41, v15 dst_sel:DWORD dst_unused:UNUSED_PAD src0_sel:DWORD src1_sel:WORD_1
	v_ffbh_u32_e32 v10, v9
	v_cmp_eq_u32_e32 vcc_lo, 0, v91
	v_min_u32_e32 v10, 32, v10
	v_subrev_nc_u32_e32 v90, 28, v10
	v_sub_nc_u32_e32 v10, 29, v10
	v_lshlrev_b32_sdwa v90, v90, v15 dst_sel:DWORD dst_unused:UNUSED_PAD src0_sel:DWORD src1_sel:WORD_1
	v_cndmask_b32_e32 v10, v91, v10, vcc_lo
	v_and_b32_e32 v90, 7, v90
	v_lshl_add_u32 v10, v10, 23, 0x3b800000
	v_cndmask_b32_e32 v9, v9, v90, vcc_lo
	v_and_b32_e32 v90, 0x80000000, v92
	v_lshlrev_b32_e32 v9, 20, v9
	v_or3_b32 v9, v90, v10, v9
.LBB4_8265:                             ;   in Loop: Header=BB4_7740 Depth=3
	s_or_b32 exec_lo, exec_lo, s73
	v_and_b32_sdwa v90, v11, v40 dst_sel:DWORD dst_unused:UNUSED_PAD src0_sel:WORD_1 src1_sel:DWORD
	s_mov_b32 s17, 0
	s_mov_b32 s73, exec_lo
	v_cmpx_lt_i16_e32 0x7f, v90
	s_xor_b32 s73, exec_lo, s73
	s_cbranch_execz .LBB4_8432
; %bb.8266:                             ;   in Loop: Header=BB4_7740 Depth=3
	s_mov_b32 s17, -1
	s_mov_b32 s74, exec_lo
	v_cmpx_eq_u16_e32 0x80, v90
; %bb.8267:                             ;   in Loop: Header=BB4_7740 Depth=3
	s_xor_b32 s17, exec_lo, -1
; %bb.8268:                             ;   in Loop: Header=BB4_7740 Depth=3
	s_or_b32 exec_lo, exec_lo, s74
	s_and_b32 s17, s17, exec_lo
                                        ; implicit-def: $vgpr90
	s_or_saveexec_b32 s73, s73
	v_mov_b32_e32 v10, 0x7f800001
	s_xor_b32 exec_lo, exec_lo, s73
	s_cbranch_execnz .LBB4_8433
.LBB4_8269:                             ;   in Loop: Header=BB4_7740 Depth=3
	s_or_b32 exec_lo, exec_lo, s73
	s_and_saveexec_b32 s73, s17
.LBB4_8270:                             ;   in Loop: Header=BB4_7740 Depth=3
	v_mov_b32_e32 v10, v8
.LBB4_8271:                             ;   in Loop: Header=BB4_7740 Depth=3
	s_or_b32 exec_lo, exec_lo, s73
	v_max_f32_e32 v8, v10, v10
	v_max_f32_e32 v9, v9, v9
	v_min_f32_e32 v9, v9, v8
.LBB4_8272:                             ;   in Loop: Header=BB4_7740 Depth=3
	v_and_b32_e32 v8, 0x7f800000, v9
	v_mov_b32_e32 v90, 0x80
	s_mov_b32 s73, exec_lo
	v_cmpx_ne_u32_e32 0x7f800000, v8
	s_cbranch_execz .LBB4_8280
; %bb.8273:                             ;   in Loop: Header=BB4_7740 Depth=3
	v_mov_b32_e32 v90, 0
	s_mov_b32 s74, exec_lo
	v_cmpx_ne_u32_e32 0, v9
	s_cbranch_execz .LBB4_8279
; %bb.8274:                             ;   in Loop: Header=BB4_7740 Depth=3
	v_bfe_u32 v8, v9, 23, 8
	v_and_b32_e32 v10, 0x7fffff, v9
	v_sub_nc_u32_e32 v90, 0x78, v8
	v_cmp_gt_u32_e32 vcc_lo, 0x79, v8
	v_or_b32_e32 v91, 0x800000, v10
	v_cndmask_b32_e32 v90, 0, v90, vcc_lo
	v_cmp_eq_u32_e32 vcc_lo, 0, v8
	v_add_nc_u32_e32 v8, 0xffffff89, v8
	v_cndmask_b32_e64 v90, v90, 0x77, vcc_lo
	v_cndmask_b32_e32 v10, v91, v10, vcc_lo
	v_cndmask_b32_e64 v8, v8, 0xffffff8a, vcc_lo
	v_lshl_add_u32 v91, 0x100000, v90, -1
	v_lshrrev_b32_e32 v92, v90, v10
	v_lshlrev_b32_e64 v94, v90, 0x80000
	v_add_nc_u32_e32 v90, v90, v8
	v_and_b32_e32 v10, v91, v10
	v_bfe_u32 v93, v92, 20, 1
	v_cmp_eq_u32_e64 s17, v10, v94
	v_add_nc_u32_e32 v91, -1, v93
	v_cndmask_b32_e64 v10, 0, v91, s17
	v_lshrrev_b32_e32 v91, 23, v92
	s_mov_b32 s17, exec_lo
	v_add_nc_u32_e32 v10, v10, v92
	v_xor_b32_e32 v91, 1, v91
	v_and_b32_e32 v8, 0xfffff, v10
	v_add_nc_u32_e32 v10, v8, v92
                                        ; implicit-def: $vgpr8
	v_cmpx_ne_u32_e64 v90, v91
	s_xor_b32 s17, exec_lo, s17
; %bb.8275:                             ;   in Loop: Header=BB4_7740 Depth=3
	v_cmp_lt_u32_e32 vcc_lo, 0xffffff, v10
	v_sub_nc_u32_e32 v8, v90, v91
	v_cndmask_b32_e64 v90, 0, 1, vcc_lo
	v_add_co_ci_u32_e64 v8, null, 0, v8, vcc_lo
	v_lshrrev_b32_e32 v10, v90, v10
; %bb.8276:                             ;   in Loop: Header=BB4_7740 Depth=3
	s_andn2_saveexec_b32 s17, s17
; %bb.8277:                             ;   in Loop: Header=BB4_7740 Depth=3
	v_bfe_u32 v8, v10, 23, 1
; %bb.8278:                             ;   in Loop: Header=BB4_7740 Depth=3
	s_or_b32 exec_lo, exec_lo, s17
	v_lshrrev_b32_e32 v10, 20, v10
	v_min_i32_e32 v90, 15, v8
	v_cmp_gt_i32_e32 vcc_lo, 16, v8
	v_and_b32_sdwa v9, v9, v118 dst_sel:DWORD dst_unused:UNUSED_PAD src0_sel:BYTE_3 src1_sel:DWORD
	v_lshlrev_b32_e32 v90, 3, v90
	v_cndmask_b32_e32 v10, 7, v10, vcc_lo
	v_and_b32_e32 v90, 0xf8, v90
	v_and_b32_e32 v91, 7, v10
	v_or_b32_e32 v8, v8, v10
	v_or3_b32 v9, v90, v9, v91
	v_cmp_ne_u32_e32 vcc_lo, 0, v8
	v_cndmask_b32_e32 v90, 0, v9, vcc_lo
.LBB4_8279:                             ;   in Loop: Header=BB4_7740 Depth=3
	s_or_b32 exec_lo, exec_lo, s74
.LBB4_8280:                             ;   in Loop: Header=BB4_7740 Depth=3
	s_or_b32 exec_lo, exec_lo, s73
	v_bfe_u32 v8, v11, 24, 3
	v_bfe_u32 v91, v11, 27, 4
	s_mov_b32 s17, -1
	v_ffbh_u32_e32 v9, v8
	v_cmp_eq_u32_e32 vcc_lo, 0, v91
	v_min_u32_e32 v9, 32, v9
	v_subrev_nc_u32_e32 v10, 28, v9
	v_sub_nc_u32_e32 v9, 29, v9
	v_lshlrev_b32_sdwa v10, v10, v11 dst_sel:DWORD dst_unused:UNUSED_PAD src0_sel:DWORD src1_sel:BYTE_3
	v_cndmask_b32_e32 v9, v91, v9, vcc_lo
	v_and_b32_e32 v10, 7, v10
	v_lshl_add_u32 v9, v9, 23, 0x3b800000
	v_cndmask_b32_e32 v8, v8, v10, vcc_lo
	v_and_b32_e32 v10, 0x80000000, v11
	s_and_b32 vcc_lo, exec_lo, s23
	v_lshlrev_b32_e32 v8, 20, v8
	v_or3_b32 v91, v10, v9, v8
                                        ; implicit-def: $vgpr8
	s_cbranch_vccz .LBB4_8294
; %bb.8281:                             ;   in Loop: Header=BB4_7740 Depth=3
	v_cmp_gt_i16_sdwa s73, v15, v117 src0_sel:BYTE_3 src1_sel:DWORD
	s_mov_b32 s17, 0
	s_and_saveexec_b32 s74, s73
	s_xor_b32 s73, exec_lo, s74
	s_cbranch_execz .LBB4_8434
; %bb.8282:                             ;   in Loop: Header=BB4_7740 Depth=3
	v_cmp_eq_u16_sdwa s75, v15, v118 src0_sel:BYTE_3 src1_sel:DWORD
	s_mov_b32 s17, -1
	s_and_saveexec_b32 s74, s75
; %bb.8283:                             ;   in Loop: Header=BB4_7740 Depth=3
	s_xor_b32 s17, exec_lo, -1
; %bb.8284:                             ;   in Loop: Header=BB4_7740 Depth=3
	s_or_b32 exec_lo, exec_lo, s74
	s_and_b32 s17, s17, exec_lo
	s_or_saveexec_b32 s73, s73
	v_mov_b32_e32 v8, 0x7f800001
	s_xor_b32 exec_lo, exec_lo, s73
	s_cbranch_execnz .LBB4_8435
.LBB4_8285:                             ;   in Loop: Header=BB4_7740 Depth=3
	s_or_b32 exec_lo, exec_lo, s73
	s_and_saveexec_b32 s73, s17
	s_cbranch_execz .LBB4_8287
.LBB4_8286:                             ;   in Loop: Header=BB4_7740 Depth=3
	v_bfe_u32 v8, v15, 24, 3
	v_bfe_u32 v92, v15, 27, 4
	v_ffbh_u32_e32 v9, v8
	v_cmp_eq_u32_e32 vcc_lo, 0, v92
	v_min_u32_e32 v9, 32, v9
	v_subrev_nc_u32_e32 v10, 28, v9
	v_sub_nc_u32_e32 v9, 29, v9
	v_lshlrev_b32_sdwa v10, v10, v15 dst_sel:DWORD dst_unused:UNUSED_PAD src0_sel:DWORD src1_sel:BYTE_3
	v_cndmask_b32_e32 v9, v92, v9, vcc_lo
	v_and_b32_e32 v10, 7, v10
	v_lshl_add_u32 v9, v9, 23, 0x3b800000
	v_cndmask_b32_e32 v8, v8, v10, vcc_lo
	v_and_b32_e32 v10, 0x80000000, v15
	v_lshlrev_b32_e32 v8, 20, v8
	v_or3_b32 v8, v10, v9, v8
.LBB4_8287:                             ;   in Loop: Header=BB4_7740 Depth=3
	s_or_b32 exec_lo, exec_lo, s73
	v_cmp_gt_i16_sdwa s73, v11, v117 src0_sel:BYTE_3 src1_sel:DWORD
	s_mov_b32 s17, 0
	s_and_saveexec_b32 s74, s73
	s_xor_b32 s73, exec_lo, s74
	s_cbranch_execz .LBB4_8436
; %bb.8288:                             ;   in Loop: Header=BB4_7740 Depth=3
	v_cmp_eq_u16_sdwa s75, v11, v118 src0_sel:BYTE_3 src1_sel:DWORD
	s_mov_b32 s17, -1
	s_and_saveexec_b32 s74, s75
; %bb.8289:                             ;   in Loop: Header=BB4_7740 Depth=3
	s_xor_b32 s17, exec_lo, -1
; %bb.8290:                             ;   in Loop: Header=BB4_7740 Depth=3
	s_or_b32 exec_lo, exec_lo, s74
	s_and_b32 s17, s17, exec_lo
	s_or_saveexec_b32 s73, s73
	v_mov_b32_e32 v9, 0x7f800001
	s_xor_b32 exec_lo, exec_lo, s73
	s_cbranch_execnz .LBB4_8437
.LBB4_8291:                             ;   in Loop: Header=BB4_7740 Depth=3
	s_or_b32 exec_lo, exec_lo, s73
	s_and_saveexec_b32 s73, s17
.LBB4_8292:                             ;   in Loop: Header=BB4_7740 Depth=3
	v_mov_b32_e32 v9, v91
.LBB4_8293:                             ;   in Loop: Header=BB4_7740 Depth=3
	s_or_b32 exec_lo, exec_lo, s73
	v_max_f32_e32 v9, v9, v9
	v_max_f32_e32 v8, v8, v8
	s_mov_b32 s17, 0
	v_max_f32_e32 v8, v8, v9
.LBB4_8294:                             ;   in Loop: Header=BB4_7740 Depth=3
	s_and_b32 vcc_lo, exec_lo, s17
	s_cbranch_vccz .LBB4_8308
; %bb.8295:                             ;   in Loop: Header=BB4_7740 Depth=3
	v_cmp_gt_i16_sdwa s73, v15, v117 src0_sel:BYTE_3 src1_sel:DWORD
	s_mov_b32 s17, 0
	s_and_saveexec_b32 s74, s73
	s_xor_b32 s73, exec_lo, s74
	s_cbranch_execz .LBB4_8438
; %bb.8296:                             ;   in Loop: Header=BB4_7740 Depth=3
	v_cmp_eq_u16_sdwa s75, v15, v118 src0_sel:BYTE_3 src1_sel:DWORD
	s_mov_b32 s17, -1
	s_and_saveexec_b32 s74, s75
; %bb.8297:                             ;   in Loop: Header=BB4_7740 Depth=3
	s_xor_b32 s17, exec_lo, -1
; %bb.8298:                             ;   in Loop: Header=BB4_7740 Depth=3
	s_or_b32 exec_lo, exec_lo, s74
	s_and_b32 s17, s17, exec_lo
	s_or_saveexec_b32 s73, s73
	v_mov_b32_e32 v92, 0x7f800001
	s_xor_b32 exec_lo, exec_lo, s73
	s_cbranch_execnz .LBB4_8439
.LBB4_8299:                             ;   in Loop: Header=BB4_7740 Depth=3
	s_or_b32 exec_lo, exec_lo, s73
	s_and_saveexec_b32 s73, s17
	s_cbranch_execz .LBB4_8301
.LBB4_8300:                             ;   in Loop: Header=BB4_7740 Depth=3
	v_bfe_u32 v8, v15, 24, 3
	v_bfe_u32 v92, v15, 27, 4
	v_ffbh_u32_e32 v9, v8
	v_cmp_eq_u32_e32 vcc_lo, 0, v92
	v_min_u32_e32 v9, 32, v9
	v_subrev_nc_u32_e32 v10, 28, v9
	v_sub_nc_u32_e32 v9, 29, v9
	v_lshlrev_b32_sdwa v10, v10, v15 dst_sel:DWORD dst_unused:UNUSED_PAD src0_sel:DWORD src1_sel:BYTE_3
	v_cndmask_b32_e32 v9, v92, v9, vcc_lo
	v_and_b32_e32 v10, 7, v10
	v_lshl_add_u32 v9, v9, 23, 0x3b800000
	v_cndmask_b32_e32 v8, v8, v10, vcc_lo
	v_and_b32_e32 v10, 0x80000000, v15
	v_lshlrev_b32_e32 v8, 20, v8
	v_or3_b32 v92, v10, v9, v8
.LBB4_8301:                             ;   in Loop: Header=BB4_7740 Depth=3
	s_or_b32 exec_lo, exec_lo, s73
	v_cmp_gt_i16_sdwa s73, v11, v117 src0_sel:BYTE_3 src1_sel:DWORD
	s_mov_b32 s17, 0
	s_and_saveexec_b32 s74, s73
	s_xor_b32 s73, exec_lo, s74
	s_cbranch_execz .LBB4_8440
; %bb.8302:                             ;   in Loop: Header=BB4_7740 Depth=3
	v_cmp_eq_u16_sdwa s75, v11, v118 src0_sel:BYTE_3 src1_sel:DWORD
	s_mov_b32 s17, -1
	s_and_saveexec_b32 s74, s75
; %bb.8303:                             ;   in Loop: Header=BB4_7740 Depth=3
	s_xor_b32 s17, exec_lo, -1
; %bb.8304:                             ;   in Loop: Header=BB4_7740 Depth=3
	s_or_b32 exec_lo, exec_lo, s74
	s_and_b32 s17, s17, exec_lo
                                        ; implicit-def: $vgpr8_vgpr9_vgpr10_vgpr11
	s_or_saveexec_b32 s73, s73
	v_mov_b32_e32 v8, 0x7f800001
	s_xor_b32 exec_lo, exec_lo, s73
	s_cbranch_execnz .LBB4_8441
.LBB4_8305:                             ;   in Loop: Header=BB4_7740 Depth=3
	s_or_b32 exec_lo, exec_lo, s73
	s_and_saveexec_b32 s73, s17
.LBB4_8306:                             ;   in Loop: Header=BB4_7740 Depth=3
	v_mov_b32_e32 v8, v91
.LBB4_8307:                             ;   in Loop: Header=BB4_7740 Depth=3
	s_or_b32 exec_lo, exec_lo, s73
	v_max_f32_e32 v8, v8, v8
	v_max_f32_e32 v9, v92, v92
	v_min_f32_e32 v8, v9, v8
.LBB4_8308:                             ;   in Loop: Header=BB4_7740 Depth=3
	v_and_b32_e32 v9, 0x7f800000, v8
	v_cmp_ne_u32_e32 vcc_lo, 0x7f800000, v9
	v_mov_b32_e32 v9, 0x8000
	s_and_saveexec_b32 s73, vcc_lo
	s_cbranch_execz .LBB4_7739
; %bb.8309:                             ;   in Loop: Header=BB4_7740 Depth=3
	v_mov_b32_e32 v9, 0
	s_mov_b32 s74, exec_lo
	v_cmpx_ne_u32_e32 0, v8
	s_cbranch_execz .LBB4_7738
; %bb.8310:                             ;   in Loop: Header=BB4_7740 Depth=3
	v_bfe_u32 v9, v8, 23, 8
	v_and_b32_e32 v10, 0x7fffff, v8
	v_sub_nc_u32_e32 v11, 0x78, v9
	v_cmp_gt_u32_e32 vcc_lo, 0x79, v9
	v_or_b32_e32 v15, 0x800000, v10
	v_cndmask_b32_e32 v11, 0, v11, vcc_lo
	v_cmp_eq_u32_e32 vcc_lo, 0, v9
	v_add_nc_u32_e32 v9, 0xffffff89, v9
	v_cndmask_b32_e64 v11, v11, 0x77, vcc_lo
	v_cndmask_b32_e32 v10, v15, v10, vcc_lo
	v_cndmask_b32_e64 v9, v9, 0xffffff8a, vcc_lo
	v_lshl_add_u32 v15, 0x100000, v11, -1
	v_lshrrev_b32_e32 v91, v11, v10
	v_lshlrev_b32_e64 v93, v11, 0x80000
	v_add_nc_u32_e32 v11, v11, v9
	v_and_b32_e32 v10, v15, v10
	v_bfe_u32 v92, v91, 20, 1
	v_cmp_eq_u32_e64 s17, v10, v93
	v_add_nc_u32_e32 v15, -1, v92
	v_cndmask_b32_e64 v10, 0, v15, s17
	v_lshrrev_b32_e32 v15, 23, v91
	s_mov_b32 s17, exec_lo
	v_add_nc_u32_e32 v10, v10, v91
	v_xor_b32_e32 v15, 1, v15
	v_and_b32_e32 v9, 0xfffff, v10
	v_add_nc_u32_e32 v10, v9, v91
                                        ; implicit-def: $vgpr9
	v_cmpx_ne_u32_e64 v11, v15
	s_xor_b32 s17, exec_lo, s17
; %bb.8311:                             ;   in Loop: Header=BB4_7740 Depth=3
	v_cmp_lt_u32_e32 vcc_lo, 0xffffff, v10
	v_sub_nc_u32_e32 v9, v11, v15
	v_cndmask_b32_e64 v11, 0, 1, vcc_lo
	v_add_co_ci_u32_e64 v9, null, 0, v9, vcc_lo
	v_lshrrev_b32_e32 v10, v11, v10
; %bb.8312:                             ;   in Loop: Header=BB4_7740 Depth=3
	s_andn2_saveexec_b32 s17, s17
	s_cbranch_execz .LBB4_7737
; %bb.8313:                             ;   in Loop: Header=BB4_7740 Depth=3
	v_bfe_u32 v9, v10, 23, 1
	s_branch .LBB4_7737
.LBB4_8314:                             ;   in Loop: Header=BB4_7740 Depth=3
	s_or_saveexec_b32 s73, s73
	v_mov_b32_e32 v87, 0x7f800001
	s_xor_b32 exec_lo, exec_lo, s73
	s_cbranch_execz .LBB4_7745
.LBB4_8315:                             ;   in Loop: Header=BB4_7740 Depth=3
	v_cmp_ne_u16_sdwa s74, v12, v2 src0_sel:BYTE_0 src1_sel:DWORD
	v_mov_b32_e32 v87, 0
	s_andn2_b32 s17, s17, exec_lo
	s_and_b32 s74, s74, exec_lo
	s_or_b32 s17, s17, s74
	s_or_b32 exec_lo, exec_lo, s73
	s_and_saveexec_b32 s73, s17
	s_cbranch_execnz .LBB4_7746
	s_branch .LBB4_7747
.LBB4_8316:                             ;   in Loop: Header=BB4_7740 Depth=3
	s_or_saveexec_b32 s73, s73
	v_mov_b32_e32 v96, 0x7f800001
	s_xor_b32 exec_lo, exec_lo, s73
	s_cbranch_execz .LBB4_7751
.LBB4_8317:                             ;   in Loop: Header=BB4_7740 Depth=3
	v_cmp_ne_u16_sdwa s74, v8, v2 src0_sel:BYTE_0 src1_sel:DWORD
	v_mov_b32_e32 v96, 0
	s_andn2_b32 s17, s17, exec_lo
	s_and_b32 s74, s74, exec_lo
	s_or_b32 s17, s17, s74
	s_or_b32 exec_lo, exec_lo, s73
	s_and_saveexec_b32 s73, s17
	s_cbranch_execnz .LBB4_7752
	s_branch .LBB4_7753
.LBB4_8318:                             ;   in Loop: Header=BB4_7740 Depth=3
	s_or_saveexec_b32 s73, s73
	v_mov_b32_e32 v87, 0x7f800001
	s_xor_b32 exec_lo, exec_lo, s73
	s_cbranch_execz .LBB4_7759
.LBB4_8319:                             ;   in Loop: Header=BB4_7740 Depth=3
	v_cmp_ne_u16_sdwa s74, v12, v2 src0_sel:BYTE_0 src1_sel:DWORD
	v_mov_b32_e32 v87, 0
	s_andn2_b32 s17, s17, exec_lo
	s_and_b32 s74, s74, exec_lo
	s_or_b32 s17, s17, s74
	s_or_b32 exec_lo, exec_lo, s73
	s_and_saveexec_b32 s73, s17
	s_cbranch_execnz .LBB4_7760
	s_branch .LBB4_7761
.LBB4_8320:                             ;   in Loop: Header=BB4_7740 Depth=3
	s_or_saveexec_b32 s73, s73
	v_mov_b32_e32 v96, 0x7f800001
	s_xor_b32 exec_lo, exec_lo, s73
	s_cbranch_execz .LBB4_7765
.LBB4_8321:                             ;   in Loop: Header=BB4_7740 Depth=3
	v_cmp_ne_u16_sdwa s74, v8, v2 src0_sel:BYTE_0 src1_sel:DWORD
	v_mov_b32_e32 v96, 0
	s_andn2_b32 s17, s17, exec_lo
	s_and_b32 s74, s74, exec_lo
	s_or_b32 s17, s17, s74
	s_or_b32 exec_lo, exec_lo, s73
	s_and_saveexec_b32 s73, s17
	s_cbranch_execnz .LBB4_7766
	s_branch .LBB4_7767
.LBB4_8322:                             ;   in Loop: Header=BB4_7740 Depth=3
	s_or_saveexec_b32 s73, s73
	v_mov_b32_e32 v96, 0x7f800001
	s_xor_b32 exec_lo, exec_lo, s73
	s_cbranch_execz .LBB4_7781
.LBB4_8323:                             ;   in Loop: Header=BB4_7740 Depth=3
	v_cmp_ne_u16_sdwa s74, v12, v2 src0_sel:BYTE_1 src1_sel:DWORD
	v_mov_b32_e32 v96, 0
	s_andn2_b32 s17, s17, exec_lo
	s_and_b32 s74, s74, exec_lo
	s_or_b32 s17, s17, s74
	s_or_b32 exec_lo, exec_lo, s73
	s_and_saveexec_b32 s73, s17
	s_cbranch_execnz .LBB4_7782
	s_branch .LBB4_7783
.LBB4_8324:                             ;   in Loop: Header=BB4_7740 Depth=3
	s_or_saveexec_b32 s73, s73
	v_mov_b32_e32 v97, 0x7f800001
	s_xor_b32 exec_lo, exec_lo, s73
	s_cbranch_execz .LBB4_7787
.LBB4_8325:                             ;   in Loop: Header=BB4_7740 Depth=3
	v_cmp_ne_u16_sdwa s74, v8, v2 src0_sel:BYTE_1 src1_sel:DWORD
	v_mov_b32_e32 v97, 0
	s_andn2_b32 s17, s17, exec_lo
	s_and_b32 s74, s74, exec_lo
	s_or_b32 s17, s17, s74
	s_or_b32 exec_lo, exec_lo, s73
	s_and_saveexec_b32 s73, s17
	s_cbranch_execnz .LBB4_7788
	s_branch .LBB4_7789
.LBB4_8326:                             ;   in Loop: Header=BB4_7740 Depth=3
	s_or_saveexec_b32 s73, s73
	v_mov_b32_e32 v96, 0x7f800001
	s_xor_b32 exec_lo, exec_lo, s73
	s_cbranch_execz .LBB4_7795
.LBB4_8327:                             ;   in Loop: Header=BB4_7740 Depth=3
	v_cmp_ne_u16_sdwa s74, v12, v2 src0_sel:BYTE_1 src1_sel:DWORD
	v_mov_b32_e32 v96, 0
	s_andn2_b32 s17, s17, exec_lo
	s_and_b32 s74, s74, exec_lo
	s_or_b32 s17, s17, s74
	s_or_b32 exec_lo, exec_lo, s73
	s_and_saveexec_b32 s73, s17
	s_cbranch_execnz .LBB4_7796
	s_branch .LBB4_7797
.LBB4_8328:                             ;   in Loop: Header=BB4_7740 Depth=3
	s_or_saveexec_b32 s73, s73
	v_mov_b32_e32 v97, 0x7f800001
	s_xor_b32 exec_lo, exec_lo, s73
	s_cbranch_execz .LBB4_7801
.LBB4_8329:                             ;   in Loop: Header=BB4_7740 Depth=3
	v_cmp_ne_u16_sdwa s74, v8, v2 src0_sel:BYTE_1 src1_sel:DWORD
	v_mov_b32_e32 v97, 0
	s_andn2_b32 s17, s17, exec_lo
	s_and_b32 s74, s74, exec_lo
	s_or_b32 s17, s17, s74
	s_or_b32 exec_lo, exec_lo, s73
	s_and_saveexec_b32 s73, s17
	s_cbranch_execnz .LBB4_7802
	s_branch .LBB4_7803
.LBB4_8330:                             ;   in Loop: Header=BB4_7740 Depth=3
	s_or_saveexec_b32 s73, s73
	v_mov_b32_e32 v97, 0x7f800001
	s_xor_b32 exec_lo, exec_lo, s73
	s_cbranch_execz .LBB4_7817
.LBB4_8331:                             ;   in Loop: Header=BB4_7740 Depth=3
	v_cmp_ne_u16_e32 vcc_lo, 0, v98
	v_mov_b32_e32 v97, 0
	s_andn2_b32 s17, s17, exec_lo
	s_and_b32 s74, vcc_lo, exec_lo
	s_or_b32 s17, s17, s74
	s_or_b32 exec_lo, exec_lo, s73
	s_and_saveexec_b32 s73, s17
	s_cbranch_execnz .LBB4_7818
	s_branch .LBB4_7819
.LBB4_8332:                             ;   in Loop: Header=BB4_7740 Depth=3
	s_or_saveexec_b32 s73, s73
	v_mov_b32_e32 v98, 0x7f800001
	s_xor_b32 exec_lo, exec_lo, s73
	s_cbranch_execz .LBB4_7823
.LBB4_8333:                             ;   in Loop: Header=BB4_7740 Depth=3
	v_cmp_ne_u16_e32 vcc_lo, 0, v99
	v_mov_b32_e32 v98, 0
	s_andn2_b32 s17, s17, exec_lo
	s_and_b32 s74, vcc_lo, exec_lo
	s_or_b32 s17, s17, s74
	s_or_b32 exec_lo, exec_lo, s73
	s_and_saveexec_b32 s73, s17
	s_cbranch_execnz .LBB4_7824
	s_branch .LBB4_7825
.LBB4_8334:                             ;   in Loop: Header=BB4_7740 Depth=3
	s_or_saveexec_b32 s73, s73
	v_mov_b32_e32 v97, 0x7f800001
	s_xor_b32 exec_lo, exec_lo, s73
	s_cbranch_execz .LBB4_7831
.LBB4_8335:                             ;   in Loop: Header=BB4_7740 Depth=3
	v_cmp_ne_u16_e32 vcc_lo, 0, v98
	v_mov_b32_e32 v97, 0
	s_andn2_b32 s17, s17, exec_lo
	s_and_b32 s74, vcc_lo, exec_lo
	s_or_b32 s17, s17, s74
	s_or_b32 exec_lo, exec_lo, s73
	s_and_saveexec_b32 s73, s17
	s_cbranch_execnz .LBB4_7832
	s_branch .LBB4_7833
.LBB4_8336:                             ;   in Loop: Header=BB4_7740 Depth=3
	s_or_saveexec_b32 s73, s73
	v_mov_b32_e32 v98, 0x7f800001
	s_xor_b32 exec_lo, exec_lo, s73
	s_cbranch_execz .LBB4_7837
.LBB4_8337:                             ;   in Loop: Header=BB4_7740 Depth=3
	v_cmp_ne_u16_e32 vcc_lo, 0, v99
	v_mov_b32_e32 v98, 0
	s_andn2_b32 s17, s17, exec_lo
	s_and_b32 s74, vcc_lo, exec_lo
	s_or_b32 s17, s17, s74
	s_or_b32 exec_lo, exec_lo, s73
	s_and_saveexec_b32 s73, s17
	s_cbranch_execnz .LBB4_7838
	s_branch .LBB4_7839
.LBB4_8338:                             ;   in Loop: Header=BB4_7740 Depth=3
	s_or_saveexec_b32 s73, s73
	v_mov_b32_e32 v98, 0x7f800001
	s_xor_b32 exec_lo, exec_lo, s73
	s_cbranch_execz .LBB4_7853
.LBB4_8339:                             ;   in Loop: Header=BB4_7740 Depth=3
	v_cmp_ne_u16_sdwa s74, v12, v2 src0_sel:BYTE_3 src1_sel:DWORD
	v_mov_b32_e32 v98, 0
	s_andn2_b32 s17, s17, exec_lo
	s_and_b32 s74, s74, exec_lo
	s_or_b32 s17, s17, s74
	s_or_b32 exec_lo, exec_lo, s73
	s_and_saveexec_b32 s73, s17
	s_cbranch_execnz .LBB4_7854
	s_branch .LBB4_7855
.LBB4_8340:                             ;   in Loop: Header=BB4_7740 Depth=3
	s_or_saveexec_b32 s73, s73
	v_mov_b32_e32 v99, 0x7f800001
	s_xor_b32 exec_lo, exec_lo, s73
	s_cbranch_execz .LBB4_7859
.LBB4_8341:                             ;   in Loop: Header=BB4_7740 Depth=3
	v_cmp_ne_u16_sdwa s74, v8, v2 src0_sel:BYTE_3 src1_sel:DWORD
	v_mov_b32_e32 v99, 0
	s_andn2_b32 s17, s17, exec_lo
	s_and_b32 s74, s74, exec_lo
	s_or_b32 s17, s17, s74
	s_or_b32 exec_lo, exec_lo, s73
	s_and_saveexec_b32 s73, s17
	s_cbranch_execnz .LBB4_7860
	s_branch .LBB4_7861
.LBB4_8342:                             ;   in Loop: Header=BB4_7740 Depth=3
	s_or_saveexec_b32 s73, s73
	v_mov_b32_e32 v98, 0x7f800001
	s_xor_b32 exec_lo, exec_lo, s73
	s_cbranch_execz .LBB4_7867
.LBB4_8343:                             ;   in Loop: Header=BB4_7740 Depth=3
	v_cmp_ne_u16_sdwa s74, v12, v2 src0_sel:BYTE_3 src1_sel:DWORD
	v_mov_b32_e32 v98, 0
	s_andn2_b32 s17, s17, exec_lo
	s_and_b32 s74, s74, exec_lo
	s_or_b32 s17, s17, s74
	s_or_b32 exec_lo, exec_lo, s73
	s_and_saveexec_b32 s73, s17
	s_cbranch_execnz .LBB4_7868
	s_branch .LBB4_7869
.LBB4_8344:                             ;   in Loop: Header=BB4_7740 Depth=3
	s_or_saveexec_b32 s73, s73
	v_mov_b32_e32 v12, 0x7f800001
	s_xor_b32 exec_lo, exec_lo, s73
	s_cbranch_execz .LBB4_7873
.LBB4_8345:                             ;   in Loop: Header=BB4_7740 Depth=3
	v_cmp_ne_u16_sdwa s74, v8, v2 src0_sel:BYTE_3 src1_sel:DWORD
	v_mov_b32_e32 v12, 0
	s_andn2_b32 s17, s17, exec_lo
	s_and_b32 s74, s74, exec_lo
	s_or_b32 s17, s17, s74
	s_or_b32 exec_lo, exec_lo, s73
	s_and_saveexec_b32 s73, s17
	s_cbranch_execnz .LBB4_7874
	s_branch .LBB4_7875
.LBB4_8346:                             ;   in Loop: Header=BB4_7740 Depth=3
	s_or_saveexec_b32 s73, s73
	v_mov_b32_e32 v97, 0x7f800001
	s_xor_b32 exec_lo, exec_lo, s73
	s_cbranch_execz .LBB4_7889
.LBB4_8347:                             ;   in Loop: Header=BB4_7740 Depth=3
	v_cmp_ne_u16_sdwa s74, v13, v2 src0_sel:BYTE_0 src1_sel:DWORD
	v_mov_b32_e32 v97, 0
	s_andn2_b32 s17, s17, exec_lo
	s_and_b32 s74, s74, exec_lo
	s_or_b32 s17, s17, s74
	s_or_b32 exec_lo, exec_lo, s73
	s_and_saveexec_b32 s73, s17
	s_cbranch_execnz .LBB4_7890
	s_branch .LBB4_7891
.LBB4_8348:                             ;   in Loop: Header=BB4_7740 Depth=3
	s_or_saveexec_b32 s73, s73
	v_mov_b32_e32 v98, 0x7f800001
	s_xor_b32 exec_lo, exec_lo, s73
	s_cbranch_execz .LBB4_7895
.LBB4_8349:                             ;   in Loop: Header=BB4_7740 Depth=3
	v_cmp_ne_u16_sdwa s74, v9, v2 src0_sel:BYTE_0 src1_sel:DWORD
	v_mov_b32_e32 v98, 0
	s_andn2_b32 s17, s17, exec_lo
	s_and_b32 s74, s74, exec_lo
	s_or_b32 s17, s17, s74
	s_or_b32 exec_lo, exec_lo, s73
	s_and_saveexec_b32 s73, s17
	s_cbranch_execnz .LBB4_7896
	s_branch .LBB4_7897
.LBB4_8350:                             ;   in Loop: Header=BB4_7740 Depth=3
	s_or_saveexec_b32 s73, s73
	v_mov_b32_e32 v97, 0x7f800001
	s_xor_b32 exec_lo, exec_lo, s73
	s_cbranch_execz .LBB4_7903
.LBB4_8351:                             ;   in Loop: Header=BB4_7740 Depth=3
	v_cmp_ne_u16_sdwa s74, v13, v2 src0_sel:BYTE_0 src1_sel:DWORD
	v_mov_b32_e32 v97, 0
	s_andn2_b32 s17, s17, exec_lo
	s_and_b32 s74, s74, exec_lo
	s_or_b32 s17, s17, s74
	s_or_b32 exec_lo, exec_lo, s73
	s_and_saveexec_b32 s73, s17
	s_cbranch_execnz .LBB4_7904
	s_branch .LBB4_7905
.LBB4_8352:                             ;   in Loop: Header=BB4_7740 Depth=3
	s_or_saveexec_b32 s73, s73
	v_mov_b32_e32 v98, 0x7f800001
	s_xor_b32 exec_lo, exec_lo, s73
	s_cbranch_execz .LBB4_7909
.LBB4_8353:                             ;   in Loop: Header=BB4_7740 Depth=3
	v_cmp_ne_u16_sdwa s74, v9, v2 src0_sel:BYTE_0 src1_sel:DWORD
	v_mov_b32_e32 v98, 0
	s_andn2_b32 s17, s17, exec_lo
	s_and_b32 s74, s74, exec_lo
	s_or_b32 s17, s17, s74
	s_or_b32 exec_lo, exec_lo, s73
	s_and_saveexec_b32 s73, s17
	s_cbranch_execnz .LBB4_7910
	s_branch .LBB4_7911
.LBB4_8354:                             ;   in Loop: Header=BB4_7740 Depth=3
	s_or_saveexec_b32 s73, s73
	v_mov_b32_e32 v98, 0x7f800001
	s_xor_b32 exec_lo, exec_lo, s73
	s_cbranch_execz .LBB4_7925
.LBB4_8355:                             ;   in Loop: Header=BB4_7740 Depth=3
	v_cmp_ne_u16_sdwa s74, v13, v2 src0_sel:BYTE_1 src1_sel:DWORD
	v_mov_b32_e32 v98, 0
	s_andn2_b32 s17, s17, exec_lo
	s_and_b32 s74, s74, exec_lo
	s_or_b32 s17, s17, s74
	s_or_b32 exec_lo, exec_lo, s73
	s_and_saveexec_b32 s73, s17
	s_cbranch_execnz .LBB4_7926
	s_branch .LBB4_7927
.LBB4_8356:                             ;   in Loop: Header=BB4_7740 Depth=3
	s_or_saveexec_b32 s73, s73
	v_mov_b32_e32 v99, 0x7f800001
	s_xor_b32 exec_lo, exec_lo, s73
	s_cbranch_execz .LBB4_7931
.LBB4_8357:                             ;   in Loop: Header=BB4_7740 Depth=3
	v_cmp_ne_u16_sdwa s74, v9, v2 src0_sel:BYTE_1 src1_sel:DWORD
	v_mov_b32_e32 v99, 0
	s_andn2_b32 s17, s17, exec_lo
	s_and_b32 s74, s74, exec_lo
	s_or_b32 s17, s17, s74
	s_or_b32 exec_lo, exec_lo, s73
	s_and_saveexec_b32 s73, s17
	s_cbranch_execnz .LBB4_7932
	s_branch .LBB4_7933
.LBB4_8358:                             ;   in Loop: Header=BB4_7740 Depth=3
	s_or_saveexec_b32 s73, s73
	v_mov_b32_e32 v98, 0x7f800001
	s_xor_b32 exec_lo, exec_lo, s73
	s_cbranch_execz .LBB4_7939
.LBB4_8359:                             ;   in Loop: Header=BB4_7740 Depth=3
	v_cmp_ne_u16_sdwa s74, v13, v2 src0_sel:BYTE_1 src1_sel:DWORD
	v_mov_b32_e32 v98, 0
	s_andn2_b32 s17, s17, exec_lo
	s_and_b32 s74, s74, exec_lo
	s_or_b32 s17, s17, s74
	s_or_b32 exec_lo, exec_lo, s73
	s_and_saveexec_b32 s73, s17
	s_cbranch_execnz .LBB4_7940
	s_branch .LBB4_7941
.LBB4_8360:                             ;   in Loop: Header=BB4_7740 Depth=3
	s_or_saveexec_b32 s73, s73
	v_mov_b32_e32 v99, 0x7f800001
	s_xor_b32 exec_lo, exec_lo, s73
	s_cbranch_execz .LBB4_7945
.LBB4_8361:                             ;   in Loop: Header=BB4_7740 Depth=3
	v_cmp_ne_u16_sdwa s74, v9, v2 src0_sel:BYTE_1 src1_sel:DWORD
	v_mov_b32_e32 v99, 0
	s_andn2_b32 s17, s17, exec_lo
	s_and_b32 s74, s74, exec_lo
	s_or_b32 s17, s17, s74
	s_or_b32 exec_lo, exec_lo, s73
	s_and_saveexec_b32 s73, s17
	s_cbranch_execnz .LBB4_7946
	s_branch .LBB4_7947
.LBB4_8362:                             ;   in Loop: Header=BB4_7740 Depth=3
	s_or_saveexec_b32 s73, s73
	v_mov_b32_e32 v99, 0x7f800001
	s_xor_b32 exec_lo, exec_lo, s73
	s_cbranch_execz .LBB4_7961
.LBB4_8363:                             ;   in Loop: Header=BB4_7740 Depth=3
	v_cmp_ne_u16_e32 vcc_lo, 0, v77
	v_mov_b32_e32 v99, 0
	s_andn2_b32 s17, s17, exec_lo
	s_and_b32 s74, vcc_lo, exec_lo
	s_or_b32 s17, s17, s74
	s_or_b32 exec_lo, exec_lo, s73
	s_and_saveexec_b32 s73, s17
	s_cbranch_execnz .LBB4_7962
	s_branch .LBB4_7963
.LBB4_8364:                             ;   in Loop: Header=BB4_7740 Depth=3
	s_or_saveexec_b32 s73, s73
	v_mov_b32_e32 v77, 0x7f800001
	s_xor_b32 exec_lo, exec_lo, s73
	s_cbranch_execz .LBB4_7967
.LBB4_8365:                             ;   in Loop: Header=BB4_7740 Depth=3
	v_cmp_ne_u16_e32 vcc_lo, 0, v78
	v_mov_b32_e32 v77, 0
	s_andn2_b32 s17, s17, exec_lo
	s_and_b32 s74, vcc_lo, exec_lo
	s_or_b32 s17, s17, s74
	s_or_b32 exec_lo, exec_lo, s73
	s_and_saveexec_b32 s73, s17
	s_cbranch_execnz .LBB4_7968
	s_branch .LBB4_7969
.LBB4_8366:                             ;   in Loop: Header=BB4_7740 Depth=3
	s_or_saveexec_b32 s73, s73
	v_mov_b32_e32 v99, 0x7f800001
	s_xor_b32 exec_lo, exec_lo, s73
	s_cbranch_execz .LBB4_7975
.LBB4_8367:                             ;   in Loop: Header=BB4_7740 Depth=3
	v_cmp_ne_u16_e32 vcc_lo, 0, v77
	v_mov_b32_e32 v99, 0
	s_andn2_b32 s17, s17, exec_lo
	s_and_b32 s74, vcc_lo, exec_lo
	s_or_b32 s17, s17, s74
	s_or_b32 exec_lo, exec_lo, s73
	s_and_saveexec_b32 s73, s17
	s_cbranch_execnz .LBB4_7976
	s_branch .LBB4_7977
.LBB4_8368:                             ;   in Loop: Header=BB4_7740 Depth=3
	s_or_saveexec_b32 s73, s73
	v_mov_b32_e32 v77, 0x7f800001
	s_xor_b32 exec_lo, exec_lo, s73
	s_cbranch_execz .LBB4_7981
.LBB4_8369:                             ;   in Loop: Header=BB4_7740 Depth=3
	v_cmp_ne_u16_e32 vcc_lo, 0, v78
	v_mov_b32_e32 v77, 0
	s_andn2_b32 s17, s17, exec_lo
	s_and_b32 s74, vcc_lo, exec_lo
	s_or_b32 s17, s17, s74
	s_or_b32 exec_lo, exec_lo, s73
	s_and_saveexec_b32 s73, s17
	s_cbranch_execnz .LBB4_7982
	s_branch .LBB4_7983
.LBB4_8370:                             ;   in Loop: Header=BB4_7740 Depth=3
	s_or_saveexec_b32 s73, s73
	v_mov_b32_e32 v77, 0x7f800001
	s_xor_b32 exec_lo, exec_lo, s73
	s_cbranch_execz .LBB4_7997
.LBB4_8371:                             ;   in Loop: Header=BB4_7740 Depth=3
	v_cmp_ne_u16_sdwa s74, v13, v2 src0_sel:BYTE_3 src1_sel:DWORD
	v_mov_b32_e32 v77, 0
	s_andn2_b32 s17, s17, exec_lo
	s_and_b32 s74, s74, exec_lo
	s_or_b32 s17, s17, s74
	s_or_b32 exec_lo, exec_lo, s73
	s_and_saveexec_b32 s73, s17
	s_cbranch_execnz .LBB4_7998
	s_branch .LBB4_7999
.LBB4_8372:                             ;   in Loop: Header=BB4_7740 Depth=3
	s_or_saveexec_b32 s73, s73
	v_mov_b32_e32 v78, 0x7f800001
	s_xor_b32 exec_lo, exec_lo, s73
	s_cbranch_execz .LBB4_8003
.LBB4_8373:                             ;   in Loop: Header=BB4_7740 Depth=3
	v_cmp_ne_u16_sdwa s74, v9, v2 src0_sel:BYTE_3 src1_sel:DWORD
	v_mov_b32_e32 v78, 0
	s_andn2_b32 s17, s17, exec_lo
	s_and_b32 s74, s74, exec_lo
	s_or_b32 s17, s17, s74
	s_or_b32 exec_lo, exec_lo, s73
	s_and_saveexec_b32 s73, s17
	s_cbranch_execnz .LBB4_8004
	s_branch .LBB4_8005
.LBB4_8374:                             ;   in Loop: Header=BB4_7740 Depth=3
	s_or_saveexec_b32 s73, s73
	v_mov_b32_e32 v77, 0x7f800001
	s_xor_b32 exec_lo, exec_lo, s73
	s_cbranch_execz .LBB4_8011
.LBB4_8375:                             ;   in Loop: Header=BB4_7740 Depth=3
	v_cmp_ne_u16_sdwa s74, v13, v2 src0_sel:BYTE_3 src1_sel:DWORD
	v_mov_b32_e32 v77, 0
	s_andn2_b32 s17, s17, exec_lo
	s_and_b32 s74, s74, exec_lo
	s_or_b32 s17, s17, s74
	s_or_b32 exec_lo, exec_lo, s73
	s_and_saveexec_b32 s73, s17
	s_cbranch_execnz .LBB4_8012
	s_branch .LBB4_8013
.LBB4_8376:                             ;   in Loop: Header=BB4_7740 Depth=3
	s_or_saveexec_b32 s73, s73
	v_mov_b32_e32 v13, 0x7f800001
	s_xor_b32 exec_lo, exec_lo, s73
	s_cbranch_execz .LBB4_8017
.LBB4_8377:                             ;   in Loop: Header=BB4_7740 Depth=3
	v_cmp_ne_u16_sdwa s74, v9, v2 src0_sel:BYTE_3 src1_sel:DWORD
	v_mov_b32_e32 v13, 0
	s_andn2_b32 s17, s17, exec_lo
	s_and_b32 s74, s74, exec_lo
	s_or_b32 s17, s17, s74
	s_or_b32 exec_lo, exec_lo, s73
	s_and_saveexec_b32 s73, s17
	s_cbranch_execnz .LBB4_8018
	s_branch .LBB4_8019
.LBB4_8378:                             ;   in Loop: Header=BB4_7740 Depth=3
	s_or_saveexec_b32 s73, s73
	v_mov_b32_e32 v9, 0x7f800001
	s_xor_b32 exec_lo, exec_lo, s73
	s_cbranch_execz .LBB4_8033
.LBB4_8379:                             ;   in Loop: Header=BB4_7740 Depth=3
	v_cmp_ne_u16_sdwa s74, v14, v2 src0_sel:BYTE_0 src1_sel:DWORD
	v_mov_b32_e32 v9, 0
	s_andn2_b32 s17, s17, exec_lo
	s_and_b32 s74, s74, exec_lo
	s_or_b32 s17, s17, s74
	s_or_b32 exec_lo, exec_lo, s73
	s_and_saveexec_b32 s73, s17
	s_cbranch_execnz .LBB4_8034
	s_branch .LBB4_8035
.LBB4_8380:                             ;   in Loop: Header=BB4_7740 Depth=3
	s_or_saveexec_b32 s73, s73
	v_mov_b32_e32 v77, 0x7f800001
	s_xor_b32 exec_lo, exec_lo, s73
	s_cbranch_execz .LBB4_8039
.LBB4_8381:                             ;   in Loop: Header=BB4_7740 Depth=3
	v_cmp_ne_u16_sdwa s74, v10, v2 src0_sel:BYTE_0 src1_sel:DWORD
	v_mov_b32_e32 v77, 0
	s_andn2_b32 s17, s17, exec_lo
	s_and_b32 s74, s74, exec_lo
	s_or_b32 s17, s17, s74
	s_or_b32 exec_lo, exec_lo, s73
	s_and_saveexec_b32 s73, s17
	s_cbranch_execnz .LBB4_8040
	s_branch .LBB4_8041
.LBB4_8382:                             ;   in Loop: Header=BB4_7740 Depth=3
	s_or_saveexec_b32 s73, s73
	v_mov_b32_e32 v9, 0x7f800001
	s_xor_b32 exec_lo, exec_lo, s73
	s_cbranch_execz .LBB4_8047
.LBB4_8383:                             ;   in Loop: Header=BB4_7740 Depth=3
	v_cmp_ne_u16_sdwa s74, v14, v2 src0_sel:BYTE_0 src1_sel:DWORD
	v_mov_b32_e32 v9, 0
	s_andn2_b32 s17, s17, exec_lo
	s_and_b32 s74, s74, exec_lo
	s_or_b32 s17, s17, s74
	s_or_b32 exec_lo, exec_lo, s73
	s_and_saveexec_b32 s73, s17
	s_cbranch_execnz .LBB4_8048
	s_branch .LBB4_8049
.LBB4_8384:                             ;   in Loop: Header=BB4_7740 Depth=3
	s_or_saveexec_b32 s73, s73
	v_mov_b32_e32 v77, 0x7f800001
	s_xor_b32 exec_lo, exec_lo, s73
	s_cbranch_execz .LBB4_8053
.LBB4_8385:                             ;   in Loop: Header=BB4_7740 Depth=3
	v_cmp_ne_u16_sdwa s74, v10, v2 src0_sel:BYTE_0 src1_sel:DWORD
	v_mov_b32_e32 v77, 0
	s_andn2_b32 s17, s17, exec_lo
	s_and_b32 s74, s74, exec_lo
	s_or_b32 s17, s17, s74
	s_or_b32 exec_lo, exec_lo, s73
	s_and_saveexec_b32 s73, s17
	s_cbranch_execnz .LBB4_8054
	s_branch .LBB4_8055
.LBB4_8386:                             ;   in Loop: Header=BB4_7740 Depth=3
	s_or_saveexec_b32 s73, s73
	v_mov_b32_e32 v9, 0x7f800001
	s_xor_b32 exec_lo, exec_lo, s73
	s_cbranch_execz .LBB4_8069
.LBB4_8387:                             ;   in Loop: Header=BB4_7740 Depth=3
	v_cmp_ne_u16_sdwa s74, v14, v2 src0_sel:BYTE_1 src1_sel:DWORD
	v_mov_b32_e32 v9, 0
	s_andn2_b32 s17, s17, exec_lo
	s_and_b32 s74, s74, exec_lo
	s_or_b32 s17, s17, s74
	s_or_b32 exec_lo, exec_lo, s73
	s_and_saveexec_b32 s73, s17
	s_cbranch_execnz .LBB4_8070
	s_branch .LBB4_8071
.LBB4_8388:                             ;   in Loop: Header=BB4_7740 Depth=3
	s_or_saveexec_b32 s73, s73
	v_mov_b32_e32 v78, 0x7f800001
	s_xor_b32 exec_lo, exec_lo, s73
	s_cbranch_execz .LBB4_8075
.LBB4_8389:                             ;   in Loop: Header=BB4_7740 Depth=3
	v_cmp_ne_u16_sdwa s74, v10, v2 src0_sel:BYTE_1 src1_sel:DWORD
	v_mov_b32_e32 v78, 0
	s_andn2_b32 s17, s17, exec_lo
	s_and_b32 s74, s74, exec_lo
	s_or_b32 s17, s17, s74
	s_or_b32 exec_lo, exec_lo, s73
	s_and_saveexec_b32 s73, s17
	s_cbranch_execnz .LBB4_8076
	s_branch .LBB4_8077
.LBB4_8390:                             ;   in Loop: Header=BB4_7740 Depth=3
	s_or_saveexec_b32 s73, s73
	v_mov_b32_e32 v9, 0x7f800001
	s_xor_b32 exec_lo, exec_lo, s73
	s_cbranch_execz .LBB4_8083
.LBB4_8391:                             ;   in Loop: Header=BB4_7740 Depth=3
	v_cmp_ne_u16_sdwa s74, v14, v2 src0_sel:BYTE_1 src1_sel:DWORD
	v_mov_b32_e32 v9, 0
	s_andn2_b32 s17, s17, exec_lo
	s_and_b32 s74, s74, exec_lo
	s_or_b32 s17, s17, s74
	s_or_b32 exec_lo, exec_lo, s73
	s_and_saveexec_b32 s73, s17
	s_cbranch_execnz .LBB4_8084
	s_branch .LBB4_8085
.LBB4_8392:                             ;   in Loop: Header=BB4_7740 Depth=3
	s_or_saveexec_b32 s73, s73
	v_mov_b32_e32 v78, 0x7f800001
	s_xor_b32 exec_lo, exec_lo, s73
	s_cbranch_execz .LBB4_8089
.LBB4_8393:                             ;   in Loop: Header=BB4_7740 Depth=3
	v_cmp_ne_u16_sdwa s74, v10, v2 src0_sel:BYTE_1 src1_sel:DWORD
	v_mov_b32_e32 v78, 0
	s_andn2_b32 s17, s17, exec_lo
	s_and_b32 s74, s74, exec_lo
	s_or_b32 s17, s17, s74
	s_or_b32 exec_lo, exec_lo, s73
	s_and_saveexec_b32 s73, s17
	s_cbranch_execnz .LBB4_8090
	s_branch .LBB4_8091
.LBB4_8394:                             ;   in Loop: Header=BB4_7740 Depth=3
	s_or_saveexec_b32 s73, s73
	v_mov_b32_e32 v9, 0x7f800001
	s_xor_b32 exec_lo, exec_lo, s73
	s_cbranch_execz .LBB4_8105
.LBB4_8395:                             ;   in Loop: Header=BB4_7740 Depth=3
	v_cmp_ne_u16_e32 vcc_lo, 0, v79
	v_mov_b32_e32 v9, 0
	s_andn2_b32 s17, s17, exec_lo
	s_and_b32 s74, vcc_lo, exec_lo
	s_or_b32 s17, s17, s74
	s_or_b32 exec_lo, exec_lo, s73
	s_and_saveexec_b32 s73, s17
	s_cbranch_execnz .LBB4_8106
	s_branch .LBB4_8107
.LBB4_8396:                             ;   in Loop: Header=BB4_7740 Depth=3
	s_or_saveexec_b32 s73, s73
	v_mov_b32_e32 v79, 0x7f800001
	s_xor_b32 exec_lo, exec_lo, s73
	s_cbranch_execz .LBB4_8111
.LBB4_8397:                             ;   in Loop: Header=BB4_7740 Depth=3
	v_cmp_ne_u16_e32 vcc_lo, 0, v88
	v_mov_b32_e32 v79, 0
	s_andn2_b32 s17, s17, exec_lo
	s_and_b32 s74, vcc_lo, exec_lo
	s_or_b32 s17, s17, s74
	s_or_b32 exec_lo, exec_lo, s73
	s_and_saveexec_b32 s73, s17
	s_cbranch_execnz .LBB4_8112
	s_branch .LBB4_8113
.LBB4_8398:                             ;   in Loop: Header=BB4_7740 Depth=3
	s_or_saveexec_b32 s73, s73
	v_mov_b32_e32 v9, 0x7f800001
	s_xor_b32 exec_lo, exec_lo, s73
	s_cbranch_execz .LBB4_8119
.LBB4_8399:                             ;   in Loop: Header=BB4_7740 Depth=3
	v_cmp_ne_u16_e32 vcc_lo, 0, v79
	v_mov_b32_e32 v9, 0
	s_andn2_b32 s17, s17, exec_lo
	s_and_b32 s74, vcc_lo, exec_lo
	s_or_b32 s17, s17, s74
	s_or_b32 exec_lo, exec_lo, s73
	s_and_saveexec_b32 s73, s17
	s_cbranch_execnz .LBB4_8120
	s_branch .LBB4_8121
.LBB4_8400:                             ;   in Loop: Header=BB4_7740 Depth=3
	s_or_saveexec_b32 s73, s73
	v_mov_b32_e32 v79, 0x7f800001
	s_xor_b32 exec_lo, exec_lo, s73
	s_cbranch_execz .LBB4_8125
.LBB4_8401:                             ;   in Loop: Header=BB4_7740 Depth=3
	v_cmp_ne_u16_e32 vcc_lo, 0, v88
	v_mov_b32_e32 v79, 0
	s_andn2_b32 s17, s17, exec_lo
	s_and_b32 s74, vcc_lo, exec_lo
	s_or_b32 s17, s17, s74
	s_or_b32 exec_lo, exec_lo, s73
	s_and_saveexec_b32 s73, s17
	s_cbranch_execnz .LBB4_8126
	s_branch .LBB4_8127
.LBB4_8402:                             ;   in Loop: Header=BB4_7740 Depth=3
	s_or_saveexec_b32 s73, s73
	v_mov_b32_e32 v9, 0x7f800001
	s_xor_b32 exec_lo, exec_lo, s73
	s_cbranch_execz .LBB4_8141
.LBB4_8403:                             ;   in Loop: Header=BB4_7740 Depth=3
	v_cmp_ne_u16_sdwa s74, v14, v2 src0_sel:BYTE_3 src1_sel:DWORD
	v_mov_b32_e32 v9, 0
	s_andn2_b32 s17, s17, exec_lo
	s_and_b32 s74, s74, exec_lo
	s_or_b32 s17, s17, s74
	s_or_b32 exec_lo, exec_lo, s73
	s_and_saveexec_b32 s73, s17
	s_cbranch_execnz .LBB4_8142
	s_branch .LBB4_8143
.LBB4_8404:                             ;   in Loop: Header=BB4_7740 Depth=3
	s_or_saveexec_b32 s73, s73
	v_mov_b32_e32 v88, 0x7f800001
	s_xor_b32 exec_lo, exec_lo, s73
	s_cbranch_execz .LBB4_8147
.LBB4_8405:                             ;   in Loop: Header=BB4_7740 Depth=3
	v_cmp_ne_u16_sdwa s74, v10, v2 src0_sel:BYTE_3 src1_sel:DWORD
	v_mov_b32_e32 v88, 0
	s_andn2_b32 s17, s17, exec_lo
	s_and_b32 s74, s74, exec_lo
	s_or_b32 s17, s17, s74
	s_or_b32 exec_lo, exec_lo, s73
	s_and_saveexec_b32 s73, s17
	s_cbranch_execnz .LBB4_8148
	s_branch .LBB4_8149
.LBB4_8406:                             ;   in Loop: Header=BB4_7740 Depth=3
	s_or_saveexec_b32 s73, s73
	v_mov_b32_e32 v9, 0x7f800001
	s_xor_b32 exec_lo, exec_lo, s73
	s_cbranch_execz .LBB4_8155
.LBB4_8407:                             ;   in Loop: Header=BB4_7740 Depth=3
	v_cmp_ne_u16_sdwa s74, v14, v2 src0_sel:BYTE_3 src1_sel:DWORD
	v_mov_b32_e32 v9, 0
	s_andn2_b32 s17, s17, exec_lo
	s_and_b32 s74, s74, exec_lo
	s_or_b32 s17, s17, s74
	s_or_b32 exec_lo, exec_lo, s73
	s_and_saveexec_b32 s73, s17
	s_cbranch_execnz .LBB4_8156
	s_branch .LBB4_8157
.LBB4_8408:                             ;   in Loop: Header=BB4_7740 Depth=3
	s_or_saveexec_b32 s73, s73
	v_mov_b32_e32 v14, 0x7f800001
	s_xor_b32 exec_lo, exec_lo, s73
	s_cbranch_execz .LBB4_8161
.LBB4_8409:                             ;   in Loop: Header=BB4_7740 Depth=3
	v_cmp_ne_u16_sdwa s74, v10, v2 src0_sel:BYTE_3 src1_sel:DWORD
	v_mov_b32_e32 v14, 0
	s_andn2_b32 s17, s17, exec_lo
	s_and_b32 s74, s74, exec_lo
	s_or_b32 s17, s17, s74
	s_or_b32 exec_lo, exec_lo, s73
	s_and_saveexec_b32 s73, s17
	s_cbranch_execnz .LBB4_8162
	s_branch .LBB4_8163
.LBB4_8410:                             ;   in Loop: Header=BB4_7740 Depth=3
	s_or_saveexec_b32 s73, s73
	v_mov_b32_e32 v9, 0x7f800001
	s_xor_b32 exec_lo, exec_lo, s73
	s_cbranch_execz .LBB4_8177
.LBB4_8411:                             ;   in Loop: Header=BB4_7740 Depth=3
	v_cmp_ne_u16_sdwa s74, v15, v2 src0_sel:BYTE_0 src1_sel:DWORD
	v_mov_b32_e32 v9, 0
	s_andn2_b32 s17, s17, exec_lo
	s_and_b32 s74, s74, exec_lo
	s_or_b32 s17, s17, s74
	s_or_b32 exec_lo, exec_lo, s73
	s_and_saveexec_b32 s73, s17
	s_cbranch_execnz .LBB4_8178
	s_branch .LBB4_8179
.LBB4_8412:                             ;   in Loop: Header=BB4_7740 Depth=3
	s_or_saveexec_b32 s73, s73
	v_mov_b32_e32 v10, 0x7f800001
	s_xor_b32 exec_lo, exec_lo, s73
	s_cbranch_execz .LBB4_8183
.LBB4_8413:                             ;   in Loop: Header=BB4_7740 Depth=3
	v_cmp_ne_u16_sdwa s74, v11, v2 src0_sel:BYTE_0 src1_sel:DWORD
	v_mov_b32_e32 v10, 0
	s_andn2_b32 s17, s17, exec_lo
	s_and_b32 s74, s74, exec_lo
	s_or_b32 s17, s17, s74
	s_or_b32 exec_lo, exec_lo, s73
	s_and_saveexec_b32 s73, s17
	s_cbranch_execnz .LBB4_8184
	s_branch .LBB4_8185
.LBB4_8414:                             ;   in Loop: Header=BB4_7740 Depth=3
	s_or_saveexec_b32 s73, s73
	v_mov_b32_e32 v9, 0x7f800001
	s_xor_b32 exec_lo, exec_lo, s73
	s_cbranch_execz .LBB4_8191
.LBB4_8415:                             ;   in Loop: Header=BB4_7740 Depth=3
	v_cmp_ne_u16_sdwa s74, v15, v2 src0_sel:BYTE_0 src1_sel:DWORD
	v_mov_b32_e32 v9, 0
	s_andn2_b32 s17, s17, exec_lo
	s_and_b32 s74, s74, exec_lo
	s_or_b32 s17, s17, s74
	s_or_b32 exec_lo, exec_lo, s73
	s_and_saveexec_b32 s73, s17
	s_cbranch_execnz .LBB4_8192
	s_branch .LBB4_8193
.LBB4_8416:                             ;   in Loop: Header=BB4_7740 Depth=3
	s_or_saveexec_b32 s73, s73
	v_mov_b32_e32 v10, 0x7f800001
	s_xor_b32 exec_lo, exec_lo, s73
	s_cbranch_execz .LBB4_8197
.LBB4_8417:                             ;   in Loop: Header=BB4_7740 Depth=3
	v_cmp_ne_u16_sdwa s74, v11, v2 src0_sel:BYTE_0 src1_sel:DWORD
	v_mov_b32_e32 v10, 0
	s_andn2_b32 s17, s17, exec_lo
	s_and_b32 s74, s74, exec_lo
	s_or_b32 s17, s17, s74
	s_or_b32 exec_lo, exec_lo, s73
	s_and_saveexec_b32 s73, s17
	s_cbranch_execnz .LBB4_8198
	s_branch .LBB4_8199
.LBB4_8418:                             ;   in Loop: Header=BB4_7740 Depth=3
	s_or_saveexec_b32 s73, s73
	v_mov_b32_e32 v9, 0x7f800001
	s_xor_b32 exec_lo, exec_lo, s73
	s_cbranch_execz .LBB4_8213
.LBB4_8419:                             ;   in Loop: Header=BB4_7740 Depth=3
	v_cmp_ne_u16_sdwa s74, v15, v2 src0_sel:BYTE_1 src1_sel:DWORD
	v_mov_b32_e32 v9, 0
	s_andn2_b32 s17, s17, exec_lo
	s_and_b32 s74, s74, exec_lo
	s_or_b32 s17, s17, s74
	s_or_b32 exec_lo, exec_lo, s73
	s_and_saveexec_b32 s73, s17
	s_cbranch_execnz .LBB4_8214
	s_branch .LBB4_8215
.LBB4_8420:                             ;   in Loop: Header=BB4_7740 Depth=3
	s_or_saveexec_b32 s73, s73
	v_mov_b32_e32 v10, 0x7f800001
	s_xor_b32 exec_lo, exec_lo, s73
	s_cbranch_execz .LBB4_8219
.LBB4_8421:                             ;   in Loop: Header=BB4_7740 Depth=3
	v_cmp_ne_u16_sdwa s74, v11, v2 src0_sel:BYTE_1 src1_sel:DWORD
	v_mov_b32_e32 v10, 0
	s_andn2_b32 s17, s17, exec_lo
	s_and_b32 s74, s74, exec_lo
	s_or_b32 s17, s17, s74
	s_or_b32 exec_lo, exec_lo, s73
	s_and_saveexec_b32 s73, s17
	s_cbranch_execnz .LBB4_8220
	s_branch .LBB4_8221
.LBB4_8422:                             ;   in Loop: Header=BB4_7740 Depth=3
	s_or_saveexec_b32 s73, s73
	v_mov_b32_e32 v9, 0x7f800001
	s_xor_b32 exec_lo, exec_lo, s73
	s_cbranch_execz .LBB4_8227
.LBB4_8423:                             ;   in Loop: Header=BB4_7740 Depth=3
	v_cmp_ne_u16_sdwa s74, v15, v2 src0_sel:BYTE_1 src1_sel:DWORD
	v_mov_b32_e32 v9, 0
	s_andn2_b32 s17, s17, exec_lo
	s_and_b32 s74, s74, exec_lo
	s_or_b32 s17, s17, s74
	s_or_b32 exec_lo, exec_lo, s73
	s_and_saveexec_b32 s73, s17
	s_cbranch_execnz .LBB4_8228
	s_branch .LBB4_8229
.LBB4_8424:                             ;   in Loop: Header=BB4_7740 Depth=3
	s_or_saveexec_b32 s73, s73
	v_mov_b32_e32 v10, 0x7f800001
	s_xor_b32 exec_lo, exec_lo, s73
	s_cbranch_execz .LBB4_8233
.LBB4_8425:                             ;   in Loop: Header=BB4_7740 Depth=3
	v_cmp_ne_u16_sdwa s74, v11, v2 src0_sel:BYTE_1 src1_sel:DWORD
	v_mov_b32_e32 v10, 0
	s_andn2_b32 s17, s17, exec_lo
	s_and_b32 s74, s74, exec_lo
	s_or_b32 s17, s17, s74
	s_or_b32 exec_lo, exec_lo, s73
	s_and_saveexec_b32 s73, s17
	s_cbranch_execnz .LBB4_8234
	s_branch .LBB4_8235
.LBB4_8426:                             ;   in Loop: Header=BB4_7740 Depth=3
	s_or_saveexec_b32 s73, s73
	v_mov_b32_e32 v9, 0x7f800001
	s_xor_b32 exec_lo, exec_lo, s73
	s_cbranch_execz .LBB4_8249
.LBB4_8427:                             ;   in Loop: Header=BB4_7740 Depth=3
	v_cmp_ne_u16_e32 vcc_lo, 0, v10
	v_mov_b32_e32 v9, 0
	s_andn2_b32 s17, s17, exec_lo
	s_and_b32 s74, vcc_lo, exec_lo
	s_or_b32 s17, s17, s74
	s_or_b32 exec_lo, exec_lo, s73
	s_and_saveexec_b32 s73, s17
	s_cbranch_execnz .LBB4_8250
	s_branch .LBB4_8251
.LBB4_8428:                             ;   in Loop: Header=BB4_7740 Depth=3
	s_or_saveexec_b32 s73, s73
	v_mov_b32_e32 v10, 0x7f800001
	s_xor_b32 exec_lo, exec_lo, s73
	s_cbranch_execz .LBB4_8255
.LBB4_8429:                             ;   in Loop: Header=BB4_7740 Depth=3
	v_cmp_ne_u16_e32 vcc_lo, 0, v90
	v_mov_b32_e32 v10, 0
	s_andn2_b32 s17, s17, exec_lo
	s_and_b32 s74, vcc_lo, exec_lo
	s_or_b32 s17, s17, s74
	s_or_b32 exec_lo, exec_lo, s73
	s_and_saveexec_b32 s73, s17
	s_cbranch_execnz .LBB4_8256
	s_branch .LBB4_8257
.LBB4_8430:                             ;   in Loop: Header=BB4_7740 Depth=3
	s_or_saveexec_b32 s73, s73
	v_mov_b32_e32 v9, 0x7f800001
	s_xor_b32 exec_lo, exec_lo, s73
	s_cbranch_execz .LBB4_8263
.LBB4_8431:                             ;   in Loop: Header=BB4_7740 Depth=3
	v_cmp_ne_u16_e32 vcc_lo, 0, v10
	v_mov_b32_e32 v9, 0
	s_andn2_b32 s17, s17, exec_lo
	s_and_b32 s74, vcc_lo, exec_lo
	s_or_b32 s17, s17, s74
	s_or_b32 exec_lo, exec_lo, s73
	s_and_saveexec_b32 s73, s17
	s_cbranch_execnz .LBB4_8264
	s_branch .LBB4_8265
.LBB4_8432:                             ;   in Loop: Header=BB4_7740 Depth=3
	s_or_saveexec_b32 s73, s73
	v_mov_b32_e32 v10, 0x7f800001
	s_xor_b32 exec_lo, exec_lo, s73
	s_cbranch_execz .LBB4_8269
.LBB4_8433:                             ;   in Loop: Header=BB4_7740 Depth=3
	v_cmp_ne_u16_e32 vcc_lo, 0, v90
	v_mov_b32_e32 v10, 0
	s_andn2_b32 s17, s17, exec_lo
	s_and_b32 s74, vcc_lo, exec_lo
	s_or_b32 s17, s17, s74
	s_or_b32 exec_lo, exec_lo, s73
	s_and_saveexec_b32 s73, s17
	s_cbranch_execnz .LBB4_8270
	s_branch .LBB4_8271
.LBB4_8434:                             ;   in Loop: Header=BB4_7740 Depth=3
	s_or_saveexec_b32 s73, s73
	v_mov_b32_e32 v8, 0x7f800001
	s_xor_b32 exec_lo, exec_lo, s73
	s_cbranch_execz .LBB4_8285
.LBB4_8435:                             ;   in Loop: Header=BB4_7740 Depth=3
	v_cmp_ne_u16_sdwa s74, v15, v2 src0_sel:BYTE_3 src1_sel:DWORD
	v_mov_b32_e32 v8, 0
	s_andn2_b32 s17, s17, exec_lo
	s_and_b32 s74, s74, exec_lo
	s_or_b32 s17, s17, s74
	s_or_b32 exec_lo, exec_lo, s73
	s_and_saveexec_b32 s73, s17
	s_cbranch_execnz .LBB4_8286
	s_branch .LBB4_8287
.LBB4_8436:                             ;   in Loop: Header=BB4_7740 Depth=3
	s_or_saveexec_b32 s73, s73
	v_mov_b32_e32 v9, 0x7f800001
	s_xor_b32 exec_lo, exec_lo, s73
	s_cbranch_execz .LBB4_8291
.LBB4_8437:                             ;   in Loop: Header=BB4_7740 Depth=3
	v_cmp_ne_u16_sdwa s74, v11, v2 src0_sel:BYTE_3 src1_sel:DWORD
	v_mov_b32_e32 v9, 0
	s_andn2_b32 s17, s17, exec_lo
	s_and_b32 s74, s74, exec_lo
	s_or_b32 s17, s17, s74
	s_or_b32 exec_lo, exec_lo, s73
	s_and_saveexec_b32 s73, s17
	s_cbranch_execnz .LBB4_8292
	s_branch .LBB4_8293
.LBB4_8438:                             ;   in Loop: Header=BB4_7740 Depth=3
	s_or_saveexec_b32 s73, s73
	v_mov_b32_e32 v92, 0x7f800001
	s_xor_b32 exec_lo, exec_lo, s73
	s_cbranch_execz .LBB4_8299
.LBB4_8439:                             ;   in Loop: Header=BB4_7740 Depth=3
	v_cmp_ne_u16_sdwa s74, v15, v2 src0_sel:BYTE_3 src1_sel:DWORD
	v_mov_b32_e32 v92, 0
	s_andn2_b32 s17, s17, exec_lo
	s_and_b32 s74, s74, exec_lo
	s_or_b32 s17, s17, s74
	s_or_b32 exec_lo, exec_lo, s73
	s_and_saveexec_b32 s73, s17
	s_cbranch_execnz .LBB4_8300
	s_branch .LBB4_8301
.LBB4_8440:                             ;   in Loop: Header=BB4_7740 Depth=3
	s_or_saveexec_b32 s73, s73
	v_mov_b32_e32 v8, 0x7f800001
	s_xor_b32 exec_lo, exec_lo, s73
	s_cbranch_execz .LBB4_8305
.LBB4_8441:                             ;   in Loop: Header=BB4_7740 Depth=3
	v_cmp_ne_u16_sdwa s74, v11, v2 src0_sel:BYTE_3 src1_sel:DWORD
	v_mov_b32_e32 v8, 0
	s_andn2_b32 s17, s17, exec_lo
	s_and_b32 s74, s74, exec_lo
	s_or_b32 s17, s17, s74
	s_or_b32 exec_lo, exec_lo, s73
	s_and_saveexec_b32 s73, s17
	s_cbranch_execnz .LBB4_8306
	s_branch .LBB4_8307
.LBB4_8442:                             ;   in Loop: Header=BB4_3351 Depth=2
	s_or_b32 exec_lo, exec_lo, s22
.LBB4_8443:                             ;   in Loop: Header=BB4_3351 Depth=2
	s_or_b32 exec_lo, exec_lo, s19
	v_and_b32_e32 v8, 15, v76
	v_cmp_lt_i32_e32 vcc_lo, 0, v84
	v_sub_nc_u32_e32 v9, v83, v8
	v_cndmask_b32_e32 v10, 0, v103, vcc_lo
	v_cndmask_b32_e64 v15, v83, v8, s16
	v_cndmask_b32_e64 v8, 0, v9, s16
	v_sub_nc_u32_e32 v9, v10, v84
	v_cmp_ne_u32_e32 vcc_lo, 0, v15
	v_add3_u32 v14, v82, v22, v8
	v_lshl_add_u32 v16, v9, 5, v23
	s_and_b32 s16, vcc_lo, exec_lo
.LBB4_8444:                             ;   in Loop: Header=BB4_3351 Depth=2
	s_or_b32 exec_lo, exec_lo, s18
	s_and_saveexec_b32 s17, s16
	s_cbranch_execz .LBB4_9201
.LBB4_8445:                             ;   in Loop: Header=BB4_3351 Depth=2
	v_ashrrev_i32_e32 v8, 31, v16
	v_ashrrev_i32_e32 v9, 31, v15
	s_mov_b32 s18, exec_lo
	v_lshrrev_b32_e32 v8, 27, v8
	v_lshrrev_b32_e32 v9, 23, v9
	v_add_nc_u32_e32 v8, v16, v8
	v_add_nc_u32_e32 v9, v15, v9
	s_waitcnt vmcnt(0)
	v_ashrrev_i32_e32 v17, 5, v8
	v_ashrrev_i32_e32 v19, 9, v9
	v_sub_nc_u32_e32 v18, v19, v17
	v_cmpx_lt_i32_e32 0, v18
	s_cbranch_execz .LBB4_9153
; %bb.8446:                             ;   in Loop: Header=BB4_3351 Depth=2
	v_and_b32_e32 v8, 0xffffffe0, v8
	s_trap 2
	ds_read_b64 v[10:11], v0
	v_lshlrev_b32_e32 v9, 9, v17
	v_add_co_u32 v20, vcc_lo, 0x1e0, v80
	v_sub_nc_u32_e32 v8, v16, v8
	v_add_co_ci_u32_e64 v21, null, 0, v81, vcc_lo
	s_bitcmp1_b32 s72, 0
	s_mov_b32 s22, 0
	v_add3_u32 v12, v14, v8, v9
	s_cselect_b32 s19, -1, 0
	v_ashrrev_i32_e32 v13, 31, v12
	v_add_co_u32 v8, vcc_lo, v12, v69
	v_add_co_ci_u32_e64 v9, null, v13, v70, vcc_lo
	s_waitcnt lgkmcnt(0)
	v_add_co_u32 v10, vcc_lo, v10, v12
	v_add_co_ci_u32_e64 v11, null, v11, v13, vcc_lo
	v_add_co_u32 v12, vcc_lo, v20, v12
	v_add_co_ci_u32_e64 v13, null, v21, v13, vcc_lo
	s_branch .LBB4_8450
.LBB4_8447:                             ;   in Loop: Header=BB4_8450 Depth=3
	s_or_b32 exec_lo, exec_lo, s16
	v_lshrrev_b32_e32 v21, 20, v21
	v_cmp_gt_i32_e32 vcc_lo, 16, v20
	v_min_i32_e32 v81, 15, v20
	v_and_b32_sdwa v69, v69, v118 dst_sel:DWORD dst_unused:UNUSED_PAD src0_sel:BYTE_3 src1_sel:DWORD
	v_cndmask_b32_e32 v21, 7, v21, vcc_lo
	v_lshlrev_b32_e32 v81, 3, v81
	v_and_b32_e32 v84, 7, v21
	v_or_b32_e32 v20, v20, v21
	v_or3_b32 v21, v81, v69, v84
	v_cmp_ne_u32_e32 vcc_lo, 0, v20
	v_cndmask_b32_e32 v20, 0, v21, vcc_lo
.LBB4_8448:                             ;   in Loop: Header=BB4_8450 Depth=3
	s_or_b32 exec_lo, exec_lo, s73
.LBB4_8449:                             ;   in Loop: Header=BB4_8450 Depth=3
	s_or_b32 exec_lo, exec_lo, s23
	v_add_co_u32 v91, vcc_lo, 0xfffffe20, v12
	v_add_co_ci_u32_e64 v92, null, -1, v13, vcc_lo
	v_add_co_u32 v93, vcc_lo, 0xfffffe40, v12
	v_add_co_ci_u32_e64 v94, null, -1, v13, vcc_lo
	;; [unrolled: 2-line block ×5, first 2 shown]
	v_add_co_u32 v21, vcc_lo, 0xfffffec0, v12
	flat_store_byte v[91:92], v22 glc slc
	flat_store_byte v[93:94], v70 glc slc
	;; [unrolled: 1-line block ×5, first 2 shown]
	v_add_co_ci_u32_e64 v22, null, -1, v13, vcc_lo
	v_add_co_u32 v69, vcc_lo, 0xfffffee0, v12
	v_add_co_ci_u32_e64 v70, null, -1, v13, vcc_lo
	v_add_co_u32 v81, vcc_lo, 0xffffff00, v12
	v_add_co_ci_u32_e64 v82, null, -1, v13, vcc_lo
	v_add_co_u32 v84, vcc_lo, 0xffffff20, v12
	v_add_co_ci_u32_e64 v85, null, -1, v13, vcc_lo
	v_add_co_u32 v91, vcc_lo, 0xffffff40, v12
	v_add_co_ci_u32_e64 v92, null, -1, v13, vcc_lo
	flat_store_byte v[21:22], v99 glc slc
	flat_store_byte v[69:70], v79 glc slc
	;; [unrolled: 1-line block ×5, first 2 shown]
	v_add_co_u32 v21, vcc_lo, 0xffffff60, v12
	v_add_co_ci_u32_e64 v22, null, -1, v13, vcc_lo
	v_add_co_u32 v69, vcc_lo, 0xffffff80, v12
	v_add_co_ci_u32_e64 v70, null, -1, v13, vcc_lo
	;; [unrolled: 2-line block ×4, first 2 shown]
	v_add_co_u32 v98, vcc_lo, 0xffffffe0, v12
	v_sub_nc_u32_e32 v18, v18, v103
	v_add_co_ci_u32_e64 v99, null, -1, v13, vcc_lo
	v_add_co_u32 v8, vcc_lo, v8, v44
	v_add_co_ci_u32_e64 v9, null, 0, v9, vcc_lo
	v_add_co_u32 v10, vcc_lo, v10, v44
	flat_store_byte v[21:22], v97 glc slc
	flat_store_byte v[69:70], v86 glc slc
	flat_store_byte v[81:82], v83 glc slc
	flat_store_byte v[84:85], v80 glc slc
	flat_store_byte v[98:99], v23 glc slc
	flat_store_byte v[12:13], v20 glc slc
	v_add_co_ci_u32_e64 v11, null, 0, v11, vcc_lo
	v_cmp_gt_i32_e32 vcc_lo, 1, v18
	v_add_co_u32 v12, s16, v12, v44
	v_add_co_ci_u32_e64 v13, null, 0, v13, s16
	s_or_b32 s22, vcc_lo, s22
	s_andn2_b32 exec_lo, exec_lo, s22
	s_cbranch_execz .LBB4_9152
.LBB4_8450:                             ;   Parent Loop BB4_47 Depth=1
                                        ;     Parent Loop BB4_3351 Depth=2
                                        ; =>    This Inner Loop Header: Depth=3
	s_clause 0xf
	flat_load_ubyte v106, v[8:9] slc
	flat_load_ubyte v105, v[8:9] offset:32 slc
	flat_load_ubyte v104, v[8:9] offset:64 slc
	;; [unrolled: 1-line block ×15, first 2 shown]
	s_clause 0xf
	flat_load_ubyte v22, v[10:11] slc
	flat_load_ubyte v70, v[10:11] offset:32 slc
	flat_load_ubyte v82, v[10:11] offset:64 slc
	flat_load_ubyte v85, v[10:11] offset:96 slc
	flat_load_ubyte v96, v[10:11] offset:128 slc
	flat_load_ubyte v99, v[10:11] offset:160 slc
	flat_load_ubyte v79, v[10:11] offset:192 slc
	flat_load_ubyte v90, v[10:11] offset:224 slc
	flat_load_ubyte v88, v[10:11] offset:256 slc
	flat_load_ubyte v77, v[10:11] offset:288 slc
	flat_load_ubyte v97, v[10:11] offset:320 slc
	flat_load_ubyte v86, v[10:11] offset:352 slc
	flat_load_ubyte v83, v[10:11] offset:384 slc
	flat_load_ubyte v80, v[10:11] offset:416 slc
	flat_load_ubyte v23, v[10:11] offset:448 slc
	flat_load_ubyte v20, v[10:11] offset:480 slc
	s_and_b32 vcc_lo, exec_lo, s19
	s_mov_b32 s16, -1
                                        ; implicit-def: $vgpr107
	s_cbranch_vccz .LBB4_8464
; %bb.8451:                             ;   in Loop: Header=BB4_8450 Depth=3
	s_waitcnt vmcnt(31) lgkmcnt(31)
	v_cmp_gt_i16_sdwa s23, v106, v117 src0_sel:BYTE_0 src1_sel:DWORD
	s_mov_b32 s16, 0
	s_and_saveexec_b32 s73, s23
	s_xor_b32 s23, exec_lo, s73
	s_cbranch_execz .LBB4_9024
; %bb.8452:                             ;   in Loop: Header=BB4_8450 Depth=3
	v_cmp_eq_u16_sdwa s74, v106, v118 src0_sel:BYTE_0 src1_sel:DWORD
	s_mov_b32 s16, -1
	s_and_saveexec_b32 s73, s74
; %bb.8453:                             ;   in Loop: Header=BB4_8450 Depth=3
	s_xor_b32 s16, exec_lo, -1
; %bb.8454:                             ;   in Loop: Header=BB4_8450 Depth=3
	s_or_b32 exec_lo, exec_lo, s73
	s_and_b32 s16, s16, exec_lo
	s_or_saveexec_b32 s23, s23
	v_mov_b32_e32 v107, 0x7f800001
	s_xor_b32 exec_lo, exec_lo, s23
	s_cbranch_execnz .LBB4_9025
.LBB4_8455:                             ;   in Loop: Header=BB4_8450 Depth=3
	s_or_b32 exec_lo, exec_lo, s23
	s_and_saveexec_b32 s23, s16
	s_cbranch_execz .LBB4_8457
.LBB4_8456:                             ;   in Loop: Header=BB4_8450 Depth=3
	v_and_b32_e32 v107, 7, v106
	v_lshrrev_b16 v109, 3, v106
	v_lshlrev_b32_e32 v111, 24, v106
	v_ffbh_u32_e32 v108, v107
	v_and_b32_e32 v109, 15, v109
	v_min_u32_e32 v108, 32, v108
	v_cmp_eq_u32_e32 vcc_lo, 0, v109
	v_subrev_nc_u32_e32 v110, 28, v108
	v_sub_nc_u32_e32 v108, 29, v108
	v_lshlrev_b32_e32 v110, v110, v106
	v_cndmask_b32_e32 v108, v109, v108, vcc_lo
	v_and_b32_e32 v109, 0x80000000, v111
	v_and_b32_e32 v110, 7, v110
	v_lshl_add_u32 v108, v108, 23, 0x3b800000
	v_cndmask_b32_e32 v107, v107, v110, vcc_lo
	v_lshlrev_b32_e32 v107, 20, v107
	v_or3_b32 v107, v109, v108, v107
.LBB4_8457:                             ;   in Loop: Header=BB4_8450 Depth=3
	s_or_b32 exec_lo, exec_lo, s23
	s_waitcnt vmcnt(15) lgkmcnt(15)
	v_cmp_gt_i16_sdwa s23, v22, v117 src0_sel:BYTE_0 src1_sel:DWORD
	s_mov_b32 s16, 0
	s_and_saveexec_b32 s73, s23
	s_xor_b32 s23, exec_lo, s73
	s_cbranch_execz .LBB4_9026
; %bb.8458:                             ;   in Loop: Header=BB4_8450 Depth=3
	v_cmp_eq_u16_sdwa s74, v22, v118 src0_sel:BYTE_0 src1_sel:DWORD
	s_mov_b32 s16, -1
	s_and_saveexec_b32 s73, s74
; %bb.8459:                             ;   in Loop: Header=BB4_8450 Depth=3
	s_xor_b32 s16, exec_lo, -1
; %bb.8460:                             ;   in Loop: Header=BB4_8450 Depth=3
	s_or_b32 exec_lo, exec_lo, s73
	s_and_b32 s16, s16, exec_lo
	s_or_saveexec_b32 s23, s23
	v_mov_b32_e32 v108, 0x7f800001
	s_xor_b32 exec_lo, exec_lo, s23
	s_cbranch_execnz .LBB4_9027
.LBB4_8461:                             ;   in Loop: Header=BB4_8450 Depth=3
	s_or_b32 exec_lo, exec_lo, s23
	s_and_saveexec_b32 s23, s16
	s_cbranch_execz .LBB4_8463
.LBB4_8462:                             ;   in Loop: Header=BB4_8450 Depth=3
	v_and_b32_e32 v108, 7, v22
	v_lshrrev_b16 v110, 3, v22
	v_lshlrev_b32_e32 v120, 24, v22
	v_ffbh_u32_e32 v109, v108
	v_and_b32_e32 v110, 15, v110
	v_min_u32_e32 v109, 32, v109
	v_cmp_eq_u32_e32 vcc_lo, 0, v110
	v_subrev_nc_u32_e32 v111, 28, v109
	v_sub_nc_u32_e32 v109, 29, v109
	v_lshlrev_b32_e32 v111, v111, v22
	v_cndmask_b32_e32 v109, v110, v109, vcc_lo
	v_and_b32_e32 v110, 0x80000000, v120
	v_and_b32_e32 v111, 7, v111
	v_lshl_add_u32 v109, v109, 23, 0x3b800000
	v_cndmask_b32_e32 v108, v108, v111, vcc_lo
	v_lshlrev_b32_e32 v108, 20, v108
	v_or3_b32 v108, v110, v109, v108
.LBB4_8463:                             ;   in Loop: Header=BB4_8450 Depth=3
	s_or_b32 exec_lo, exec_lo, s23
	v_max_f32_e32 v108, v108, v108
	v_max_f32_e32 v107, v107, v107
	s_mov_b32 s16, 0
	v_max_f32_e32 v107, v107, v108
.LBB4_8464:                             ;   in Loop: Header=BB4_8450 Depth=3
	s_and_b32 vcc_lo, exec_lo, s16
	s_cbranch_vccz .LBB4_8478
; %bb.8465:                             ;   in Loop: Header=BB4_8450 Depth=3
	s_waitcnt vmcnt(31) lgkmcnt(31)
	v_cmp_gt_i16_sdwa s23, v106, v117 src0_sel:BYTE_0 src1_sel:DWORD
	s_mov_b32 s16, 0
	s_and_saveexec_b32 s73, s23
	s_xor_b32 s23, exec_lo, s73
	s_cbranch_execz .LBB4_9028
; %bb.8466:                             ;   in Loop: Header=BB4_8450 Depth=3
	v_cmp_eq_u16_sdwa s74, v106, v118 src0_sel:BYTE_0 src1_sel:DWORD
	s_mov_b32 s16, -1
	s_and_saveexec_b32 s73, s74
; %bb.8467:                             ;   in Loop: Header=BB4_8450 Depth=3
	s_xor_b32 s16, exec_lo, -1
; %bb.8468:                             ;   in Loop: Header=BB4_8450 Depth=3
	s_or_b32 exec_lo, exec_lo, s73
	s_and_b32 s16, s16, exec_lo
	s_or_saveexec_b32 s23, s23
	v_mov_b32_e32 v107, 0x7f800001
	s_xor_b32 exec_lo, exec_lo, s23
	s_cbranch_execnz .LBB4_9029
.LBB4_8469:                             ;   in Loop: Header=BB4_8450 Depth=3
	s_or_b32 exec_lo, exec_lo, s23
	s_and_saveexec_b32 s23, s16
	s_cbranch_execz .LBB4_8471
.LBB4_8470:                             ;   in Loop: Header=BB4_8450 Depth=3
	v_and_b32_e32 v107, 7, v106
	v_lshrrev_b16 v109, 3, v106
	v_ffbh_u32_e32 v108, v107
	v_and_b32_e32 v109, 15, v109
	v_min_u32_e32 v108, 32, v108
	v_cmp_eq_u32_e32 vcc_lo, 0, v109
	v_subrev_nc_u32_e32 v110, 28, v108
	v_sub_nc_u32_e32 v108, 29, v108
	v_lshlrev_b32_e32 v110, v110, v106
	v_lshlrev_b32_e32 v106, 24, v106
	v_cndmask_b32_e32 v108, v109, v108, vcc_lo
	v_and_b32_e32 v110, 7, v110
	v_and_b32_e32 v106, 0x80000000, v106
	v_lshl_add_u32 v108, v108, 23, 0x3b800000
	v_cndmask_b32_e32 v107, v107, v110, vcc_lo
	v_lshlrev_b32_e32 v107, 20, v107
	v_or3_b32 v107, v106, v108, v107
.LBB4_8471:                             ;   in Loop: Header=BB4_8450 Depth=3
	s_or_b32 exec_lo, exec_lo, s23
	s_waitcnt vmcnt(15) lgkmcnt(15)
	v_cmp_gt_i16_sdwa s23, v22, v117 src0_sel:BYTE_0 src1_sel:DWORD
	s_mov_b32 s16, 0
	s_and_saveexec_b32 s73, s23
	s_xor_b32 s23, exec_lo, s73
	s_cbranch_execz .LBB4_9030
; %bb.8472:                             ;   in Loop: Header=BB4_8450 Depth=3
	v_cmp_eq_u16_sdwa s74, v22, v118 src0_sel:BYTE_0 src1_sel:DWORD
	s_mov_b32 s16, -1
	s_and_saveexec_b32 s73, s74
; %bb.8473:                             ;   in Loop: Header=BB4_8450 Depth=3
	s_xor_b32 s16, exec_lo, -1
; %bb.8474:                             ;   in Loop: Header=BB4_8450 Depth=3
	s_or_b32 exec_lo, exec_lo, s73
	s_and_b32 s16, s16, exec_lo
	s_or_saveexec_b32 s23, s23
	v_mov_b32_e32 v106, 0x7f800001
	s_xor_b32 exec_lo, exec_lo, s23
	s_cbranch_execnz .LBB4_9031
.LBB4_8475:                             ;   in Loop: Header=BB4_8450 Depth=3
	s_or_b32 exec_lo, exec_lo, s23
	s_and_saveexec_b32 s23, s16
	s_cbranch_execz .LBB4_8477
.LBB4_8476:                             ;   in Loop: Header=BB4_8450 Depth=3
	v_and_b32_e32 v106, 7, v22
	v_lshrrev_b16 v109, 3, v22
	v_ffbh_u32_e32 v108, v106
	v_and_b32_e32 v109, 15, v109
	v_min_u32_e32 v108, 32, v108
	v_cmp_eq_u32_e32 vcc_lo, 0, v109
	v_subrev_nc_u32_e32 v110, 28, v108
	v_sub_nc_u32_e32 v108, 29, v108
	v_lshlrev_b32_e32 v110, v110, v22
	v_lshlrev_b32_e32 v22, 24, v22
	v_cndmask_b32_e32 v108, v109, v108, vcc_lo
	v_and_b32_e32 v110, 7, v110
	v_and_b32_e32 v22, 0x80000000, v22
	v_lshl_add_u32 v108, v108, 23, 0x3b800000
	v_cndmask_b32_e32 v106, v106, v110, vcc_lo
	v_lshlrev_b32_e32 v106, 20, v106
	v_or3_b32 v106, v22, v108, v106
.LBB4_8477:                             ;   in Loop: Header=BB4_8450 Depth=3
	s_or_b32 exec_lo, exec_lo, s23
	v_max_f32_e32 v22, v106, v106
	v_max_f32_e32 v106, v107, v107
	v_min_f32_e32 v107, v106, v22
.LBB4_8478:                             ;   in Loop: Header=BB4_8450 Depth=3
	s_waitcnt vmcnt(15) lgkmcnt(15)
	v_and_b32_e32 v22, 0x7f800000, v107
	v_cmp_ne_u32_e32 vcc_lo, 0x7f800000, v22
	v_mov_b32_e32 v22, 0x80
	s_and_saveexec_b32 s23, vcc_lo
	s_cbranch_execz .LBB4_8486
; %bb.8479:                             ;   in Loop: Header=BB4_8450 Depth=3
	v_mov_b32_e32 v22, 0
	s_mov_b32 s73, exec_lo
	v_cmpx_ne_u32_e32 0, v107
	s_cbranch_execz .LBB4_8485
; %bb.8480:                             ;   in Loop: Header=BB4_8450 Depth=3
	v_bfe_u32 v22, v107, 23, 8
	v_and_b32_e32 v106, 0x7fffff, v107
	v_sub_nc_u32_e32 v108, 0x78, v22
	v_cmp_gt_u32_e32 vcc_lo, 0x79, v22
	v_or_b32_e32 v109, 0x800000, v106
	v_cndmask_b32_e32 v108, 0, v108, vcc_lo
	v_cmp_eq_u32_e32 vcc_lo, 0, v22
	v_add_nc_u32_e32 v22, 0xffffff89, v22
	v_cndmask_b32_e64 v108, v108, 0x77, vcc_lo
	v_cndmask_b32_e32 v106, v109, v106, vcc_lo
	v_cndmask_b32_e64 v22, v22, 0xffffff8a, vcc_lo
	v_lshl_add_u32 v109, 0x100000, v108, -1
	v_lshrrev_b32_e32 v110, v108, v106
	v_lshlrev_b32_e64 v120, v108, 0x80000
	v_add_nc_u32_e32 v108, v108, v22
	v_and_b32_e32 v106, v109, v106
	v_bfe_u32 v111, v110, 20, 1
	v_cmp_eq_u32_e64 s16, v106, v120
	v_add_nc_u32_e32 v109, -1, v111
	v_cndmask_b32_e64 v106, 0, v109, s16
	v_lshrrev_b32_e32 v109, 23, v110
	s_mov_b32 s16, exec_lo
	v_add_nc_u32_e32 v106, v106, v110
	v_xor_b32_e32 v109, 1, v109
	v_and_b32_e32 v22, 0xfffff, v106
	v_add_nc_u32_e32 v106, v22, v110
                                        ; implicit-def: $vgpr22
	v_cmpx_ne_u32_e64 v108, v109
	s_xor_b32 s16, exec_lo, s16
; %bb.8481:                             ;   in Loop: Header=BB4_8450 Depth=3
	v_cmp_lt_u32_e32 vcc_lo, 0xffffff, v106
	v_sub_nc_u32_e32 v22, v108, v109
	v_cndmask_b32_e64 v108, 0, 1, vcc_lo
	v_add_co_ci_u32_e64 v22, null, 0, v22, vcc_lo
	v_lshrrev_b32_e32 v106, v108, v106
; %bb.8482:                             ;   in Loop: Header=BB4_8450 Depth=3
	s_andn2_saveexec_b32 s16, s16
; %bb.8483:                             ;   in Loop: Header=BB4_8450 Depth=3
	v_bfe_u32 v22, v106, 23, 1
; %bb.8484:                             ;   in Loop: Header=BB4_8450 Depth=3
	s_or_b32 exec_lo, exec_lo, s16
	v_lshrrev_b32_e32 v106, 20, v106
	v_cmp_gt_i32_e32 vcc_lo, 16, v22
	v_min_i32_e32 v108, 15, v22
	v_and_b32_sdwa v107, v107, v118 dst_sel:DWORD dst_unused:UNUSED_PAD src0_sel:BYTE_3 src1_sel:DWORD
	v_cndmask_b32_e32 v106, 7, v106, vcc_lo
	v_lshlrev_b32_e32 v108, 3, v108
	v_and_b32_e32 v109, 7, v106
	v_or_b32_e32 v22, v22, v106
	v_or3_b32 v106, v108, v107, v109
	v_cmp_ne_u32_e32 vcc_lo, 0, v22
	v_cndmask_b32_e32 v22, 0, v106, vcc_lo
.LBB4_8485:                             ;   in Loop: Header=BB4_8450 Depth=3
	s_or_b32 exec_lo, exec_lo, s73
.LBB4_8486:                             ;   in Loop: Header=BB4_8450 Depth=3
	s_or_b32 exec_lo, exec_lo, s23
	s_andn2_b32 vcc_lo, exec_lo, s19
	s_mov_b32 s16, -1
                                        ; implicit-def: $vgpr106
	s_cbranch_vccnz .LBB4_8500
; %bb.8487:                             ;   in Loop: Header=BB4_8450 Depth=3
	v_cmp_gt_i16_sdwa s23, v105, v117 src0_sel:BYTE_0 src1_sel:DWORD
	s_mov_b32 s16, 0
	s_and_saveexec_b32 s73, s23
	s_xor_b32 s23, exec_lo, s73
	s_cbranch_execz .LBB4_9032
; %bb.8488:                             ;   in Loop: Header=BB4_8450 Depth=3
	v_cmp_eq_u16_sdwa s74, v105, v118 src0_sel:BYTE_0 src1_sel:DWORD
	s_mov_b32 s16, -1
	s_and_saveexec_b32 s73, s74
; %bb.8489:                             ;   in Loop: Header=BB4_8450 Depth=3
	s_xor_b32 s16, exec_lo, -1
; %bb.8490:                             ;   in Loop: Header=BB4_8450 Depth=3
	s_or_b32 exec_lo, exec_lo, s73
	s_and_b32 s16, s16, exec_lo
	s_or_saveexec_b32 s23, s23
	v_mov_b32_e32 v106, 0x7f800001
	s_xor_b32 exec_lo, exec_lo, s23
	s_cbranch_execnz .LBB4_9033
.LBB4_8491:                             ;   in Loop: Header=BB4_8450 Depth=3
	s_or_b32 exec_lo, exec_lo, s23
	s_and_saveexec_b32 s23, s16
	s_cbranch_execz .LBB4_8493
.LBB4_8492:                             ;   in Loop: Header=BB4_8450 Depth=3
	v_and_b32_e32 v106, 7, v105
	v_lshrrev_b16 v108, 3, v105
	v_lshlrev_b32_e32 v110, 24, v105
	v_ffbh_u32_e32 v107, v106
	v_and_b32_e32 v108, 15, v108
	v_min_u32_e32 v107, 32, v107
	v_cmp_eq_u32_e32 vcc_lo, 0, v108
	v_subrev_nc_u32_e32 v109, 28, v107
	v_sub_nc_u32_e32 v107, 29, v107
	v_lshlrev_b32_e32 v109, v109, v105
	v_cndmask_b32_e32 v107, v108, v107, vcc_lo
	v_and_b32_e32 v108, 0x80000000, v110
	v_and_b32_e32 v109, 7, v109
	v_lshl_add_u32 v107, v107, 23, 0x3b800000
	v_cndmask_b32_e32 v106, v106, v109, vcc_lo
	v_lshlrev_b32_e32 v106, 20, v106
	v_or3_b32 v106, v108, v107, v106
.LBB4_8493:                             ;   in Loop: Header=BB4_8450 Depth=3
	s_or_b32 exec_lo, exec_lo, s23
	s_waitcnt vmcnt(14) lgkmcnt(14)
	v_cmp_gt_i16_sdwa s23, v70, v117 src0_sel:BYTE_0 src1_sel:DWORD
	s_mov_b32 s16, 0
	s_and_saveexec_b32 s73, s23
	s_xor_b32 s23, exec_lo, s73
	s_cbranch_execz .LBB4_9034
; %bb.8494:                             ;   in Loop: Header=BB4_8450 Depth=3
	v_cmp_eq_u16_sdwa s74, v70, v118 src0_sel:BYTE_0 src1_sel:DWORD
	s_mov_b32 s16, -1
	s_and_saveexec_b32 s73, s74
; %bb.8495:                             ;   in Loop: Header=BB4_8450 Depth=3
	s_xor_b32 s16, exec_lo, -1
; %bb.8496:                             ;   in Loop: Header=BB4_8450 Depth=3
	s_or_b32 exec_lo, exec_lo, s73
	s_and_b32 s16, s16, exec_lo
	s_or_saveexec_b32 s23, s23
	v_mov_b32_e32 v107, 0x7f800001
	s_xor_b32 exec_lo, exec_lo, s23
	s_cbranch_execnz .LBB4_9035
.LBB4_8497:                             ;   in Loop: Header=BB4_8450 Depth=3
	s_or_b32 exec_lo, exec_lo, s23
	s_and_saveexec_b32 s23, s16
	s_cbranch_execz .LBB4_8499
.LBB4_8498:                             ;   in Loop: Header=BB4_8450 Depth=3
	v_and_b32_e32 v107, 7, v70
	v_lshrrev_b16 v109, 3, v70
	v_lshlrev_b32_e32 v111, 24, v70
	v_ffbh_u32_e32 v108, v107
	v_and_b32_e32 v109, 15, v109
	v_min_u32_e32 v108, 32, v108
	v_cmp_eq_u32_e32 vcc_lo, 0, v109
	v_subrev_nc_u32_e32 v110, 28, v108
	v_sub_nc_u32_e32 v108, 29, v108
	v_lshlrev_b32_e32 v110, v110, v70
	v_cndmask_b32_e32 v108, v109, v108, vcc_lo
	v_and_b32_e32 v109, 0x80000000, v111
	v_and_b32_e32 v110, 7, v110
	v_lshl_add_u32 v108, v108, 23, 0x3b800000
	v_cndmask_b32_e32 v107, v107, v110, vcc_lo
	v_lshlrev_b32_e32 v107, 20, v107
	v_or3_b32 v107, v109, v108, v107
.LBB4_8499:                             ;   in Loop: Header=BB4_8450 Depth=3
	s_or_b32 exec_lo, exec_lo, s23
	v_max_f32_e32 v107, v107, v107
	v_max_f32_e32 v106, v106, v106
	;; [unrolled: 1-line block ×3, first 2 shown]
	s_branch .LBB4_8514
.LBB4_8500:                             ;   in Loop: Header=BB4_8450 Depth=3
	s_and_b32 vcc_lo, exec_lo, s16
	s_cbranch_vccz .LBB4_8514
; %bb.8501:                             ;   in Loop: Header=BB4_8450 Depth=3
	v_cmp_gt_i16_sdwa s23, v105, v117 src0_sel:BYTE_0 src1_sel:DWORD
	s_mov_b32 s16, 0
	s_and_saveexec_b32 s73, s23
	s_xor_b32 s23, exec_lo, s73
	s_cbranch_execz .LBB4_9036
; %bb.8502:                             ;   in Loop: Header=BB4_8450 Depth=3
	v_cmp_eq_u16_sdwa s74, v105, v118 src0_sel:BYTE_0 src1_sel:DWORD
	s_mov_b32 s16, -1
	s_and_saveexec_b32 s73, s74
; %bb.8503:                             ;   in Loop: Header=BB4_8450 Depth=3
	s_xor_b32 s16, exec_lo, -1
; %bb.8504:                             ;   in Loop: Header=BB4_8450 Depth=3
	s_or_b32 exec_lo, exec_lo, s73
	s_and_b32 s16, s16, exec_lo
	s_or_saveexec_b32 s23, s23
	v_mov_b32_e32 v106, 0x7f800001
	s_xor_b32 exec_lo, exec_lo, s23
	s_cbranch_execnz .LBB4_9037
.LBB4_8505:                             ;   in Loop: Header=BB4_8450 Depth=3
	s_or_b32 exec_lo, exec_lo, s23
	s_and_saveexec_b32 s23, s16
	s_cbranch_execz .LBB4_8507
.LBB4_8506:                             ;   in Loop: Header=BB4_8450 Depth=3
	v_and_b32_e32 v106, 7, v105
	v_lshrrev_b16 v108, 3, v105
	v_ffbh_u32_e32 v107, v106
	v_and_b32_e32 v108, 15, v108
	v_min_u32_e32 v107, 32, v107
	v_cmp_eq_u32_e32 vcc_lo, 0, v108
	v_subrev_nc_u32_e32 v109, 28, v107
	v_sub_nc_u32_e32 v107, 29, v107
	v_lshlrev_b32_e32 v109, v109, v105
	v_lshlrev_b32_e32 v105, 24, v105
	v_cndmask_b32_e32 v107, v108, v107, vcc_lo
	v_and_b32_e32 v109, 7, v109
	v_and_b32_e32 v105, 0x80000000, v105
	v_lshl_add_u32 v107, v107, 23, 0x3b800000
	v_cndmask_b32_e32 v106, v106, v109, vcc_lo
	v_lshlrev_b32_e32 v106, 20, v106
	v_or3_b32 v106, v105, v107, v106
.LBB4_8507:                             ;   in Loop: Header=BB4_8450 Depth=3
	s_or_b32 exec_lo, exec_lo, s23
	s_waitcnt vmcnt(14) lgkmcnt(14)
	v_cmp_gt_i16_sdwa s23, v70, v117 src0_sel:BYTE_0 src1_sel:DWORD
	s_mov_b32 s16, 0
	s_and_saveexec_b32 s73, s23
	s_xor_b32 s23, exec_lo, s73
	s_cbranch_execz .LBB4_9038
; %bb.8508:                             ;   in Loop: Header=BB4_8450 Depth=3
	v_cmp_eq_u16_sdwa s74, v70, v118 src0_sel:BYTE_0 src1_sel:DWORD
	s_mov_b32 s16, -1
	s_and_saveexec_b32 s73, s74
; %bb.8509:                             ;   in Loop: Header=BB4_8450 Depth=3
	s_xor_b32 s16, exec_lo, -1
; %bb.8510:                             ;   in Loop: Header=BB4_8450 Depth=3
	s_or_b32 exec_lo, exec_lo, s73
	s_and_b32 s16, s16, exec_lo
	s_or_saveexec_b32 s23, s23
	v_mov_b32_e32 v105, 0x7f800001
	s_xor_b32 exec_lo, exec_lo, s23
	s_cbranch_execnz .LBB4_9039
.LBB4_8511:                             ;   in Loop: Header=BB4_8450 Depth=3
	s_or_b32 exec_lo, exec_lo, s23
	s_and_saveexec_b32 s23, s16
	s_cbranch_execz .LBB4_8513
.LBB4_8512:                             ;   in Loop: Header=BB4_8450 Depth=3
	v_and_b32_e32 v105, 7, v70
	v_lshrrev_b16 v108, 3, v70
	v_ffbh_u32_e32 v107, v105
	v_and_b32_e32 v108, 15, v108
	v_min_u32_e32 v107, 32, v107
	v_cmp_eq_u32_e32 vcc_lo, 0, v108
	v_subrev_nc_u32_e32 v109, 28, v107
	v_sub_nc_u32_e32 v107, 29, v107
	v_lshlrev_b32_e32 v109, v109, v70
	v_lshlrev_b32_e32 v70, 24, v70
	v_cndmask_b32_e32 v107, v108, v107, vcc_lo
	v_and_b32_e32 v109, 7, v109
	v_and_b32_e32 v70, 0x80000000, v70
	v_lshl_add_u32 v107, v107, 23, 0x3b800000
	v_cndmask_b32_e32 v105, v105, v109, vcc_lo
	v_lshlrev_b32_e32 v105, 20, v105
	v_or3_b32 v105, v70, v107, v105
.LBB4_8513:                             ;   in Loop: Header=BB4_8450 Depth=3
	s_or_b32 exec_lo, exec_lo, s23
	v_max_f32_e32 v70, v105, v105
	v_max_f32_e32 v105, v106, v106
	v_min_f32_e32 v106, v105, v70
.LBB4_8514:                             ;   in Loop: Header=BB4_8450 Depth=3
	s_waitcnt vmcnt(14) lgkmcnt(14)
	v_and_b32_e32 v70, 0x7f800000, v106
	v_cmp_ne_u32_e32 vcc_lo, 0x7f800000, v70
	v_mov_b32_e32 v70, 0x80
	s_and_saveexec_b32 s23, vcc_lo
	s_cbranch_execz .LBB4_8522
; %bb.8515:                             ;   in Loop: Header=BB4_8450 Depth=3
	v_mov_b32_e32 v70, 0
	s_mov_b32 s73, exec_lo
	v_cmpx_ne_u32_e32 0, v106
	s_cbranch_execz .LBB4_8521
; %bb.8516:                             ;   in Loop: Header=BB4_8450 Depth=3
	v_bfe_u32 v70, v106, 23, 8
	v_and_b32_e32 v105, 0x7fffff, v106
	v_sub_nc_u32_e32 v107, 0x78, v70
	v_cmp_gt_u32_e32 vcc_lo, 0x79, v70
	v_or_b32_e32 v108, 0x800000, v105
	v_cndmask_b32_e32 v107, 0, v107, vcc_lo
	v_cmp_eq_u32_e32 vcc_lo, 0, v70
	v_add_nc_u32_e32 v70, 0xffffff89, v70
	v_cndmask_b32_e64 v107, v107, 0x77, vcc_lo
	v_cndmask_b32_e32 v105, v108, v105, vcc_lo
	v_cndmask_b32_e64 v70, v70, 0xffffff8a, vcc_lo
	v_lshl_add_u32 v108, 0x100000, v107, -1
	v_lshrrev_b32_e32 v109, v107, v105
	v_lshlrev_b32_e64 v111, v107, 0x80000
	v_add_nc_u32_e32 v107, v107, v70
	v_and_b32_e32 v105, v108, v105
	v_bfe_u32 v110, v109, 20, 1
	v_cmp_eq_u32_e64 s16, v105, v111
	v_add_nc_u32_e32 v108, -1, v110
	v_cndmask_b32_e64 v105, 0, v108, s16
	v_lshrrev_b32_e32 v108, 23, v109
	s_mov_b32 s16, exec_lo
	v_add_nc_u32_e32 v105, v105, v109
	v_xor_b32_e32 v108, 1, v108
	v_and_b32_e32 v70, 0xfffff, v105
	v_add_nc_u32_e32 v105, v70, v109
                                        ; implicit-def: $vgpr70
	v_cmpx_ne_u32_e64 v107, v108
	s_xor_b32 s16, exec_lo, s16
; %bb.8517:                             ;   in Loop: Header=BB4_8450 Depth=3
	v_cmp_lt_u32_e32 vcc_lo, 0xffffff, v105
	v_sub_nc_u32_e32 v70, v107, v108
	v_cndmask_b32_e64 v107, 0, 1, vcc_lo
	v_add_co_ci_u32_e64 v70, null, 0, v70, vcc_lo
	v_lshrrev_b32_e32 v105, v107, v105
; %bb.8518:                             ;   in Loop: Header=BB4_8450 Depth=3
	s_andn2_saveexec_b32 s16, s16
; %bb.8519:                             ;   in Loop: Header=BB4_8450 Depth=3
	v_bfe_u32 v70, v105, 23, 1
; %bb.8520:                             ;   in Loop: Header=BB4_8450 Depth=3
	s_or_b32 exec_lo, exec_lo, s16
	v_lshrrev_b32_e32 v105, 20, v105
	v_cmp_gt_i32_e32 vcc_lo, 16, v70
	v_min_i32_e32 v107, 15, v70
	v_and_b32_sdwa v106, v106, v118 dst_sel:DWORD dst_unused:UNUSED_PAD src0_sel:BYTE_3 src1_sel:DWORD
	v_cndmask_b32_e32 v105, 7, v105, vcc_lo
	v_lshlrev_b32_e32 v107, 3, v107
	v_and_b32_e32 v108, 7, v105
	v_or_b32_e32 v70, v70, v105
	v_or3_b32 v105, v107, v106, v108
	v_cmp_ne_u32_e32 vcc_lo, 0, v70
	v_cndmask_b32_e32 v70, 0, v105, vcc_lo
.LBB4_8521:                             ;   in Loop: Header=BB4_8450 Depth=3
	s_or_b32 exec_lo, exec_lo, s73
.LBB4_8522:                             ;   in Loop: Header=BB4_8450 Depth=3
	s_or_b32 exec_lo, exec_lo, s23
	s_andn2_b32 vcc_lo, exec_lo, s19
	s_mov_b32 s16, -1
                                        ; implicit-def: $vgpr105
	s_cbranch_vccnz .LBB4_8536
; %bb.8523:                             ;   in Loop: Header=BB4_8450 Depth=3
	v_cmp_gt_i16_sdwa s23, v104, v117 src0_sel:BYTE_0 src1_sel:DWORD
	s_mov_b32 s16, 0
	s_and_saveexec_b32 s73, s23
	s_xor_b32 s23, exec_lo, s73
	s_cbranch_execz .LBB4_9040
; %bb.8524:                             ;   in Loop: Header=BB4_8450 Depth=3
	v_cmp_eq_u16_sdwa s74, v104, v118 src0_sel:BYTE_0 src1_sel:DWORD
	s_mov_b32 s16, -1
	s_and_saveexec_b32 s73, s74
; %bb.8525:                             ;   in Loop: Header=BB4_8450 Depth=3
	s_xor_b32 s16, exec_lo, -1
; %bb.8526:                             ;   in Loop: Header=BB4_8450 Depth=3
	s_or_b32 exec_lo, exec_lo, s73
	s_and_b32 s16, s16, exec_lo
	s_or_saveexec_b32 s23, s23
	v_mov_b32_e32 v105, 0x7f800001
	s_xor_b32 exec_lo, exec_lo, s23
	s_cbranch_execnz .LBB4_9041
.LBB4_8527:                             ;   in Loop: Header=BB4_8450 Depth=3
	s_or_b32 exec_lo, exec_lo, s23
	s_and_saveexec_b32 s23, s16
	s_cbranch_execz .LBB4_8529
.LBB4_8528:                             ;   in Loop: Header=BB4_8450 Depth=3
	v_and_b32_e32 v105, 7, v104
	v_lshrrev_b16 v107, 3, v104
	v_lshlrev_b32_e32 v109, 24, v104
	v_ffbh_u32_e32 v106, v105
	v_and_b32_e32 v107, 15, v107
	v_min_u32_e32 v106, 32, v106
	v_cmp_eq_u32_e32 vcc_lo, 0, v107
	v_subrev_nc_u32_e32 v108, 28, v106
	v_sub_nc_u32_e32 v106, 29, v106
	v_lshlrev_b32_e32 v108, v108, v104
	v_cndmask_b32_e32 v106, v107, v106, vcc_lo
	v_and_b32_e32 v107, 0x80000000, v109
	v_and_b32_e32 v108, 7, v108
	v_lshl_add_u32 v106, v106, 23, 0x3b800000
	v_cndmask_b32_e32 v105, v105, v108, vcc_lo
	v_lshlrev_b32_e32 v105, 20, v105
	v_or3_b32 v105, v107, v106, v105
.LBB4_8529:                             ;   in Loop: Header=BB4_8450 Depth=3
	s_or_b32 exec_lo, exec_lo, s23
	s_waitcnt vmcnt(13) lgkmcnt(13)
	v_cmp_gt_i16_sdwa s23, v82, v117 src0_sel:BYTE_0 src1_sel:DWORD
	s_mov_b32 s16, 0
	s_and_saveexec_b32 s73, s23
	s_xor_b32 s23, exec_lo, s73
	s_cbranch_execz .LBB4_9042
; %bb.8530:                             ;   in Loop: Header=BB4_8450 Depth=3
	v_cmp_eq_u16_sdwa s74, v82, v118 src0_sel:BYTE_0 src1_sel:DWORD
	s_mov_b32 s16, -1
	s_and_saveexec_b32 s73, s74
; %bb.8531:                             ;   in Loop: Header=BB4_8450 Depth=3
	s_xor_b32 s16, exec_lo, -1
; %bb.8532:                             ;   in Loop: Header=BB4_8450 Depth=3
	s_or_b32 exec_lo, exec_lo, s73
	s_and_b32 s16, s16, exec_lo
	s_or_saveexec_b32 s23, s23
	v_mov_b32_e32 v106, 0x7f800001
	s_xor_b32 exec_lo, exec_lo, s23
	s_cbranch_execnz .LBB4_9043
.LBB4_8533:                             ;   in Loop: Header=BB4_8450 Depth=3
	s_or_b32 exec_lo, exec_lo, s23
	s_and_saveexec_b32 s23, s16
	s_cbranch_execz .LBB4_8535
.LBB4_8534:                             ;   in Loop: Header=BB4_8450 Depth=3
	v_and_b32_e32 v106, 7, v82
	v_lshrrev_b16 v108, 3, v82
	v_lshlrev_b32_e32 v110, 24, v82
	v_ffbh_u32_e32 v107, v106
	v_and_b32_e32 v108, 15, v108
	v_min_u32_e32 v107, 32, v107
	v_cmp_eq_u32_e32 vcc_lo, 0, v108
	v_subrev_nc_u32_e32 v109, 28, v107
	v_sub_nc_u32_e32 v107, 29, v107
	v_lshlrev_b32_e32 v109, v109, v82
	v_cndmask_b32_e32 v107, v108, v107, vcc_lo
	v_and_b32_e32 v108, 0x80000000, v110
	v_and_b32_e32 v109, 7, v109
	v_lshl_add_u32 v107, v107, 23, 0x3b800000
	v_cndmask_b32_e32 v106, v106, v109, vcc_lo
	v_lshlrev_b32_e32 v106, 20, v106
	v_or3_b32 v106, v108, v107, v106
.LBB4_8535:                             ;   in Loop: Header=BB4_8450 Depth=3
	s_or_b32 exec_lo, exec_lo, s23
	v_max_f32_e32 v106, v106, v106
	v_max_f32_e32 v105, v105, v105
	;; [unrolled: 1-line block ×3, first 2 shown]
	s_branch .LBB4_8550
.LBB4_8536:                             ;   in Loop: Header=BB4_8450 Depth=3
	s_and_b32 vcc_lo, exec_lo, s16
	s_cbranch_vccz .LBB4_8550
; %bb.8537:                             ;   in Loop: Header=BB4_8450 Depth=3
	v_cmp_gt_i16_sdwa s23, v104, v117 src0_sel:BYTE_0 src1_sel:DWORD
	s_mov_b32 s16, 0
	s_and_saveexec_b32 s73, s23
	s_xor_b32 s23, exec_lo, s73
	s_cbranch_execz .LBB4_9044
; %bb.8538:                             ;   in Loop: Header=BB4_8450 Depth=3
	v_cmp_eq_u16_sdwa s74, v104, v118 src0_sel:BYTE_0 src1_sel:DWORD
	s_mov_b32 s16, -1
	s_and_saveexec_b32 s73, s74
; %bb.8539:                             ;   in Loop: Header=BB4_8450 Depth=3
	s_xor_b32 s16, exec_lo, -1
; %bb.8540:                             ;   in Loop: Header=BB4_8450 Depth=3
	s_or_b32 exec_lo, exec_lo, s73
	s_and_b32 s16, s16, exec_lo
	s_or_saveexec_b32 s23, s23
	v_mov_b32_e32 v105, 0x7f800001
	s_xor_b32 exec_lo, exec_lo, s23
	s_cbranch_execnz .LBB4_9045
.LBB4_8541:                             ;   in Loop: Header=BB4_8450 Depth=3
	s_or_b32 exec_lo, exec_lo, s23
	s_and_saveexec_b32 s23, s16
	s_cbranch_execz .LBB4_8543
.LBB4_8542:                             ;   in Loop: Header=BB4_8450 Depth=3
	v_and_b32_e32 v105, 7, v104
	v_lshrrev_b16 v107, 3, v104
	v_ffbh_u32_e32 v106, v105
	v_and_b32_e32 v107, 15, v107
	v_min_u32_e32 v106, 32, v106
	v_cmp_eq_u32_e32 vcc_lo, 0, v107
	v_subrev_nc_u32_e32 v108, 28, v106
	v_sub_nc_u32_e32 v106, 29, v106
	v_lshlrev_b32_e32 v108, v108, v104
	v_lshlrev_b32_e32 v104, 24, v104
	v_cndmask_b32_e32 v106, v107, v106, vcc_lo
	v_and_b32_e32 v108, 7, v108
	v_and_b32_e32 v104, 0x80000000, v104
	v_lshl_add_u32 v106, v106, 23, 0x3b800000
	v_cndmask_b32_e32 v105, v105, v108, vcc_lo
	v_lshlrev_b32_e32 v105, 20, v105
	v_or3_b32 v105, v104, v106, v105
.LBB4_8543:                             ;   in Loop: Header=BB4_8450 Depth=3
	s_or_b32 exec_lo, exec_lo, s23
	s_waitcnt vmcnt(13) lgkmcnt(13)
	v_cmp_gt_i16_sdwa s23, v82, v117 src0_sel:BYTE_0 src1_sel:DWORD
	s_mov_b32 s16, 0
	s_and_saveexec_b32 s73, s23
	s_xor_b32 s23, exec_lo, s73
	s_cbranch_execz .LBB4_9046
; %bb.8544:                             ;   in Loop: Header=BB4_8450 Depth=3
	v_cmp_eq_u16_sdwa s74, v82, v118 src0_sel:BYTE_0 src1_sel:DWORD
	s_mov_b32 s16, -1
	s_and_saveexec_b32 s73, s74
; %bb.8545:                             ;   in Loop: Header=BB4_8450 Depth=3
	s_xor_b32 s16, exec_lo, -1
; %bb.8546:                             ;   in Loop: Header=BB4_8450 Depth=3
	s_or_b32 exec_lo, exec_lo, s73
	s_and_b32 s16, s16, exec_lo
	s_or_saveexec_b32 s23, s23
	v_mov_b32_e32 v104, 0x7f800001
	s_xor_b32 exec_lo, exec_lo, s23
	s_cbranch_execnz .LBB4_9047
.LBB4_8547:                             ;   in Loop: Header=BB4_8450 Depth=3
	s_or_b32 exec_lo, exec_lo, s23
	s_and_saveexec_b32 s23, s16
	s_cbranch_execz .LBB4_8549
.LBB4_8548:                             ;   in Loop: Header=BB4_8450 Depth=3
	v_and_b32_e32 v104, 7, v82
	v_lshrrev_b16 v107, 3, v82
	v_ffbh_u32_e32 v106, v104
	v_and_b32_e32 v107, 15, v107
	v_min_u32_e32 v106, 32, v106
	v_cmp_eq_u32_e32 vcc_lo, 0, v107
	v_subrev_nc_u32_e32 v108, 28, v106
	v_sub_nc_u32_e32 v106, 29, v106
	v_lshlrev_b32_e32 v108, v108, v82
	v_lshlrev_b32_e32 v82, 24, v82
	v_cndmask_b32_e32 v106, v107, v106, vcc_lo
	v_and_b32_e32 v108, 7, v108
	v_and_b32_e32 v82, 0x80000000, v82
	v_lshl_add_u32 v106, v106, 23, 0x3b800000
	v_cndmask_b32_e32 v104, v104, v108, vcc_lo
	v_lshlrev_b32_e32 v104, 20, v104
	v_or3_b32 v104, v82, v106, v104
.LBB4_8549:                             ;   in Loop: Header=BB4_8450 Depth=3
	s_or_b32 exec_lo, exec_lo, s23
	v_max_f32_e32 v82, v104, v104
	v_max_f32_e32 v104, v105, v105
	v_min_f32_e32 v105, v104, v82
.LBB4_8550:                             ;   in Loop: Header=BB4_8450 Depth=3
	s_waitcnt vmcnt(13) lgkmcnt(13)
	v_and_b32_e32 v82, 0x7f800000, v105
	v_cmp_ne_u32_e32 vcc_lo, 0x7f800000, v82
	v_mov_b32_e32 v82, 0x80
	s_and_saveexec_b32 s23, vcc_lo
	s_cbranch_execz .LBB4_8558
; %bb.8551:                             ;   in Loop: Header=BB4_8450 Depth=3
	v_mov_b32_e32 v82, 0
	s_mov_b32 s73, exec_lo
	v_cmpx_ne_u32_e32 0, v105
	s_cbranch_execz .LBB4_8557
; %bb.8552:                             ;   in Loop: Header=BB4_8450 Depth=3
	v_bfe_u32 v82, v105, 23, 8
	v_and_b32_e32 v104, 0x7fffff, v105
	v_sub_nc_u32_e32 v106, 0x78, v82
	v_cmp_gt_u32_e32 vcc_lo, 0x79, v82
	v_or_b32_e32 v107, 0x800000, v104
	v_cndmask_b32_e32 v106, 0, v106, vcc_lo
	v_cmp_eq_u32_e32 vcc_lo, 0, v82
	v_add_nc_u32_e32 v82, 0xffffff89, v82
	v_cndmask_b32_e64 v106, v106, 0x77, vcc_lo
	v_cndmask_b32_e32 v104, v107, v104, vcc_lo
	v_cndmask_b32_e64 v82, v82, 0xffffff8a, vcc_lo
	v_lshl_add_u32 v107, 0x100000, v106, -1
	v_lshrrev_b32_e32 v108, v106, v104
	v_lshlrev_b32_e64 v110, v106, 0x80000
	v_add_nc_u32_e32 v106, v106, v82
	v_and_b32_e32 v104, v107, v104
	v_bfe_u32 v109, v108, 20, 1
	v_cmp_eq_u32_e64 s16, v104, v110
	v_add_nc_u32_e32 v107, -1, v109
	v_cndmask_b32_e64 v104, 0, v107, s16
	v_lshrrev_b32_e32 v107, 23, v108
	s_mov_b32 s16, exec_lo
	v_add_nc_u32_e32 v104, v104, v108
	v_xor_b32_e32 v107, 1, v107
	v_and_b32_e32 v82, 0xfffff, v104
	v_add_nc_u32_e32 v104, v82, v108
                                        ; implicit-def: $vgpr82
	v_cmpx_ne_u32_e64 v106, v107
	s_xor_b32 s16, exec_lo, s16
; %bb.8553:                             ;   in Loop: Header=BB4_8450 Depth=3
	v_cmp_lt_u32_e32 vcc_lo, 0xffffff, v104
	v_sub_nc_u32_e32 v82, v106, v107
	v_cndmask_b32_e64 v106, 0, 1, vcc_lo
	v_add_co_ci_u32_e64 v82, null, 0, v82, vcc_lo
	v_lshrrev_b32_e32 v104, v106, v104
; %bb.8554:                             ;   in Loop: Header=BB4_8450 Depth=3
	s_andn2_saveexec_b32 s16, s16
; %bb.8555:                             ;   in Loop: Header=BB4_8450 Depth=3
	v_bfe_u32 v82, v104, 23, 1
; %bb.8556:                             ;   in Loop: Header=BB4_8450 Depth=3
	s_or_b32 exec_lo, exec_lo, s16
	v_lshrrev_b32_e32 v104, 20, v104
	v_cmp_gt_i32_e32 vcc_lo, 16, v82
	v_min_i32_e32 v106, 15, v82
	v_and_b32_sdwa v105, v105, v118 dst_sel:DWORD dst_unused:UNUSED_PAD src0_sel:BYTE_3 src1_sel:DWORD
	v_cndmask_b32_e32 v104, 7, v104, vcc_lo
	v_lshlrev_b32_e32 v106, 3, v106
	v_and_b32_e32 v107, 7, v104
	v_or_b32_e32 v82, v82, v104
	v_or3_b32 v104, v106, v105, v107
	v_cmp_ne_u32_e32 vcc_lo, 0, v82
	v_cndmask_b32_e32 v82, 0, v104, vcc_lo
.LBB4_8557:                             ;   in Loop: Header=BB4_8450 Depth=3
	s_or_b32 exec_lo, exec_lo, s73
.LBB4_8558:                             ;   in Loop: Header=BB4_8450 Depth=3
	s_or_b32 exec_lo, exec_lo, s23
	s_andn2_b32 vcc_lo, exec_lo, s19
	s_mov_b32 s16, -1
                                        ; implicit-def: $vgpr104
	s_cbranch_vccnz .LBB4_8572
; %bb.8559:                             ;   in Loop: Header=BB4_8450 Depth=3
	v_cmp_gt_i16_sdwa s23, v95, v117 src0_sel:BYTE_0 src1_sel:DWORD
	s_mov_b32 s16, 0
	s_and_saveexec_b32 s73, s23
	s_xor_b32 s23, exec_lo, s73
	s_cbranch_execz .LBB4_9048
; %bb.8560:                             ;   in Loop: Header=BB4_8450 Depth=3
	v_cmp_eq_u16_sdwa s74, v95, v118 src0_sel:BYTE_0 src1_sel:DWORD
	s_mov_b32 s16, -1
	s_and_saveexec_b32 s73, s74
; %bb.8561:                             ;   in Loop: Header=BB4_8450 Depth=3
	s_xor_b32 s16, exec_lo, -1
; %bb.8562:                             ;   in Loop: Header=BB4_8450 Depth=3
	s_or_b32 exec_lo, exec_lo, s73
	s_and_b32 s16, s16, exec_lo
	s_or_saveexec_b32 s23, s23
	v_mov_b32_e32 v104, 0x7f800001
	s_xor_b32 exec_lo, exec_lo, s23
	s_cbranch_execnz .LBB4_9049
.LBB4_8563:                             ;   in Loop: Header=BB4_8450 Depth=3
	s_or_b32 exec_lo, exec_lo, s23
	s_and_saveexec_b32 s23, s16
	s_cbranch_execz .LBB4_8565
.LBB4_8564:                             ;   in Loop: Header=BB4_8450 Depth=3
	v_and_b32_e32 v104, 7, v95
	v_lshrrev_b16 v106, 3, v95
	v_lshlrev_b32_e32 v108, 24, v95
	v_ffbh_u32_e32 v105, v104
	v_and_b32_e32 v106, 15, v106
	v_min_u32_e32 v105, 32, v105
	v_cmp_eq_u32_e32 vcc_lo, 0, v106
	v_subrev_nc_u32_e32 v107, 28, v105
	v_sub_nc_u32_e32 v105, 29, v105
	v_lshlrev_b32_e32 v107, v107, v95
	v_cndmask_b32_e32 v105, v106, v105, vcc_lo
	v_and_b32_e32 v106, 0x80000000, v108
	v_and_b32_e32 v107, 7, v107
	v_lshl_add_u32 v105, v105, 23, 0x3b800000
	v_cndmask_b32_e32 v104, v104, v107, vcc_lo
	v_lshlrev_b32_e32 v104, 20, v104
	v_or3_b32 v104, v106, v105, v104
.LBB4_8565:                             ;   in Loop: Header=BB4_8450 Depth=3
	s_or_b32 exec_lo, exec_lo, s23
	s_waitcnt vmcnt(12) lgkmcnt(12)
	v_cmp_gt_i16_sdwa s23, v85, v117 src0_sel:BYTE_0 src1_sel:DWORD
	s_mov_b32 s16, 0
	s_and_saveexec_b32 s73, s23
	s_xor_b32 s23, exec_lo, s73
	s_cbranch_execz .LBB4_9050
; %bb.8566:                             ;   in Loop: Header=BB4_8450 Depth=3
	v_cmp_eq_u16_sdwa s74, v85, v118 src0_sel:BYTE_0 src1_sel:DWORD
	s_mov_b32 s16, -1
	s_and_saveexec_b32 s73, s74
; %bb.8567:                             ;   in Loop: Header=BB4_8450 Depth=3
	s_xor_b32 s16, exec_lo, -1
; %bb.8568:                             ;   in Loop: Header=BB4_8450 Depth=3
	s_or_b32 exec_lo, exec_lo, s73
	s_and_b32 s16, s16, exec_lo
	s_or_saveexec_b32 s23, s23
	v_mov_b32_e32 v105, 0x7f800001
	s_xor_b32 exec_lo, exec_lo, s23
	s_cbranch_execnz .LBB4_9051
.LBB4_8569:                             ;   in Loop: Header=BB4_8450 Depth=3
	s_or_b32 exec_lo, exec_lo, s23
	s_and_saveexec_b32 s23, s16
	s_cbranch_execz .LBB4_8571
.LBB4_8570:                             ;   in Loop: Header=BB4_8450 Depth=3
	v_and_b32_e32 v105, 7, v85
	v_lshrrev_b16 v107, 3, v85
	v_lshlrev_b32_e32 v109, 24, v85
	v_ffbh_u32_e32 v106, v105
	v_and_b32_e32 v107, 15, v107
	v_min_u32_e32 v106, 32, v106
	v_cmp_eq_u32_e32 vcc_lo, 0, v107
	v_subrev_nc_u32_e32 v108, 28, v106
	v_sub_nc_u32_e32 v106, 29, v106
	v_lshlrev_b32_e32 v108, v108, v85
	v_cndmask_b32_e32 v106, v107, v106, vcc_lo
	v_and_b32_e32 v107, 0x80000000, v109
	v_and_b32_e32 v108, 7, v108
	v_lshl_add_u32 v106, v106, 23, 0x3b800000
	v_cndmask_b32_e32 v105, v105, v108, vcc_lo
	v_lshlrev_b32_e32 v105, 20, v105
	v_or3_b32 v105, v107, v106, v105
.LBB4_8571:                             ;   in Loop: Header=BB4_8450 Depth=3
	s_or_b32 exec_lo, exec_lo, s23
	v_max_f32_e32 v105, v105, v105
	v_max_f32_e32 v104, v104, v104
	;; [unrolled: 1-line block ×3, first 2 shown]
	s_branch .LBB4_8586
.LBB4_8572:                             ;   in Loop: Header=BB4_8450 Depth=3
	s_and_b32 vcc_lo, exec_lo, s16
	s_cbranch_vccz .LBB4_8586
; %bb.8573:                             ;   in Loop: Header=BB4_8450 Depth=3
	v_cmp_gt_i16_sdwa s23, v95, v117 src0_sel:BYTE_0 src1_sel:DWORD
	s_mov_b32 s16, 0
	s_and_saveexec_b32 s73, s23
	s_xor_b32 s23, exec_lo, s73
	s_cbranch_execz .LBB4_9052
; %bb.8574:                             ;   in Loop: Header=BB4_8450 Depth=3
	v_cmp_eq_u16_sdwa s74, v95, v118 src0_sel:BYTE_0 src1_sel:DWORD
	s_mov_b32 s16, -1
	s_and_saveexec_b32 s73, s74
; %bb.8575:                             ;   in Loop: Header=BB4_8450 Depth=3
	s_xor_b32 s16, exec_lo, -1
; %bb.8576:                             ;   in Loop: Header=BB4_8450 Depth=3
	s_or_b32 exec_lo, exec_lo, s73
	s_and_b32 s16, s16, exec_lo
	s_or_saveexec_b32 s23, s23
	v_mov_b32_e32 v104, 0x7f800001
	s_xor_b32 exec_lo, exec_lo, s23
	s_cbranch_execnz .LBB4_9053
.LBB4_8577:                             ;   in Loop: Header=BB4_8450 Depth=3
	s_or_b32 exec_lo, exec_lo, s23
	s_and_saveexec_b32 s23, s16
	s_cbranch_execz .LBB4_8579
.LBB4_8578:                             ;   in Loop: Header=BB4_8450 Depth=3
	v_and_b32_e32 v104, 7, v95
	v_lshrrev_b16 v106, 3, v95
	v_ffbh_u32_e32 v105, v104
	v_and_b32_e32 v106, 15, v106
	v_min_u32_e32 v105, 32, v105
	v_cmp_eq_u32_e32 vcc_lo, 0, v106
	v_subrev_nc_u32_e32 v107, 28, v105
	v_sub_nc_u32_e32 v105, 29, v105
	v_lshlrev_b32_e32 v107, v107, v95
	v_lshlrev_b32_e32 v95, 24, v95
	v_cndmask_b32_e32 v105, v106, v105, vcc_lo
	v_and_b32_e32 v107, 7, v107
	v_and_b32_e32 v95, 0x80000000, v95
	v_lshl_add_u32 v105, v105, 23, 0x3b800000
	v_cndmask_b32_e32 v104, v104, v107, vcc_lo
	v_lshlrev_b32_e32 v104, 20, v104
	v_or3_b32 v104, v95, v105, v104
.LBB4_8579:                             ;   in Loop: Header=BB4_8450 Depth=3
	s_or_b32 exec_lo, exec_lo, s23
	s_waitcnt vmcnt(12) lgkmcnt(12)
	v_cmp_gt_i16_sdwa s23, v85, v117 src0_sel:BYTE_0 src1_sel:DWORD
	s_mov_b32 s16, 0
	s_and_saveexec_b32 s73, s23
	s_xor_b32 s23, exec_lo, s73
	s_cbranch_execz .LBB4_9054
; %bb.8580:                             ;   in Loop: Header=BB4_8450 Depth=3
	v_cmp_eq_u16_sdwa s74, v85, v118 src0_sel:BYTE_0 src1_sel:DWORD
	s_mov_b32 s16, -1
	s_and_saveexec_b32 s73, s74
; %bb.8581:                             ;   in Loop: Header=BB4_8450 Depth=3
	s_xor_b32 s16, exec_lo, -1
; %bb.8582:                             ;   in Loop: Header=BB4_8450 Depth=3
	s_or_b32 exec_lo, exec_lo, s73
	s_and_b32 s16, s16, exec_lo
	s_or_saveexec_b32 s23, s23
	v_mov_b32_e32 v95, 0x7f800001
	s_xor_b32 exec_lo, exec_lo, s23
	s_cbranch_execnz .LBB4_9055
.LBB4_8583:                             ;   in Loop: Header=BB4_8450 Depth=3
	s_or_b32 exec_lo, exec_lo, s23
	s_and_saveexec_b32 s23, s16
	s_cbranch_execz .LBB4_8585
.LBB4_8584:                             ;   in Loop: Header=BB4_8450 Depth=3
	v_and_b32_e32 v95, 7, v85
	v_lshrrev_b16 v106, 3, v85
	v_ffbh_u32_e32 v105, v95
	v_and_b32_e32 v106, 15, v106
	v_min_u32_e32 v105, 32, v105
	v_cmp_eq_u32_e32 vcc_lo, 0, v106
	v_subrev_nc_u32_e32 v107, 28, v105
	v_sub_nc_u32_e32 v105, 29, v105
	v_lshlrev_b32_e32 v107, v107, v85
	v_lshlrev_b32_e32 v85, 24, v85
	v_cndmask_b32_e32 v105, v106, v105, vcc_lo
	v_and_b32_e32 v107, 7, v107
	v_and_b32_e32 v85, 0x80000000, v85
	v_lshl_add_u32 v105, v105, 23, 0x3b800000
	v_cndmask_b32_e32 v95, v95, v107, vcc_lo
	v_lshlrev_b32_e32 v95, 20, v95
	v_or3_b32 v95, v85, v105, v95
.LBB4_8585:                             ;   in Loop: Header=BB4_8450 Depth=3
	s_or_b32 exec_lo, exec_lo, s23
	v_max_f32_e32 v85, v95, v95
	v_max_f32_e32 v95, v104, v104
	v_min_f32_e32 v104, v95, v85
.LBB4_8586:                             ;   in Loop: Header=BB4_8450 Depth=3
	s_waitcnt vmcnt(12) lgkmcnt(12)
	v_and_b32_e32 v85, 0x7f800000, v104
	v_cmp_ne_u32_e32 vcc_lo, 0x7f800000, v85
	v_mov_b32_e32 v85, 0x80
	s_and_saveexec_b32 s23, vcc_lo
	s_cbranch_execz .LBB4_8594
; %bb.8587:                             ;   in Loop: Header=BB4_8450 Depth=3
	v_mov_b32_e32 v85, 0
	s_mov_b32 s73, exec_lo
	v_cmpx_ne_u32_e32 0, v104
	s_cbranch_execz .LBB4_8593
; %bb.8588:                             ;   in Loop: Header=BB4_8450 Depth=3
	v_bfe_u32 v85, v104, 23, 8
	v_and_b32_e32 v95, 0x7fffff, v104
	v_sub_nc_u32_e32 v105, 0x78, v85
	v_cmp_gt_u32_e32 vcc_lo, 0x79, v85
	v_or_b32_e32 v106, 0x800000, v95
	v_cndmask_b32_e32 v105, 0, v105, vcc_lo
	v_cmp_eq_u32_e32 vcc_lo, 0, v85
	v_add_nc_u32_e32 v85, 0xffffff89, v85
	v_cndmask_b32_e64 v105, v105, 0x77, vcc_lo
	v_cndmask_b32_e32 v95, v106, v95, vcc_lo
	v_cndmask_b32_e64 v85, v85, 0xffffff8a, vcc_lo
	v_lshl_add_u32 v106, 0x100000, v105, -1
	v_lshrrev_b32_e32 v107, v105, v95
	v_lshlrev_b32_e64 v109, v105, 0x80000
	v_add_nc_u32_e32 v105, v105, v85
	v_and_b32_e32 v95, v106, v95
	v_bfe_u32 v108, v107, 20, 1
	v_cmp_eq_u32_e64 s16, v95, v109
	v_add_nc_u32_e32 v106, -1, v108
	v_cndmask_b32_e64 v95, 0, v106, s16
	v_lshrrev_b32_e32 v106, 23, v107
	s_mov_b32 s16, exec_lo
	v_add_nc_u32_e32 v95, v95, v107
	v_xor_b32_e32 v106, 1, v106
	v_and_b32_e32 v85, 0xfffff, v95
	v_add_nc_u32_e32 v95, v85, v107
                                        ; implicit-def: $vgpr85
	v_cmpx_ne_u32_e64 v105, v106
	s_xor_b32 s16, exec_lo, s16
; %bb.8589:                             ;   in Loop: Header=BB4_8450 Depth=3
	v_cmp_lt_u32_e32 vcc_lo, 0xffffff, v95
	v_sub_nc_u32_e32 v85, v105, v106
	v_cndmask_b32_e64 v105, 0, 1, vcc_lo
	v_add_co_ci_u32_e64 v85, null, 0, v85, vcc_lo
	v_lshrrev_b32_e32 v95, v105, v95
; %bb.8590:                             ;   in Loop: Header=BB4_8450 Depth=3
	s_andn2_saveexec_b32 s16, s16
; %bb.8591:                             ;   in Loop: Header=BB4_8450 Depth=3
	v_bfe_u32 v85, v95, 23, 1
; %bb.8592:                             ;   in Loop: Header=BB4_8450 Depth=3
	s_or_b32 exec_lo, exec_lo, s16
	v_lshrrev_b32_e32 v95, 20, v95
	v_cmp_gt_i32_e32 vcc_lo, 16, v85
	v_min_i32_e32 v105, 15, v85
	v_and_b32_sdwa v104, v104, v118 dst_sel:DWORD dst_unused:UNUSED_PAD src0_sel:BYTE_3 src1_sel:DWORD
	v_cndmask_b32_e32 v95, 7, v95, vcc_lo
	v_lshlrev_b32_e32 v105, 3, v105
	v_and_b32_e32 v106, 7, v95
	v_or_b32_e32 v85, v85, v95
	v_or3_b32 v95, v105, v104, v106
	v_cmp_ne_u32_e32 vcc_lo, 0, v85
	v_cndmask_b32_e32 v85, 0, v95, vcc_lo
.LBB4_8593:                             ;   in Loop: Header=BB4_8450 Depth=3
	s_or_b32 exec_lo, exec_lo, s73
.LBB4_8594:                             ;   in Loop: Header=BB4_8450 Depth=3
	s_or_b32 exec_lo, exec_lo, s23
	s_andn2_b32 vcc_lo, exec_lo, s19
	s_mov_b32 s16, -1
                                        ; implicit-def: $vgpr95
	s_cbranch_vccnz .LBB4_8608
; %bb.8595:                             ;   in Loop: Header=BB4_8450 Depth=3
	v_cmp_gt_i16_sdwa s23, v94, v117 src0_sel:BYTE_0 src1_sel:DWORD
	s_mov_b32 s16, 0
	s_and_saveexec_b32 s73, s23
	s_xor_b32 s23, exec_lo, s73
	s_cbranch_execz .LBB4_9056
; %bb.8596:                             ;   in Loop: Header=BB4_8450 Depth=3
	v_cmp_eq_u16_sdwa s74, v94, v118 src0_sel:BYTE_0 src1_sel:DWORD
	s_mov_b32 s16, -1
	s_and_saveexec_b32 s73, s74
; %bb.8597:                             ;   in Loop: Header=BB4_8450 Depth=3
	s_xor_b32 s16, exec_lo, -1
; %bb.8598:                             ;   in Loop: Header=BB4_8450 Depth=3
	s_or_b32 exec_lo, exec_lo, s73
	s_and_b32 s16, s16, exec_lo
	s_or_saveexec_b32 s23, s23
	v_mov_b32_e32 v95, 0x7f800001
	s_xor_b32 exec_lo, exec_lo, s23
	s_cbranch_execnz .LBB4_9057
.LBB4_8599:                             ;   in Loop: Header=BB4_8450 Depth=3
	s_or_b32 exec_lo, exec_lo, s23
	s_and_saveexec_b32 s23, s16
	s_cbranch_execz .LBB4_8601
.LBB4_8600:                             ;   in Loop: Header=BB4_8450 Depth=3
	v_and_b32_e32 v95, 7, v94
	v_lshrrev_b16 v105, 3, v94
	v_lshlrev_b32_e32 v107, 24, v94
	v_ffbh_u32_e32 v104, v95
	v_and_b32_e32 v105, 15, v105
	v_min_u32_e32 v104, 32, v104
	v_cmp_eq_u32_e32 vcc_lo, 0, v105
	v_subrev_nc_u32_e32 v106, 28, v104
	v_sub_nc_u32_e32 v104, 29, v104
	v_lshlrev_b32_e32 v106, v106, v94
	v_cndmask_b32_e32 v104, v105, v104, vcc_lo
	v_and_b32_e32 v105, 0x80000000, v107
	v_and_b32_e32 v106, 7, v106
	v_lshl_add_u32 v104, v104, 23, 0x3b800000
	v_cndmask_b32_e32 v95, v95, v106, vcc_lo
	v_lshlrev_b32_e32 v95, 20, v95
	v_or3_b32 v95, v105, v104, v95
.LBB4_8601:                             ;   in Loop: Header=BB4_8450 Depth=3
	s_or_b32 exec_lo, exec_lo, s23
	s_waitcnt vmcnt(11) lgkmcnt(11)
	v_cmp_gt_i16_sdwa s23, v96, v117 src0_sel:BYTE_0 src1_sel:DWORD
	s_mov_b32 s16, 0
	s_and_saveexec_b32 s73, s23
	s_xor_b32 s23, exec_lo, s73
	s_cbranch_execz .LBB4_9058
; %bb.8602:                             ;   in Loop: Header=BB4_8450 Depth=3
	v_cmp_eq_u16_sdwa s74, v96, v118 src0_sel:BYTE_0 src1_sel:DWORD
	s_mov_b32 s16, -1
	s_and_saveexec_b32 s73, s74
; %bb.8603:                             ;   in Loop: Header=BB4_8450 Depth=3
	s_xor_b32 s16, exec_lo, -1
; %bb.8604:                             ;   in Loop: Header=BB4_8450 Depth=3
	s_or_b32 exec_lo, exec_lo, s73
	s_and_b32 s16, s16, exec_lo
	s_or_saveexec_b32 s23, s23
	v_mov_b32_e32 v104, 0x7f800001
	s_xor_b32 exec_lo, exec_lo, s23
	s_cbranch_execnz .LBB4_9059
.LBB4_8605:                             ;   in Loop: Header=BB4_8450 Depth=3
	s_or_b32 exec_lo, exec_lo, s23
	s_and_saveexec_b32 s23, s16
	s_cbranch_execz .LBB4_8607
.LBB4_8606:                             ;   in Loop: Header=BB4_8450 Depth=3
	v_and_b32_e32 v104, 7, v96
	v_lshrrev_b16 v106, 3, v96
	v_lshlrev_b32_e32 v108, 24, v96
	v_ffbh_u32_e32 v105, v104
	v_and_b32_e32 v106, 15, v106
	v_min_u32_e32 v105, 32, v105
	v_cmp_eq_u32_e32 vcc_lo, 0, v106
	v_subrev_nc_u32_e32 v107, 28, v105
	v_sub_nc_u32_e32 v105, 29, v105
	v_lshlrev_b32_e32 v107, v107, v96
	v_cndmask_b32_e32 v105, v106, v105, vcc_lo
	v_and_b32_e32 v106, 0x80000000, v108
	v_and_b32_e32 v107, 7, v107
	v_lshl_add_u32 v105, v105, 23, 0x3b800000
	v_cndmask_b32_e32 v104, v104, v107, vcc_lo
	v_lshlrev_b32_e32 v104, 20, v104
	v_or3_b32 v104, v106, v105, v104
.LBB4_8607:                             ;   in Loop: Header=BB4_8450 Depth=3
	s_or_b32 exec_lo, exec_lo, s23
	v_max_f32_e32 v104, v104, v104
	v_max_f32_e32 v95, v95, v95
	;; [unrolled: 1-line block ×3, first 2 shown]
	s_branch .LBB4_8622
.LBB4_8608:                             ;   in Loop: Header=BB4_8450 Depth=3
	s_and_b32 vcc_lo, exec_lo, s16
	s_cbranch_vccz .LBB4_8622
; %bb.8609:                             ;   in Loop: Header=BB4_8450 Depth=3
	v_cmp_gt_i16_sdwa s23, v94, v117 src0_sel:BYTE_0 src1_sel:DWORD
	s_mov_b32 s16, 0
	s_and_saveexec_b32 s73, s23
	s_xor_b32 s23, exec_lo, s73
	s_cbranch_execz .LBB4_9060
; %bb.8610:                             ;   in Loop: Header=BB4_8450 Depth=3
	v_cmp_eq_u16_sdwa s74, v94, v118 src0_sel:BYTE_0 src1_sel:DWORD
	s_mov_b32 s16, -1
	s_and_saveexec_b32 s73, s74
; %bb.8611:                             ;   in Loop: Header=BB4_8450 Depth=3
	s_xor_b32 s16, exec_lo, -1
; %bb.8612:                             ;   in Loop: Header=BB4_8450 Depth=3
	s_or_b32 exec_lo, exec_lo, s73
	s_and_b32 s16, s16, exec_lo
	s_or_saveexec_b32 s23, s23
	v_mov_b32_e32 v95, 0x7f800001
	s_xor_b32 exec_lo, exec_lo, s23
	s_cbranch_execnz .LBB4_9061
.LBB4_8613:                             ;   in Loop: Header=BB4_8450 Depth=3
	s_or_b32 exec_lo, exec_lo, s23
	s_and_saveexec_b32 s23, s16
	s_cbranch_execz .LBB4_8615
.LBB4_8614:                             ;   in Loop: Header=BB4_8450 Depth=3
	v_and_b32_e32 v95, 7, v94
	v_lshrrev_b16 v105, 3, v94
	v_ffbh_u32_e32 v104, v95
	v_and_b32_e32 v105, 15, v105
	v_min_u32_e32 v104, 32, v104
	v_cmp_eq_u32_e32 vcc_lo, 0, v105
	v_subrev_nc_u32_e32 v106, 28, v104
	v_sub_nc_u32_e32 v104, 29, v104
	v_lshlrev_b32_e32 v106, v106, v94
	v_lshlrev_b32_e32 v94, 24, v94
	v_cndmask_b32_e32 v104, v105, v104, vcc_lo
	v_and_b32_e32 v106, 7, v106
	v_and_b32_e32 v94, 0x80000000, v94
	v_lshl_add_u32 v104, v104, 23, 0x3b800000
	v_cndmask_b32_e32 v95, v95, v106, vcc_lo
	v_lshlrev_b32_e32 v95, 20, v95
	v_or3_b32 v95, v94, v104, v95
.LBB4_8615:                             ;   in Loop: Header=BB4_8450 Depth=3
	s_or_b32 exec_lo, exec_lo, s23
	s_waitcnt vmcnt(11) lgkmcnt(11)
	v_cmp_gt_i16_sdwa s23, v96, v117 src0_sel:BYTE_0 src1_sel:DWORD
	s_mov_b32 s16, 0
	s_and_saveexec_b32 s73, s23
	s_xor_b32 s23, exec_lo, s73
	s_cbranch_execz .LBB4_9062
; %bb.8616:                             ;   in Loop: Header=BB4_8450 Depth=3
	v_cmp_eq_u16_sdwa s74, v96, v118 src0_sel:BYTE_0 src1_sel:DWORD
	s_mov_b32 s16, -1
	s_and_saveexec_b32 s73, s74
; %bb.8617:                             ;   in Loop: Header=BB4_8450 Depth=3
	s_xor_b32 s16, exec_lo, -1
; %bb.8618:                             ;   in Loop: Header=BB4_8450 Depth=3
	s_or_b32 exec_lo, exec_lo, s73
	s_and_b32 s16, s16, exec_lo
	s_or_saveexec_b32 s23, s23
	v_mov_b32_e32 v94, 0x7f800001
	s_xor_b32 exec_lo, exec_lo, s23
	s_cbranch_execnz .LBB4_9063
.LBB4_8619:                             ;   in Loop: Header=BB4_8450 Depth=3
	s_or_b32 exec_lo, exec_lo, s23
	s_and_saveexec_b32 s23, s16
	s_cbranch_execz .LBB4_8621
.LBB4_8620:                             ;   in Loop: Header=BB4_8450 Depth=3
	v_and_b32_e32 v94, 7, v96
	v_lshrrev_b16 v105, 3, v96
	v_ffbh_u32_e32 v104, v94
	v_and_b32_e32 v105, 15, v105
	v_min_u32_e32 v104, 32, v104
	v_cmp_eq_u32_e32 vcc_lo, 0, v105
	v_subrev_nc_u32_e32 v106, 28, v104
	v_sub_nc_u32_e32 v104, 29, v104
	v_lshlrev_b32_e32 v106, v106, v96
	v_lshlrev_b32_e32 v96, 24, v96
	v_cndmask_b32_e32 v104, v105, v104, vcc_lo
	v_and_b32_e32 v106, 7, v106
	v_and_b32_e32 v96, 0x80000000, v96
	v_lshl_add_u32 v104, v104, 23, 0x3b800000
	v_cndmask_b32_e32 v94, v94, v106, vcc_lo
	v_lshlrev_b32_e32 v94, 20, v94
	v_or3_b32 v94, v96, v104, v94
.LBB4_8621:                             ;   in Loop: Header=BB4_8450 Depth=3
	s_or_b32 exec_lo, exec_lo, s23
	v_max_f32_e32 v96, v94, v94
	v_max_f32_e32 v94, v95, v95
	v_min_f32_e32 v95, v94, v96
.LBB4_8622:                             ;   in Loop: Header=BB4_8450 Depth=3
	s_waitcnt vmcnt(11) lgkmcnt(11)
	v_and_b32_e32 v96, 0x7f800000, v95
	v_cmp_ne_u32_e32 vcc_lo, 0x7f800000, v96
	v_mov_b32_e32 v96, 0x80
	s_and_saveexec_b32 s23, vcc_lo
	s_cbranch_execz .LBB4_8630
; %bb.8623:                             ;   in Loop: Header=BB4_8450 Depth=3
	v_mov_b32_e32 v96, 0
	s_mov_b32 s73, exec_lo
	v_cmpx_ne_u32_e32 0, v95
	s_cbranch_execz .LBB4_8629
; %bb.8624:                             ;   in Loop: Header=BB4_8450 Depth=3
	v_bfe_u32 v96, v95, 23, 8
	v_and_b32_e32 v94, 0x7fffff, v95
	v_sub_nc_u32_e32 v104, 0x78, v96
	v_cmp_gt_u32_e32 vcc_lo, 0x79, v96
	v_or_b32_e32 v105, 0x800000, v94
	v_cndmask_b32_e32 v104, 0, v104, vcc_lo
	v_cmp_eq_u32_e32 vcc_lo, 0, v96
	v_add_nc_u32_e32 v96, 0xffffff89, v96
	v_cndmask_b32_e64 v104, v104, 0x77, vcc_lo
	v_cndmask_b32_e32 v94, v105, v94, vcc_lo
	v_cndmask_b32_e64 v96, v96, 0xffffff8a, vcc_lo
	v_lshl_add_u32 v105, 0x100000, v104, -1
	v_lshrrev_b32_e32 v106, v104, v94
	v_lshlrev_b32_e64 v108, v104, 0x80000
	v_add_nc_u32_e32 v104, v104, v96
	v_and_b32_e32 v94, v105, v94
	v_bfe_u32 v107, v106, 20, 1
	v_cmp_eq_u32_e64 s16, v94, v108
	v_add_nc_u32_e32 v105, -1, v107
	v_cndmask_b32_e64 v94, 0, v105, s16
	v_lshrrev_b32_e32 v105, 23, v106
	s_mov_b32 s16, exec_lo
	v_add_nc_u32_e32 v94, v94, v106
	v_xor_b32_e32 v105, 1, v105
	v_and_b32_e32 v96, 0xfffff, v94
	v_add_nc_u32_e32 v94, v96, v106
                                        ; implicit-def: $vgpr96
	v_cmpx_ne_u32_e64 v104, v105
	s_xor_b32 s16, exec_lo, s16
; %bb.8625:                             ;   in Loop: Header=BB4_8450 Depth=3
	v_cmp_lt_u32_e32 vcc_lo, 0xffffff, v94
	v_sub_nc_u32_e32 v96, v104, v105
	v_cndmask_b32_e64 v104, 0, 1, vcc_lo
	v_add_co_ci_u32_e64 v96, null, 0, v96, vcc_lo
	v_lshrrev_b32_e32 v94, v104, v94
; %bb.8626:                             ;   in Loop: Header=BB4_8450 Depth=3
	s_andn2_saveexec_b32 s16, s16
; %bb.8627:                             ;   in Loop: Header=BB4_8450 Depth=3
	v_bfe_u32 v96, v94, 23, 1
; %bb.8628:                             ;   in Loop: Header=BB4_8450 Depth=3
	s_or_b32 exec_lo, exec_lo, s16
	v_lshrrev_b32_e32 v94, 20, v94
	v_cmp_gt_i32_e32 vcc_lo, 16, v96
	v_min_i32_e32 v104, 15, v96
	v_and_b32_sdwa v95, v95, v118 dst_sel:DWORD dst_unused:UNUSED_PAD src0_sel:BYTE_3 src1_sel:DWORD
	v_cndmask_b32_e32 v94, 7, v94, vcc_lo
	v_lshlrev_b32_e32 v104, 3, v104
	v_and_b32_e32 v105, 7, v94
	v_or_b32_e32 v96, v96, v94
	v_or3_b32 v94, v104, v95, v105
	v_cmp_ne_u32_e32 vcc_lo, 0, v96
	v_cndmask_b32_e32 v96, 0, v94, vcc_lo
.LBB4_8629:                             ;   in Loop: Header=BB4_8450 Depth=3
	s_or_b32 exec_lo, exec_lo, s73
.LBB4_8630:                             ;   in Loop: Header=BB4_8450 Depth=3
	s_or_b32 exec_lo, exec_lo, s23
	s_andn2_b32 vcc_lo, exec_lo, s19
	s_mov_b32 s16, -1
                                        ; implicit-def: $vgpr94
	s_cbranch_vccnz .LBB4_8644
; %bb.8631:                             ;   in Loop: Header=BB4_8450 Depth=3
	v_cmp_gt_i16_sdwa s23, v93, v117 src0_sel:BYTE_0 src1_sel:DWORD
	s_mov_b32 s16, 0
	s_and_saveexec_b32 s73, s23
	s_xor_b32 s23, exec_lo, s73
	s_cbranch_execz .LBB4_9064
; %bb.8632:                             ;   in Loop: Header=BB4_8450 Depth=3
	v_cmp_eq_u16_sdwa s74, v93, v118 src0_sel:BYTE_0 src1_sel:DWORD
	s_mov_b32 s16, -1
	s_and_saveexec_b32 s73, s74
; %bb.8633:                             ;   in Loop: Header=BB4_8450 Depth=3
	s_xor_b32 s16, exec_lo, -1
; %bb.8634:                             ;   in Loop: Header=BB4_8450 Depth=3
	s_or_b32 exec_lo, exec_lo, s73
	s_and_b32 s16, s16, exec_lo
	s_or_saveexec_b32 s23, s23
	v_mov_b32_e32 v94, 0x7f800001
	s_xor_b32 exec_lo, exec_lo, s23
	s_cbranch_execnz .LBB4_9065
.LBB4_8635:                             ;   in Loop: Header=BB4_8450 Depth=3
	s_or_b32 exec_lo, exec_lo, s23
	s_and_saveexec_b32 s23, s16
	s_cbranch_execz .LBB4_8637
.LBB4_8636:                             ;   in Loop: Header=BB4_8450 Depth=3
	v_and_b32_e32 v94, 7, v93
	v_lshrrev_b16 v104, 3, v93
	v_lshlrev_b32_e32 v106, 24, v93
	v_ffbh_u32_e32 v95, v94
	v_and_b32_e32 v104, 15, v104
	v_min_u32_e32 v95, 32, v95
	v_cmp_eq_u32_e32 vcc_lo, 0, v104
	v_subrev_nc_u32_e32 v105, 28, v95
	v_sub_nc_u32_e32 v95, 29, v95
	v_lshlrev_b32_e32 v105, v105, v93
	v_cndmask_b32_e32 v95, v104, v95, vcc_lo
	v_and_b32_e32 v104, 0x80000000, v106
	v_and_b32_e32 v105, 7, v105
	v_lshl_add_u32 v95, v95, 23, 0x3b800000
	v_cndmask_b32_e32 v94, v94, v105, vcc_lo
	v_lshlrev_b32_e32 v94, 20, v94
	v_or3_b32 v94, v104, v95, v94
.LBB4_8637:                             ;   in Loop: Header=BB4_8450 Depth=3
	s_or_b32 exec_lo, exec_lo, s23
	s_waitcnt vmcnt(10) lgkmcnt(10)
	v_cmp_gt_i16_sdwa s23, v99, v117 src0_sel:BYTE_0 src1_sel:DWORD
	s_mov_b32 s16, 0
	s_and_saveexec_b32 s73, s23
	s_xor_b32 s23, exec_lo, s73
	s_cbranch_execz .LBB4_9066
; %bb.8638:                             ;   in Loop: Header=BB4_8450 Depth=3
	v_cmp_eq_u16_sdwa s74, v99, v118 src0_sel:BYTE_0 src1_sel:DWORD
	s_mov_b32 s16, -1
	s_and_saveexec_b32 s73, s74
; %bb.8639:                             ;   in Loop: Header=BB4_8450 Depth=3
	s_xor_b32 s16, exec_lo, -1
; %bb.8640:                             ;   in Loop: Header=BB4_8450 Depth=3
	s_or_b32 exec_lo, exec_lo, s73
	s_and_b32 s16, s16, exec_lo
	s_or_saveexec_b32 s23, s23
	v_mov_b32_e32 v95, 0x7f800001
	s_xor_b32 exec_lo, exec_lo, s23
	s_cbranch_execnz .LBB4_9067
.LBB4_8641:                             ;   in Loop: Header=BB4_8450 Depth=3
	s_or_b32 exec_lo, exec_lo, s23
	s_and_saveexec_b32 s23, s16
	s_cbranch_execz .LBB4_8643
.LBB4_8642:                             ;   in Loop: Header=BB4_8450 Depth=3
	v_and_b32_e32 v95, 7, v99
	v_lshrrev_b16 v105, 3, v99
	v_lshlrev_b32_e32 v107, 24, v99
	v_ffbh_u32_e32 v104, v95
	v_and_b32_e32 v105, 15, v105
	v_min_u32_e32 v104, 32, v104
	v_cmp_eq_u32_e32 vcc_lo, 0, v105
	v_subrev_nc_u32_e32 v106, 28, v104
	v_sub_nc_u32_e32 v104, 29, v104
	v_lshlrev_b32_e32 v106, v106, v99
	v_cndmask_b32_e32 v104, v105, v104, vcc_lo
	v_and_b32_e32 v105, 0x80000000, v107
	v_and_b32_e32 v106, 7, v106
	v_lshl_add_u32 v104, v104, 23, 0x3b800000
	v_cndmask_b32_e32 v95, v95, v106, vcc_lo
	v_lshlrev_b32_e32 v95, 20, v95
	v_or3_b32 v95, v105, v104, v95
.LBB4_8643:                             ;   in Loop: Header=BB4_8450 Depth=3
	s_or_b32 exec_lo, exec_lo, s23
	v_max_f32_e32 v95, v95, v95
	v_max_f32_e32 v94, v94, v94
	;; [unrolled: 1-line block ×3, first 2 shown]
	s_branch .LBB4_8658
.LBB4_8644:                             ;   in Loop: Header=BB4_8450 Depth=3
	s_and_b32 vcc_lo, exec_lo, s16
	s_cbranch_vccz .LBB4_8658
; %bb.8645:                             ;   in Loop: Header=BB4_8450 Depth=3
	v_cmp_gt_i16_sdwa s23, v93, v117 src0_sel:BYTE_0 src1_sel:DWORD
	s_mov_b32 s16, 0
	s_and_saveexec_b32 s73, s23
	s_xor_b32 s23, exec_lo, s73
	s_cbranch_execz .LBB4_9068
; %bb.8646:                             ;   in Loop: Header=BB4_8450 Depth=3
	v_cmp_eq_u16_sdwa s74, v93, v118 src0_sel:BYTE_0 src1_sel:DWORD
	s_mov_b32 s16, -1
	s_and_saveexec_b32 s73, s74
; %bb.8647:                             ;   in Loop: Header=BB4_8450 Depth=3
	s_xor_b32 s16, exec_lo, -1
; %bb.8648:                             ;   in Loop: Header=BB4_8450 Depth=3
	s_or_b32 exec_lo, exec_lo, s73
	s_and_b32 s16, s16, exec_lo
	s_or_saveexec_b32 s23, s23
	v_mov_b32_e32 v94, 0x7f800001
	s_xor_b32 exec_lo, exec_lo, s23
	s_cbranch_execnz .LBB4_9069
.LBB4_8649:                             ;   in Loop: Header=BB4_8450 Depth=3
	s_or_b32 exec_lo, exec_lo, s23
	s_and_saveexec_b32 s23, s16
	s_cbranch_execz .LBB4_8651
.LBB4_8650:                             ;   in Loop: Header=BB4_8450 Depth=3
	v_and_b32_e32 v94, 7, v93
	v_lshrrev_b16 v104, 3, v93
	v_ffbh_u32_e32 v95, v94
	v_and_b32_e32 v104, 15, v104
	v_min_u32_e32 v95, 32, v95
	v_cmp_eq_u32_e32 vcc_lo, 0, v104
	v_subrev_nc_u32_e32 v105, 28, v95
	v_sub_nc_u32_e32 v95, 29, v95
	v_lshlrev_b32_e32 v105, v105, v93
	v_lshlrev_b32_e32 v93, 24, v93
	v_cndmask_b32_e32 v95, v104, v95, vcc_lo
	v_and_b32_e32 v105, 7, v105
	v_and_b32_e32 v93, 0x80000000, v93
	v_lshl_add_u32 v95, v95, 23, 0x3b800000
	v_cndmask_b32_e32 v94, v94, v105, vcc_lo
	v_lshlrev_b32_e32 v94, 20, v94
	v_or3_b32 v94, v93, v95, v94
.LBB4_8651:                             ;   in Loop: Header=BB4_8450 Depth=3
	s_or_b32 exec_lo, exec_lo, s23
	s_waitcnt vmcnt(10) lgkmcnt(10)
	v_cmp_gt_i16_sdwa s23, v99, v117 src0_sel:BYTE_0 src1_sel:DWORD
	s_mov_b32 s16, 0
	s_and_saveexec_b32 s73, s23
	s_xor_b32 s23, exec_lo, s73
	s_cbranch_execz .LBB4_9070
; %bb.8652:                             ;   in Loop: Header=BB4_8450 Depth=3
	v_cmp_eq_u16_sdwa s74, v99, v118 src0_sel:BYTE_0 src1_sel:DWORD
	s_mov_b32 s16, -1
	s_and_saveexec_b32 s73, s74
; %bb.8653:                             ;   in Loop: Header=BB4_8450 Depth=3
	s_xor_b32 s16, exec_lo, -1
; %bb.8654:                             ;   in Loop: Header=BB4_8450 Depth=3
	s_or_b32 exec_lo, exec_lo, s73
	s_and_b32 s16, s16, exec_lo
	s_or_saveexec_b32 s23, s23
	v_mov_b32_e32 v93, 0x7f800001
	s_xor_b32 exec_lo, exec_lo, s23
	s_cbranch_execnz .LBB4_9071
.LBB4_8655:                             ;   in Loop: Header=BB4_8450 Depth=3
	s_or_b32 exec_lo, exec_lo, s23
	s_and_saveexec_b32 s23, s16
	s_cbranch_execz .LBB4_8657
.LBB4_8656:                             ;   in Loop: Header=BB4_8450 Depth=3
	v_and_b32_e32 v93, 7, v99
	v_lshrrev_b16 v104, 3, v99
	v_ffbh_u32_e32 v95, v93
	v_and_b32_e32 v104, 15, v104
	v_min_u32_e32 v95, 32, v95
	v_cmp_eq_u32_e32 vcc_lo, 0, v104
	v_subrev_nc_u32_e32 v105, 28, v95
	v_sub_nc_u32_e32 v95, 29, v95
	v_lshlrev_b32_e32 v105, v105, v99
	v_lshlrev_b32_e32 v99, 24, v99
	v_cndmask_b32_e32 v95, v104, v95, vcc_lo
	v_and_b32_e32 v105, 7, v105
	v_and_b32_e32 v99, 0x80000000, v99
	v_lshl_add_u32 v95, v95, 23, 0x3b800000
	v_cndmask_b32_e32 v93, v93, v105, vcc_lo
	v_lshlrev_b32_e32 v93, 20, v93
	v_or3_b32 v93, v99, v95, v93
.LBB4_8657:                             ;   in Loop: Header=BB4_8450 Depth=3
	s_or_b32 exec_lo, exec_lo, s23
	v_max_f32_e32 v99, v93, v93
	v_max_f32_e32 v93, v94, v94
	v_min_f32_e32 v94, v93, v99
.LBB4_8658:                             ;   in Loop: Header=BB4_8450 Depth=3
	s_waitcnt vmcnt(10) lgkmcnt(10)
	v_and_b32_e32 v99, 0x7f800000, v94
	v_cmp_ne_u32_e32 vcc_lo, 0x7f800000, v99
	v_mov_b32_e32 v99, 0x80
	s_and_saveexec_b32 s23, vcc_lo
	s_cbranch_execz .LBB4_8666
; %bb.8659:                             ;   in Loop: Header=BB4_8450 Depth=3
	v_mov_b32_e32 v99, 0
	s_mov_b32 s73, exec_lo
	v_cmpx_ne_u32_e32 0, v94
	s_cbranch_execz .LBB4_8665
; %bb.8660:                             ;   in Loop: Header=BB4_8450 Depth=3
	v_bfe_u32 v99, v94, 23, 8
	v_and_b32_e32 v93, 0x7fffff, v94
	v_sub_nc_u32_e32 v95, 0x78, v99
	v_cmp_gt_u32_e32 vcc_lo, 0x79, v99
	v_or_b32_e32 v104, 0x800000, v93
	v_cndmask_b32_e32 v95, 0, v95, vcc_lo
	v_cmp_eq_u32_e32 vcc_lo, 0, v99
	v_add_nc_u32_e32 v99, 0xffffff89, v99
	v_cndmask_b32_e64 v95, v95, 0x77, vcc_lo
	v_cndmask_b32_e32 v93, v104, v93, vcc_lo
	v_cndmask_b32_e64 v99, v99, 0xffffff8a, vcc_lo
	v_lshl_add_u32 v104, 0x100000, v95, -1
	v_lshrrev_b32_e32 v105, v95, v93
	v_lshlrev_b32_e64 v107, v95, 0x80000
	v_add_nc_u32_e32 v95, v95, v99
	v_and_b32_e32 v93, v104, v93
	v_bfe_u32 v106, v105, 20, 1
	v_cmp_eq_u32_e64 s16, v93, v107
	v_add_nc_u32_e32 v104, -1, v106
	v_cndmask_b32_e64 v93, 0, v104, s16
	v_lshrrev_b32_e32 v104, 23, v105
	s_mov_b32 s16, exec_lo
	v_add_nc_u32_e32 v93, v93, v105
	v_xor_b32_e32 v104, 1, v104
	v_and_b32_e32 v99, 0xfffff, v93
	v_add_nc_u32_e32 v93, v99, v105
                                        ; implicit-def: $vgpr99
	v_cmpx_ne_u32_e64 v95, v104
	s_xor_b32 s16, exec_lo, s16
; %bb.8661:                             ;   in Loop: Header=BB4_8450 Depth=3
	v_cmp_lt_u32_e32 vcc_lo, 0xffffff, v93
	v_sub_nc_u32_e32 v99, v95, v104
	v_cndmask_b32_e64 v95, 0, 1, vcc_lo
	v_add_co_ci_u32_e64 v99, null, 0, v99, vcc_lo
	v_lshrrev_b32_e32 v93, v95, v93
; %bb.8662:                             ;   in Loop: Header=BB4_8450 Depth=3
	s_andn2_saveexec_b32 s16, s16
; %bb.8663:                             ;   in Loop: Header=BB4_8450 Depth=3
	v_bfe_u32 v99, v93, 23, 1
; %bb.8664:                             ;   in Loop: Header=BB4_8450 Depth=3
	s_or_b32 exec_lo, exec_lo, s16
	v_lshrrev_b32_e32 v93, 20, v93
	v_cmp_gt_i32_e32 vcc_lo, 16, v99
	v_min_i32_e32 v95, 15, v99
	v_and_b32_sdwa v94, v94, v118 dst_sel:DWORD dst_unused:UNUSED_PAD src0_sel:BYTE_3 src1_sel:DWORD
	v_cndmask_b32_e32 v93, 7, v93, vcc_lo
	v_lshlrev_b32_e32 v95, 3, v95
	v_and_b32_e32 v104, 7, v93
	v_or_b32_e32 v99, v99, v93
	v_or3_b32 v93, v95, v94, v104
	v_cmp_ne_u32_e32 vcc_lo, 0, v99
	v_cndmask_b32_e32 v99, 0, v93, vcc_lo
.LBB4_8665:                             ;   in Loop: Header=BB4_8450 Depth=3
	s_or_b32 exec_lo, exec_lo, s73
.LBB4_8666:                             ;   in Loop: Header=BB4_8450 Depth=3
	s_or_b32 exec_lo, exec_lo, s23
	s_andn2_b32 vcc_lo, exec_lo, s19
	s_mov_b32 s16, -1
                                        ; implicit-def: $vgpr93
	s_cbranch_vccnz .LBB4_8680
; %bb.8667:                             ;   in Loop: Header=BB4_8450 Depth=3
	v_cmp_gt_i16_sdwa s23, v92, v117 src0_sel:BYTE_0 src1_sel:DWORD
	s_mov_b32 s16, 0
	s_and_saveexec_b32 s73, s23
	s_xor_b32 s23, exec_lo, s73
	s_cbranch_execz .LBB4_9072
; %bb.8668:                             ;   in Loop: Header=BB4_8450 Depth=3
	v_cmp_eq_u16_sdwa s74, v92, v118 src0_sel:BYTE_0 src1_sel:DWORD
	s_mov_b32 s16, -1
	s_and_saveexec_b32 s73, s74
; %bb.8669:                             ;   in Loop: Header=BB4_8450 Depth=3
	s_xor_b32 s16, exec_lo, -1
; %bb.8670:                             ;   in Loop: Header=BB4_8450 Depth=3
	s_or_b32 exec_lo, exec_lo, s73
	s_and_b32 s16, s16, exec_lo
	s_or_saveexec_b32 s23, s23
	v_mov_b32_e32 v93, 0x7f800001
	s_xor_b32 exec_lo, exec_lo, s23
	s_cbranch_execnz .LBB4_9073
.LBB4_8671:                             ;   in Loop: Header=BB4_8450 Depth=3
	s_or_b32 exec_lo, exec_lo, s23
	s_and_saveexec_b32 s23, s16
	s_cbranch_execz .LBB4_8673
.LBB4_8672:                             ;   in Loop: Header=BB4_8450 Depth=3
	v_and_b32_e32 v93, 7, v92
	v_lshrrev_b16 v95, 3, v92
	v_lshlrev_b32_e32 v105, 24, v92
	v_ffbh_u32_e32 v94, v93
	v_and_b32_e32 v95, 15, v95
	v_min_u32_e32 v94, 32, v94
	v_cmp_eq_u32_e32 vcc_lo, 0, v95
	v_subrev_nc_u32_e32 v104, 28, v94
	v_sub_nc_u32_e32 v94, 29, v94
	v_lshlrev_b32_e32 v104, v104, v92
	v_cndmask_b32_e32 v94, v95, v94, vcc_lo
	v_and_b32_e32 v95, 0x80000000, v105
	v_and_b32_e32 v104, 7, v104
	v_lshl_add_u32 v94, v94, 23, 0x3b800000
	v_cndmask_b32_e32 v93, v93, v104, vcc_lo
	v_lshlrev_b32_e32 v93, 20, v93
	v_or3_b32 v93, v95, v94, v93
.LBB4_8673:                             ;   in Loop: Header=BB4_8450 Depth=3
	s_or_b32 exec_lo, exec_lo, s23
	s_waitcnt vmcnt(9) lgkmcnt(9)
	v_cmp_gt_i16_sdwa s23, v79, v117 src0_sel:BYTE_0 src1_sel:DWORD
	s_mov_b32 s16, 0
	s_and_saveexec_b32 s73, s23
	s_xor_b32 s23, exec_lo, s73
	s_cbranch_execz .LBB4_9074
; %bb.8674:                             ;   in Loop: Header=BB4_8450 Depth=3
	v_cmp_eq_u16_sdwa s74, v79, v118 src0_sel:BYTE_0 src1_sel:DWORD
	s_mov_b32 s16, -1
	s_and_saveexec_b32 s73, s74
; %bb.8675:                             ;   in Loop: Header=BB4_8450 Depth=3
	s_xor_b32 s16, exec_lo, -1
; %bb.8676:                             ;   in Loop: Header=BB4_8450 Depth=3
	s_or_b32 exec_lo, exec_lo, s73
	s_and_b32 s16, s16, exec_lo
	s_or_saveexec_b32 s23, s23
	v_mov_b32_e32 v94, 0x7f800001
	s_xor_b32 exec_lo, exec_lo, s23
	s_cbranch_execnz .LBB4_9075
.LBB4_8677:                             ;   in Loop: Header=BB4_8450 Depth=3
	s_or_b32 exec_lo, exec_lo, s23
	s_and_saveexec_b32 s23, s16
	s_cbranch_execz .LBB4_8679
.LBB4_8678:                             ;   in Loop: Header=BB4_8450 Depth=3
	v_and_b32_e32 v94, 7, v79
	v_lshrrev_b16 v104, 3, v79
	v_lshlrev_b32_e32 v106, 24, v79
	v_ffbh_u32_e32 v95, v94
	v_and_b32_e32 v104, 15, v104
	v_min_u32_e32 v95, 32, v95
	v_cmp_eq_u32_e32 vcc_lo, 0, v104
	v_subrev_nc_u32_e32 v105, 28, v95
	v_sub_nc_u32_e32 v95, 29, v95
	v_lshlrev_b32_e32 v105, v105, v79
	v_cndmask_b32_e32 v95, v104, v95, vcc_lo
	v_and_b32_e32 v104, 0x80000000, v106
	v_and_b32_e32 v105, 7, v105
	v_lshl_add_u32 v95, v95, 23, 0x3b800000
	v_cndmask_b32_e32 v94, v94, v105, vcc_lo
	v_lshlrev_b32_e32 v94, 20, v94
	v_or3_b32 v94, v104, v95, v94
.LBB4_8679:                             ;   in Loop: Header=BB4_8450 Depth=3
	s_or_b32 exec_lo, exec_lo, s23
	v_max_f32_e32 v94, v94, v94
	v_max_f32_e32 v93, v93, v93
	;; [unrolled: 1-line block ×3, first 2 shown]
	s_branch .LBB4_8694
.LBB4_8680:                             ;   in Loop: Header=BB4_8450 Depth=3
	s_and_b32 vcc_lo, exec_lo, s16
	s_cbranch_vccz .LBB4_8694
; %bb.8681:                             ;   in Loop: Header=BB4_8450 Depth=3
	v_cmp_gt_i16_sdwa s23, v92, v117 src0_sel:BYTE_0 src1_sel:DWORD
	s_mov_b32 s16, 0
	s_and_saveexec_b32 s73, s23
	s_xor_b32 s23, exec_lo, s73
	s_cbranch_execz .LBB4_9076
; %bb.8682:                             ;   in Loop: Header=BB4_8450 Depth=3
	v_cmp_eq_u16_sdwa s74, v92, v118 src0_sel:BYTE_0 src1_sel:DWORD
	s_mov_b32 s16, -1
	s_and_saveexec_b32 s73, s74
; %bb.8683:                             ;   in Loop: Header=BB4_8450 Depth=3
	s_xor_b32 s16, exec_lo, -1
; %bb.8684:                             ;   in Loop: Header=BB4_8450 Depth=3
	s_or_b32 exec_lo, exec_lo, s73
	s_and_b32 s16, s16, exec_lo
	s_or_saveexec_b32 s23, s23
	v_mov_b32_e32 v93, 0x7f800001
	s_xor_b32 exec_lo, exec_lo, s23
	s_cbranch_execnz .LBB4_9077
.LBB4_8685:                             ;   in Loop: Header=BB4_8450 Depth=3
	s_or_b32 exec_lo, exec_lo, s23
	s_and_saveexec_b32 s23, s16
	s_cbranch_execz .LBB4_8687
.LBB4_8686:                             ;   in Loop: Header=BB4_8450 Depth=3
	v_and_b32_e32 v93, 7, v92
	v_lshrrev_b16 v95, 3, v92
	v_ffbh_u32_e32 v94, v93
	v_and_b32_e32 v95, 15, v95
	v_min_u32_e32 v94, 32, v94
	v_cmp_eq_u32_e32 vcc_lo, 0, v95
	v_subrev_nc_u32_e32 v104, 28, v94
	v_sub_nc_u32_e32 v94, 29, v94
	v_lshlrev_b32_e32 v104, v104, v92
	v_lshlrev_b32_e32 v92, 24, v92
	v_cndmask_b32_e32 v94, v95, v94, vcc_lo
	v_and_b32_e32 v104, 7, v104
	v_and_b32_e32 v92, 0x80000000, v92
	v_lshl_add_u32 v94, v94, 23, 0x3b800000
	v_cndmask_b32_e32 v93, v93, v104, vcc_lo
	v_lshlrev_b32_e32 v93, 20, v93
	v_or3_b32 v93, v92, v94, v93
.LBB4_8687:                             ;   in Loop: Header=BB4_8450 Depth=3
	s_or_b32 exec_lo, exec_lo, s23
	s_waitcnt vmcnt(9) lgkmcnt(9)
	v_cmp_gt_i16_sdwa s23, v79, v117 src0_sel:BYTE_0 src1_sel:DWORD
	s_mov_b32 s16, 0
	s_and_saveexec_b32 s73, s23
	s_xor_b32 s23, exec_lo, s73
	s_cbranch_execz .LBB4_9078
; %bb.8688:                             ;   in Loop: Header=BB4_8450 Depth=3
	v_cmp_eq_u16_sdwa s74, v79, v118 src0_sel:BYTE_0 src1_sel:DWORD
	s_mov_b32 s16, -1
	s_and_saveexec_b32 s73, s74
; %bb.8689:                             ;   in Loop: Header=BB4_8450 Depth=3
	s_xor_b32 s16, exec_lo, -1
; %bb.8690:                             ;   in Loop: Header=BB4_8450 Depth=3
	s_or_b32 exec_lo, exec_lo, s73
	s_and_b32 s16, s16, exec_lo
	s_or_saveexec_b32 s23, s23
	v_mov_b32_e32 v92, 0x7f800001
	s_xor_b32 exec_lo, exec_lo, s23
	s_cbranch_execnz .LBB4_9079
.LBB4_8691:                             ;   in Loop: Header=BB4_8450 Depth=3
	s_or_b32 exec_lo, exec_lo, s23
	s_and_saveexec_b32 s23, s16
	s_cbranch_execz .LBB4_8693
.LBB4_8692:                             ;   in Loop: Header=BB4_8450 Depth=3
	v_and_b32_e32 v92, 7, v79
	v_lshrrev_b16 v95, 3, v79
	v_ffbh_u32_e32 v94, v92
	v_and_b32_e32 v95, 15, v95
	v_min_u32_e32 v94, 32, v94
	v_cmp_eq_u32_e32 vcc_lo, 0, v95
	v_subrev_nc_u32_e32 v104, 28, v94
	v_sub_nc_u32_e32 v94, 29, v94
	v_lshlrev_b32_e32 v104, v104, v79
	v_lshlrev_b32_e32 v79, 24, v79
	v_cndmask_b32_e32 v94, v95, v94, vcc_lo
	v_and_b32_e32 v104, 7, v104
	v_and_b32_e32 v79, 0x80000000, v79
	v_lshl_add_u32 v94, v94, 23, 0x3b800000
	v_cndmask_b32_e32 v92, v92, v104, vcc_lo
	v_lshlrev_b32_e32 v92, 20, v92
	v_or3_b32 v92, v79, v94, v92
.LBB4_8693:                             ;   in Loop: Header=BB4_8450 Depth=3
	s_or_b32 exec_lo, exec_lo, s23
	v_max_f32_e32 v79, v92, v92
	v_max_f32_e32 v92, v93, v93
	v_min_f32_e32 v93, v92, v79
.LBB4_8694:                             ;   in Loop: Header=BB4_8450 Depth=3
	s_waitcnt vmcnt(9) lgkmcnt(9)
	v_and_b32_e32 v79, 0x7f800000, v93
	v_cmp_ne_u32_e32 vcc_lo, 0x7f800000, v79
	v_mov_b32_e32 v79, 0x80
	s_and_saveexec_b32 s23, vcc_lo
	s_cbranch_execz .LBB4_8702
; %bb.8695:                             ;   in Loop: Header=BB4_8450 Depth=3
	v_mov_b32_e32 v79, 0
	s_mov_b32 s73, exec_lo
	v_cmpx_ne_u32_e32 0, v93
	s_cbranch_execz .LBB4_8701
; %bb.8696:                             ;   in Loop: Header=BB4_8450 Depth=3
	v_bfe_u32 v79, v93, 23, 8
	v_and_b32_e32 v92, 0x7fffff, v93
	v_sub_nc_u32_e32 v94, 0x78, v79
	v_cmp_gt_u32_e32 vcc_lo, 0x79, v79
	v_or_b32_e32 v95, 0x800000, v92
	v_cndmask_b32_e32 v94, 0, v94, vcc_lo
	v_cmp_eq_u32_e32 vcc_lo, 0, v79
	v_add_nc_u32_e32 v79, 0xffffff89, v79
	v_cndmask_b32_e64 v94, v94, 0x77, vcc_lo
	v_cndmask_b32_e32 v92, v95, v92, vcc_lo
	v_cndmask_b32_e64 v79, v79, 0xffffff8a, vcc_lo
	v_lshl_add_u32 v95, 0x100000, v94, -1
	v_lshrrev_b32_e32 v104, v94, v92
	v_lshlrev_b32_e64 v106, v94, 0x80000
	v_add_nc_u32_e32 v94, v94, v79
	v_and_b32_e32 v92, v95, v92
	v_bfe_u32 v105, v104, 20, 1
	v_cmp_eq_u32_e64 s16, v92, v106
	v_add_nc_u32_e32 v95, -1, v105
	v_cndmask_b32_e64 v92, 0, v95, s16
	v_lshrrev_b32_e32 v95, 23, v104
	s_mov_b32 s16, exec_lo
	v_add_nc_u32_e32 v92, v92, v104
	v_xor_b32_e32 v95, 1, v95
	v_and_b32_e32 v79, 0xfffff, v92
	v_add_nc_u32_e32 v92, v79, v104
                                        ; implicit-def: $vgpr79
	v_cmpx_ne_u32_e64 v94, v95
	s_xor_b32 s16, exec_lo, s16
; %bb.8697:                             ;   in Loop: Header=BB4_8450 Depth=3
	v_cmp_lt_u32_e32 vcc_lo, 0xffffff, v92
	v_sub_nc_u32_e32 v79, v94, v95
	v_cndmask_b32_e64 v94, 0, 1, vcc_lo
	v_add_co_ci_u32_e64 v79, null, 0, v79, vcc_lo
	v_lshrrev_b32_e32 v92, v94, v92
; %bb.8698:                             ;   in Loop: Header=BB4_8450 Depth=3
	s_andn2_saveexec_b32 s16, s16
; %bb.8699:                             ;   in Loop: Header=BB4_8450 Depth=3
	v_bfe_u32 v79, v92, 23, 1
; %bb.8700:                             ;   in Loop: Header=BB4_8450 Depth=3
	s_or_b32 exec_lo, exec_lo, s16
	v_lshrrev_b32_e32 v92, 20, v92
	v_cmp_gt_i32_e32 vcc_lo, 16, v79
	v_min_i32_e32 v94, 15, v79
	v_and_b32_sdwa v93, v93, v118 dst_sel:DWORD dst_unused:UNUSED_PAD src0_sel:BYTE_3 src1_sel:DWORD
	v_cndmask_b32_e32 v92, 7, v92, vcc_lo
	v_lshlrev_b32_e32 v94, 3, v94
	v_and_b32_e32 v95, 7, v92
	v_or_b32_e32 v79, v79, v92
	v_or3_b32 v92, v94, v93, v95
	v_cmp_ne_u32_e32 vcc_lo, 0, v79
	v_cndmask_b32_e32 v79, 0, v92, vcc_lo
.LBB4_8701:                             ;   in Loop: Header=BB4_8450 Depth=3
	s_or_b32 exec_lo, exec_lo, s73
.LBB4_8702:                             ;   in Loop: Header=BB4_8450 Depth=3
	s_or_b32 exec_lo, exec_lo, s23
	s_andn2_b32 vcc_lo, exec_lo, s19
	s_mov_b32 s16, -1
                                        ; implicit-def: $vgpr92
	s_cbranch_vccnz .LBB4_8716
; %bb.8703:                             ;   in Loop: Header=BB4_8450 Depth=3
	v_cmp_gt_i16_sdwa s23, v91, v117 src0_sel:BYTE_0 src1_sel:DWORD
	s_mov_b32 s16, 0
	s_and_saveexec_b32 s73, s23
	s_xor_b32 s23, exec_lo, s73
	s_cbranch_execz .LBB4_9080
; %bb.8704:                             ;   in Loop: Header=BB4_8450 Depth=3
	v_cmp_eq_u16_sdwa s74, v91, v118 src0_sel:BYTE_0 src1_sel:DWORD
	s_mov_b32 s16, -1
	s_and_saveexec_b32 s73, s74
; %bb.8705:                             ;   in Loop: Header=BB4_8450 Depth=3
	s_xor_b32 s16, exec_lo, -1
; %bb.8706:                             ;   in Loop: Header=BB4_8450 Depth=3
	s_or_b32 exec_lo, exec_lo, s73
	s_and_b32 s16, s16, exec_lo
	s_or_saveexec_b32 s23, s23
	v_mov_b32_e32 v92, 0x7f800001
	s_xor_b32 exec_lo, exec_lo, s23
	s_cbranch_execnz .LBB4_9081
.LBB4_8707:                             ;   in Loop: Header=BB4_8450 Depth=3
	s_or_b32 exec_lo, exec_lo, s23
	s_and_saveexec_b32 s23, s16
	s_cbranch_execz .LBB4_8709
.LBB4_8708:                             ;   in Loop: Header=BB4_8450 Depth=3
	v_and_b32_e32 v92, 7, v91
	v_lshrrev_b16 v94, 3, v91
	v_lshlrev_b32_e32 v104, 24, v91
	v_ffbh_u32_e32 v93, v92
	v_and_b32_e32 v94, 15, v94
	v_min_u32_e32 v93, 32, v93
	v_cmp_eq_u32_e32 vcc_lo, 0, v94
	v_subrev_nc_u32_e32 v95, 28, v93
	v_sub_nc_u32_e32 v93, 29, v93
	v_lshlrev_b32_e32 v95, v95, v91
	v_cndmask_b32_e32 v93, v94, v93, vcc_lo
	v_and_b32_e32 v94, 0x80000000, v104
	v_and_b32_e32 v95, 7, v95
	v_lshl_add_u32 v93, v93, 23, 0x3b800000
	v_cndmask_b32_e32 v92, v92, v95, vcc_lo
	v_lshlrev_b32_e32 v92, 20, v92
	v_or3_b32 v92, v94, v93, v92
.LBB4_8709:                             ;   in Loop: Header=BB4_8450 Depth=3
	s_or_b32 exec_lo, exec_lo, s23
	s_waitcnt vmcnt(8) lgkmcnt(8)
	v_cmp_gt_i16_sdwa s23, v90, v117 src0_sel:BYTE_0 src1_sel:DWORD
	s_mov_b32 s16, 0
	s_and_saveexec_b32 s73, s23
	s_xor_b32 s23, exec_lo, s73
	s_cbranch_execz .LBB4_9082
; %bb.8710:                             ;   in Loop: Header=BB4_8450 Depth=3
	v_cmp_eq_u16_sdwa s74, v90, v118 src0_sel:BYTE_0 src1_sel:DWORD
	s_mov_b32 s16, -1
	s_and_saveexec_b32 s73, s74
; %bb.8711:                             ;   in Loop: Header=BB4_8450 Depth=3
	s_xor_b32 s16, exec_lo, -1
; %bb.8712:                             ;   in Loop: Header=BB4_8450 Depth=3
	s_or_b32 exec_lo, exec_lo, s73
	s_and_b32 s16, s16, exec_lo
	s_or_saveexec_b32 s23, s23
	v_mov_b32_e32 v93, 0x7f800001
	s_xor_b32 exec_lo, exec_lo, s23
	s_cbranch_execnz .LBB4_9083
.LBB4_8713:                             ;   in Loop: Header=BB4_8450 Depth=3
	s_or_b32 exec_lo, exec_lo, s23
	s_and_saveexec_b32 s23, s16
	s_cbranch_execz .LBB4_8715
.LBB4_8714:                             ;   in Loop: Header=BB4_8450 Depth=3
	v_and_b32_e32 v93, 7, v90
	v_lshrrev_b16 v95, 3, v90
	v_lshlrev_b32_e32 v105, 24, v90
	v_ffbh_u32_e32 v94, v93
	v_and_b32_e32 v95, 15, v95
	v_min_u32_e32 v94, 32, v94
	v_cmp_eq_u32_e32 vcc_lo, 0, v95
	v_subrev_nc_u32_e32 v104, 28, v94
	v_sub_nc_u32_e32 v94, 29, v94
	v_lshlrev_b32_e32 v104, v104, v90
	v_cndmask_b32_e32 v94, v95, v94, vcc_lo
	v_and_b32_e32 v95, 0x80000000, v105
	v_and_b32_e32 v104, 7, v104
	v_lshl_add_u32 v94, v94, 23, 0x3b800000
	v_cndmask_b32_e32 v93, v93, v104, vcc_lo
	v_lshlrev_b32_e32 v93, 20, v93
	v_or3_b32 v93, v95, v94, v93
.LBB4_8715:                             ;   in Loop: Header=BB4_8450 Depth=3
	s_or_b32 exec_lo, exec_lo, s23
	v_max_f32_e32 v93, v93, v93
	v_max_f32_e32 v92, v92, v92
	;; [unrolled: 1-line block ×3, first 2 shown]
	s_branch .LBB4_8730
.LBB4_8716:                             ;   in Loop: Header=BB4_8450 Depth=3
	s_and_b32 vcc_lo, exec_lo, s16
	s_cbranch_vccz .LBB4_8730
; %bb.8717:                             ;   in Loop: Header=BB4_8450 Depth=3
	v_cmp_gt_i16_sdwa s23, v91, v117 src0_sel:BYTE_0 src1_sel:DWORD
	s_mov_b32 s16, 0
	s_and_saveexec_b32 s73, s23
	s_xor_b32 s23, exec_lo, s73
	s_cbranch_execz .LBB4_9084
; %bb.8718:                             ;   in Loop: Header=BB4_8450 Depth=3
	v_cmp_eq_u16_sdwa s74, v91, v118 src0_sel:BYTE_0 src1_sel:DWORD
	s_mov_b32 s16, -1
	s_and_saveexec_b32 s73, s74
; %bb.8719:                             ;   in Loop: Header=BB4_8450 Depth=3
	s_xor_b32 s16, exec_lo, -1
; %bb.8720:                             ;   in Loop: Header=BB4_8450 Depth=3
	s_or_b32 exec_lo, exec_lo, s73
	s_and_b32 s16, s16, exec_lo
	s_or_saveexec_b32 s23, s23
	v_mov_b32_e32 v92, 0x7f800001
	s_xor_b32 exec_lo, exec_lo, s23
	s_cbranch_execnz .LBB4_9085
.LBB4_8721:                             ;   in Loop: Header=BB4_8450 Depth=3
	s_or_b32 exec_lo, exec_lo, s23
	s_and_saveexec_b32 s23, s16
	s_cbranch_execz .LBB4_8723
.LBB4_8722:                             ;   in Loop: Header=BB4_8450 Depth=3
	v_and_b32_e32 v92, 7, v91
	v_lshrrev_b16 v94, 3, v91
	v_ffbh_u32_e32 v93, v92
	v_and_b32_e32 v94, 15, v94
	v_min_u32_e32 v93, 32, v93
	v_cmp_eq_u32_e32 vcc_lo, 0, v94
	v_subrev_nc_u32_e32 v95, 28, v93
	v_sub_nc_u32_e32 v93, 29, v93
	v_lshlrev_b32_e32 v95, v95, v91
	v_lshlrev_b32_e32 v91, 24, v91
	v_cndmask_b32_e32 v93, v94, v93, vcc_lo
	v_and_b32_e32 v95, 7, v95
	v_and_b32_e32 v91, 0x80000000, v91
	v_lshl_add_u32 v93, v93, 23, 0x3b800000
	v_cndmask_b32_e32 v92, v92, v95, vcc_lo
	v_lshlrev_b32_e32 v92, 20, v92
	v_or3_b32 v92, v91, v93, v92
.LBB4_8723:                             ;   in Loop: Header=BB4_8450 Depth=3
	s_or_b32 exec_lo, exec_lo, s23
	s_waitcnt vmcnt(8) lgkmcnt(8)
	v_cmp_gt_i16_sdwa s23, v90, v117 src0_sel:BYTE_0 src1_sel:DWORD
	s_mov_b32 s16, 0
	s_and_saveexec_b32 s73, s23
	s_xor_b32 s23, exec_lo, s73
	s_cbranch_execz .LBB4_9086
; %bb.8724:                             ;   in Loop: Header=BB4_8450 Depth=3
	v_cmp_eq_u16_sdwa s74, v90, v118 src0_sel:BYTE_0 src1_sel:DWORD
	s_mov_b32 s16, -1
	s_and_saveexec_b32 s73, s74
; %bb.8725:                             ;   in Loop: Header=BB4_8450 Depth=3
	s_xor_b32 s16, exec_lo, -1
; %bb.8726:                             ;   in Loop: Header=BB4_8450 Depth=3
	s_or_b32 exec_lo, exec_lo, s73
	s_and_b32 s16, s16, exec_lo
	s_or_saveexec_b32 s23, s23
	v_mov_b32_e32 v91, 0x7f800001
	s_xor_b32 exec_lo, exec_lo, s23
	s_cbranch_execnz .LBB4_9087
.LBB4_8727:                             ;   in Loop: Header=BB4_8450 Depth=3
	s_or_b32 exec_lo, exec_lo, s23
	s_and_saveexec_b32 s23, s16
	s_cbranch_execz .LBB4_8729
.LBB4_8728:                             ;   in Loop: Header=BB4_8450 Depth=3
	v_and_b32_e32 v91, 7, v90
	v_lshrrev_b16 v94, 3, v90
	v_ffbh_u32_e32 v93, v91
	v_and_b32_e32 v94, 15, v94
	v_min_u32_e32 v93, 32, v93
	v_cmp_eq_u32_e32 vcc_lo, 0, v94
	v_subrev_nc_u32_e32 v95, 28, v93
	v_sub_nc_u32_e32 v93, 29, v93
	v_lshlrev_b32_e32 v95, v95, v90
	v_lshlrev_b32_e32 v90, 24, v90
	v_cndmask_b32_e32 v93, v94, v93, vcc_lo
	v_and_b32_e32 v95, 7, v95
	v_and_b32_e32 v90, 0x80000000, v90
	v_lshl_add_u32 v93, v93, 23, 0x3b800000
	v_cndmask_b32_e32 v91, v91, v95, vcc_lo
	v_lshlrev_b32_e32 v91, 20, v91
	v_or3_b32 v91, v90, v93, v91
.LBB4_8729:                             ;   in Loop: Header=BB4_8450 Depth=3
	s_or_b32 exec_lo, exec_lo, s23
	v_max_f32_e32 v90, v91, v91
	v_max_f32_e32 v91, v92, v92
	v_min_f32_e32 v92, v91, v90
.LBB4_8730:                             ;   in Loop: Header=BB4_8450 Depth=3
	s_waitcnt vmcnt(8) lgkmcnt(8)
	v_and_b32_e32 v90, 0x7f800000, v92
	v_cmp_ne_u32_e32 vcc_lo, 0x7f800000, v90
	v_mov_b32_e32 v90, 0x80
	s_and_saveexec_b32 s23, vcc_lo
	s_cbranch_execz .LBB4_8738
; %bb.8731:                             ;   in Loop: Header=BB4_8450 Depth=3
	v_mov_b32_e32 v90, 0
	s_mov_b32 s73, exec_lo
	v_cmpx_ne_u32_e32 0, v92
	s_cbranch_execz .LBB4_8737
; %bb.8732:                             ;   in Loop: Header=BB4_8450 Depth=3
	v_bfe_u32 v90, v92, 23, 8
	v_and_b32_e32 v91, 0x7fffff, v92
	v_sub_nc_u32_e32 v93, 0x78, v90
	v_cmp_gt_u32_e32 vcc_lo, 0x79, v90
	v_or_b32_e32 v94, 0x800000, v91
	v_cndmask_b32_e32 v93, 0, v93, vcc_lo
	v_cmp_eq_u32_e32 vcc_lo, 0, v90
	v_add_nc_u32_e32 v90, 0xffffff89, v90
	v_cndmask_b32_e64 v93, v93, 0x77, vcc_lo
	v_cndmask_b32_e32 v91, v94, v91, vcc_lo
	v_cndmask_b32_e64 v90, v90, 0xffffff8a, vcc_lo
	v_lshl_add_u32 v94, 0x100000, v93, -1
	v_lshrrev_b32_e32 v95, v93, v91
	v_lshlrev_b32_e64 v105, v93, 0x80000
	v_add_nc_u32_e32 v93, v93, v90
	v_and_b32_e32 v91, v94, v91
	v_bfe_u32 v104, v95, 20, 1
	v_cmp_eq_u32_e64 s16, v91, v105
	v_add_nc_u32_e32 v94, -1, v104
	v_cndmask_b32_e64 v91, 0, v94, s16
	v_lshrrev_b32_e32 v94, 23, v95
	s_mov_b32 s16, exec_lo
	v_add_nc_u32_e32 v91, v91, v95
	v_xor_b32_e32 v94, 1, v94
	v_and_b32_e32 v90, 0xfffff, v91
	v_add_nc_u32_e32 v91, v90, v95
                                        ; implicit-def: $vgpr90
	v_cmpx_ne_u32_e64 v93, v94
	s_xor_b32 s16, exec_lo, s16
; %bb.8733:                             ;   in Loop: Header=BB4_8450 Depth=3
	v_cmp_lt_u32_e32 vcc_lo, 0xffffff, v91
	v_sub_nc_u32_e32 v90, v93, v94
	v_cndmask_b32_e64 v93, 0, 1, vcc_lo
	v_add_co_ci_u32_e64 v90, null, 0, v90, vcc_lo
	v_lshrrev_b32_e32 v91, v93, v91
; %bb.8734:                             ;   in Loop: Header=BB4_8450 Depth=3
	s_andn2_saveexec_b32 s16, s16
; %bb.8735:                             ;   in Loop: Header=BB4_8450 Depth=3
	v_bfe_u32 v90, v91, 23, 1
; %bb.8736:                             ;   in Loop: Header=BB4_8450 Depth=3
	s_or_b32 exec_lo, exec_lo, s16
	v_lshrrev_b32_e32 v91, 20, v91
	v_cmp_gt_i32_e32 vcc_lo, 16, v90
	v_min_i32_e32 v93, 15, v90
	v_and_b32_sdwa v92, v92, v118 dst_sel:DWORD dst_unused:UNUSED_PAD src0_sel:BYTE_3 src1_sel:DWORD
	v_cndmask_b32_e32 v91, 7, v91, vcc_lo
	v_lshlrev_b32_e32 v93, 3, v93
	v_and_b32_e32 v94, 7, v91
	v_or_b32_e32 v90, v90, v91
	v_or3_b32 v91, v93, v92, v94
	v_cmp_ne_u32_e32 vcc_lo, 0, v90
	v_cndmask_b32_e32 v90, 0, v91, vcc_lo
.LBB4_8737:                             ;   in Loop: Header=BB4_8450 Depth=3
	s_or_b32 exec_lo, exec_lo, s73
.LBB4_8738:                             ;   in Loop: Header=BB4_8450 Depth=3
	s_or_b32 exec_lo, exec_lo, s23
	s_andn2_b32 vcc_lo, exec_lo, s19
	s_mov_b32 s16, -1
                                        ; implicit-def: $vgpr91
	s_cbranch_vccnz .LBB4_8752
; %bb.8739:                             ;   in Loop: Header=BB4_8450 Depth=3
	v_cmp_gt_i16_sdwa s23, v89, v117 src0_sel:BYTE_0 src1_sel:DWORD
	s_mov_b32 s16, 0
	s_and_saveexec_b32 s73, s23
	s_xor_b32 s23, exec_lo, s73
	s_cbranch_execz .LBB4_9088
; %bb.8740:                             ;   in Loop: Header=BB4_8450 Depth=3
	v_cmp_eq_u16_sdwa s74, v89, v118 src0_sel:BYTE_0 src1_sel:DWORD
	s_mov_b32 s16, -1
	s_and_saveexec_b32 s73, s74
; %bb.8741:                             ;   in Loop: Header=BB4_8450 Depth=3
	s_xor_b32 s16, exec_lo, -1
; %bb.8742:                             ;   in Loop: Header=BB4_8450 Depth=3
	s_or_b32 exec_lo, exec_lo, s73
	s_and_b32 s16, s16, exec_lo
	s_or_saveexec_b32 s23, s23
	v_mov_b32_e32 v91, 0x7f800001
	s_xor_b32 exec_lo, exec_lo, s23
	s_cbranch_execnz .LBB4_9089
.LBB4_8743:                             ;   in Loop: Header=BB4_8450 Depth=3
	s_or_b32 exec_lo, exec_lo, s23
	s_and_saveexec_b32 s23, s16
	s_cbranch_execz .LBB4_8745
.LBB4_8744:                             ;   in Loop: Header=BB4_8450 Depth=3
	v_and_b32_e32 v91, 7, v89
	v_lshrrev_b16 v93, 3, v89
	v_lshlrev_b32_e32 v95, 24, v89
	v_ffbh_u32_e32 v92, v91
	v_and_b32_e32 v93, 15, v93
	v_min_u32_e32 v92, 32, v92
	v_cmp_eq_u32_e32 vcc_lo, 0, v93
	v_subrev_nc_u32_e32 v94, 28, v92
	v_sub_nc_u32_e32 v92, 29, v92
	v_lshlrev_b32_e32 v94, v94, v89
	v_cndmask_b32_e32 v92, v93, v92, vcc_lo
	v_and_b32_e32 v93, 0x80000000, v95
	v_and_b32_e32 v94, 7, v94
	v_lshl_add_u32 v92, v92, 23, 0x3b800000
	v_cndmask_b32_e32 v91, v91, v94, vcc_lo
	v_lshlrev_b32_e32 v91, 20, v91
	v_or3_b32 v91, v93, v92, v91
.LBB4_8745:                             ;   in Loop: Header=BB4_8450 Depth=3
	s_or_b32 exec_lo, exec_lo, s23
	s_waitcnt vmcnt(7) lgkmcnt(7)
	v_cmp_gt_i16_sdwa s23, v88, v117 src0_sel:BYTE_0 src1_sel:DWORD
	s_mov_b32 s16, 0
	s_and_saveexec_b32 s73, s23
	s_xor_b32 s23, exec_lo, s73
	s_cbranch_execz .LBB4_9090
; %bb.8746:                             ;   in Loop: Header=BB4_8450 Depth=3
	v_cmp_eq_u16_sdwa s74, v88, v118 src0_sel:BYTE_0 src1_sel:DWORD
	s_mov_b32 s16, -1
	s_and_saveexec_b32 s73, s74
; %bb.8747:                             ;   in Loop: Header=BB4_8450 Depth=3
	s_xor_b32 s16, exec_lo, -1
; %bb.8748:                             ;   in Loop: Header=BB4_8450 Depth=3
	s_or_b32 exec_lo, exec_lo, s73
	s_and_b32 s16, s16, exec_lo
	s_or_saveexec_b32 s23, s23
	v_mov_b32_e32 v92, 0x7f800001
	s_xor_b32 exec_lo, exec_lo, s23
	s_cbranch_execnz .LBB4_9091
.LBB4_8749:                             ;   in Loop: Header=BB4_8450 Depth=3
	s_or_b32 exec_lo, exec_lo, s23
	s_and_saveexec_b32 s23, s16
	s_cbranch_execz .LBB4_8751
.LBB4_8750:                             ;   in Loop: Header=BB4_8450 Depth=3
	v_and_b32_e32 v92, 7, v88
	v_lshrrev_b16 v94, 3, v88
	v_lshlrev_b32_e32 v104, 24, v88
	v_ffbh_u32_e32 v93, v92
	v_and_b32_e32 v94, 15, v94
	v_min_u32_e32 v93, 32, v93
	v_cmp_eq_u32_e32 vcc_lo, 0, v94
	v_subrev_nc_u32_e32 v95, 28, v93
	v_sub_nc_u32_e32 v93, 29, v93
	v_lshlrev_b32_e32 v95, v95, v88
	v_cndmask_b32_e32 v93, v94, v93, vcc_lo
	v_and_b32_e32 v94, 0x80000000, v104
	v_and_b32_e32 v95, 7, v95
	v_lshl_add_u32 v93, v93, 23, 0x3b800000
	v_cndmask_b32_e32 v92, v92, v95, vcc_lo
	v_lshlrev_b32_e32 v92, 20, v92
	v_or3_b32 v92, v94, v93, v92
.LBB4_8751:                             ;   in Loop: Header=BB4_8450 Depth=3
	s_or_b32 exec_lo, exec_lo, s23
	v_max_f32_e32 v92, v92, v92
	v_max_f32_e32 v91, v91, v91
	;; [unrolled: 1-line block ×3, first 2 shown]
	s_branch .LBB4_8766
.LBB4_8752:                             ;   in Loop: Header=BB4_8450 Depth=3
	s_and_b32 vcc_lo, exec_lo, s16
	s_cbranch_vccz .LBB4_8766
; %bb.8753:                             ;   in Loop: Header=BB4_8450 Depth=3
	v_cmp_gt_i16_sdwa s23, v89, v117 src0_sel:BYTE_0 src1_sel:DWORD
	s_mov_b32 s16, 0
	s_and_saveexec_b32 s73, s23
	s_xor_b32 s23, exec_lo, s73
	s_cbranch_execz .LBB4_9092
; %bb.8754:                             ;   in Loop: Header=BB4_8450 Depth=3
	v_cmp_eq_u16_sdwa s74, v89, v118 src0_sel:BYTE_0 src1_sel:DWORD
	s_mov_b32 s16, -1
	s_and_saveexec_b32 s73, s74
; %bb.8755:                             ;   in Loop: Header=BB4_8450 Depth=3
	s_xor_b32 s16, exec_lo, -1
; %bb.8756:                             ;   in Loop: Header=BB4_8450 Depth=3
	s_or_b32 exec_lo, exec_lo, s73
	s_and_b32 s16, s16, exec_lo
	s_or_saveexec_b32 s23, s23
	v_mov_b32_e32 v91, 0x7f800001
	s_xor_b32 exec_lo, exec_lo, s23
	s_cbranch_execnz .LBB4_9093
.LBB4_8757:                             ;   in Loop: Header=BB4_8450 Depth=3
	s_or_b32 exec_lo, exec_lo, s23
	s_and_saveexec_b32 s23, s16
	s_cbranch_execz .LBB4_8759
.LBB4_8758:                             ;   in Loop: Header=BB4_8450 Depth=3
	v_and_b32_e32 v91, 7, v89
	v_lshrrev_b16 v93, 3, v89
	v_ffbh_u32_e32 v92, v91
	v_and_b32_e32 v93, 15, v93
	v_min_u32_e32 v92, 32, v92
	v_cmp_eq_u32_e32 vcc_lo, 0, v93
	v_subrev_nc_u32_e32 v94, 28, v92
	v_sub_nc_u32_e32 v92, 29, v92
	v_lshlrev_b32_e32 v94, v94, v89
	v_lshlrev_b32_e32 v89, 24, v89
	v_cndmask_b32_e32 v92, v93, v92, vcc_lo
	v_and_b32_e32 v94, 7, v94
	v_and_b32_e32 v89, 0x80000000, v89
	v_lshl_add_u32 v92, v92, 23, 0x3b800000
	v_cndmask_b32_e32 v91, v91, v94, vcc_lo
	v_lshlrev_b32_e32 v91, 20, v91
	v_or3_b32 v91, v89, v92, v91
.LBB4_8759:                             ;   in Loop: Header=BB4_8450 Depth=3
	s_or_b32 exec_lo, exec_lo, s23
	s_waitcnt vmcnt(7) lgkmcnt(7)
	v_cmp_gt_i16_sdwa s23, v88, v117 src0_sel:BYTE_0 src1_sel:DWORD
	s_mov_b32 s16, 0
	s_and_saveexec_b32 s73, s23
	s_xor_b32 s23, exec_lo, s73
	s_cbranch_execz .LBB4_9094
; %bb.8760:                             ;   in Loop: Header=BB4_8450 Depth=3
	v_cmp_eq_u16_sdwa s74, v88, v118 src0_sel:BYTE_0 src1_sel:DWORD
	s_mov_b32 s16, -1
	s_and_saveexec_b32 s73, s74
; %bb.8761:                             ;   in Loop: Header=BB4_8450 Depth=3
	s_xor_b32 s16, exec_lo, -1
; %bb.8762:                             ;   in Loop: Header=BB4_8450 Depth=3
	s_or_b32 exec_lo, exec_lo, s73
	s_and_b32 s16, s16, exec_lo
	s_or_saveexec_b32 s23, s23
	v_mov_b32_e32 v89, 0x7f800001
	s_xor_b32 exec_lo, exec_lo, s23
	s_cbranch_execnz .LBB4_9095
.LBB4_8763:                             ;   in Loop: Header=BB4_8450 Depth=3
	s_or_b32 exec_lo, exec_lo, s23
	s_and_saveexec_b32 s23, s16
	s_cbranch_execz .LBB4_8765
.LBB4_8764:                             ;   in Loop: Header=BB4_8450 Depth=3
	v_and_b32_e32 v89, 7, v88
	v_lshrrev_b16 v93, 3, v88
	v_ffbh_u32_e32 v92, v89
	v_and_b32_e32 v93, 15, v93
	v_min_u32_e32 v92, 32, v92
	v_cmp_eq_u32_e32 vcc_lo, 0, v93
	v_subrev_nc_u32_e32 v94, 28, v92
	v_sub_nc_u32_e32 v92, 29, v92
	v_lshlrev_b32_e32 v94, v94, v88
	v_lshlrev_b32_e32 v88, 24, v88
	v_cndmask_b32_e32 v92, v93, v92, vcc_lo
	v_and_b32_e32 v94, 7, v94
	v_and_b32_e32 v88, 0x80000000, v88
	v_lshl_add_u32 v92, v92, 23, 0x3b800000
	v_cndmask_b32_e32 v89, v89, v94, vcc_lo
	v_lshlrev_b32_e32 v89, 20, v89
	v_or3_b32 v89, v88, v92, v89
.LBB4_8765:                             ;   in Loop: Header=BB4_8450 Depth=3
	s_or_b32 exec_lo, exec_lo, s23
	v_max_f32_e32 v88, v89, v89
	v_max_f32_e32 v89, v91, v91
	v_min_f32_e32 v91, v89, v88
.LBB4_8766:                             ;   in Loop: Header=BB4_8450 Depth=3
	s_waitcnt vmcnt(7) lgkmcnt(7)
	v_and_b32_e32 v88, 0x7f800000, v91
	v_cmp_ne_u32_e32 vcc_lo, 0x7f800000, v88
	v_mov_b32_e32 v88, 0x80
	s_and_saveexec_b32 s23, vcc_lo
	s_cbranch_execz .LBB4_8774
; %bb.8767:                             ;   in Loop: Header=BB4_8450 Depth=3
	v_mov_b32_e32 v88, 0
	s_mov_b32 s73, exec_lo
	v_cmpx_ne_u32_e32 0, v91
	s_cbranch_execz .LBB4_8773
; %bb.8768:                             ;   in Loop: Header=BB4_8450 Depth=3
	v_bfe_u32 v88, v91, 23, 8
	v_and_b32_e32 v89, 0x7fffff, v91
	v_sub_nc_u32_e32 v92, 0x78, v88
	v_cmp_gt_u32_e32 vcc_lo, 0x79, v88
	v_or_b32_e32 v93, 0x800000, v89
	v_cndmask_b32_e32 v92, 0, v92, vcc_lo
	v_cmp_eq_u32_e32 vcc_lo, 0, v88
	v_add_nc_u32_e32 v88, 0xffffff89, v88
	v_cndmask_b32_e64 v92, v92, 0x77, vcc_lo
	v_cndmask_b32_e32 v89, v93, v89, vcc_lo
	v_cndmask_b32_e64 v88, v88, 0xffffff8a, vcc_lo
	v_lshl_add_u32 v93, 0x100000, v92, -1
	v_lshrrev_b32_e32 v94, v92, v89
	v_lshlrev_b32_e64 v104, v92, 0x80000
	v_add_nc_u32_e32 v92, v92, v88
	v_and_b32_e32 v89, v93, v89
	v_bfe_u32 v95, v94, 20, 1
	v_cmp_eq_u32_e64 s16, v89, v104
	v_add_nc_u32_e32 v93, -1, v95
	v_cndmask_b32_e64 v89, 0, v93, s16
	v_lshrrev_b32_e32 v93, 23, v94
	s_mov_b32 s16, exec_lo
	v_add_nc_u32_e32 v89, v89, v94
	v_xor_b32_e32 v93, 1, v93
	v_and_b32_e32 v88, 0xfffff, v89
	v_add_nc_u32_e32 v89, v88, v94
                                        ; implicit-def: $vgpr88
	v_cmpx_ne_u32_e64 v92, v93
	s_xor_b32 s16, exec_lo, s16
; %bb.8769:                             ;   in Loop: Header=BB4_8450 Depth=3
	v_cmp_lt_u32_e32 vcc_lo, 0xffffff, v89
	v_sub_nc_u32_e32 v88, v92, v93
	v_cndmask_b32_e64 v92, 0, 1, vcc_lo
	v_add_co_ci_u32_e64 v88, null, 0, v88, vcc_lo
	v_lshrrev_b32_e32 v89, v92, v89
; %bb.8770:                             ;   in Loop: Header=BB4_8450 Depth=3
	s_andn2_saveexec_b32 s16, s16
; %bb.8771:                             ;   in Loop: Header=BB4_8450 Depth=3
	v_bfe_u32 v88, v89, 23, 1
; %bb.8772:                             ;   in Loop: Header=BB4_8450 Depth=3
	s_or_b32 exec_lo, exec_lo, s16
	v_lshrrev_b32_e32 v89, 20, v89
	v_cmp_gt_i32_e32 vcc_lo, 16, v88
	v_min_i32_e32 v92, 15, v88
	v_and_b32_sdwa v91, v91, v118 dst_sel:DWORD dst_unused:UNUSED_PAD src0_sel:BYTE_3 src1_sel:DWORD
	v_cndmask_b32_e32 v89, 7, v89, vcc_lo
	v_lshlrev_b32_e32 v92, 3, v92
	v_and_b32_e32 v93, 7, v89
	v_or_b32_e32 v88, v88, v89
	v_or3_b32 v89, v92, v91, v93
	v_cmp_ne_u32_e32 vcc_lo, 0, v88
	v_cndmask_b32_e32 v88, 0, v89, vcc_lo
.LBB4_8773:                             ;   in Loop: Header=BB4_8450 Depth=3
	s_or_b32 exec_lo, exec_lo, s73
.LBB4_8774:                             ;   in Loop: Header=BB4_8450 Depth=3
	s_or_b32 exec_lo, exec_lo, s23
	s_andn2_b32 vcc_lo, exec_lo, s19
	s_mov_b32 s16, -1
                                        ; implicit-def: $vgpr89
	s_cbranch_vccnz .LBB4_8788
; %bb.8775:                             ;   in Loop: Header=BB4_8450 Depth=3
	v_cmp_gt_i16_sdwa s23, v78, v117 src0_sel:BYTE_0 src1_sel:DWORD
	s_mov_b32 s16, 0
	s_and_saveexec_b32 s73, s23
	s_xor_b32 s23, exec_lo, s73
	s_cbranch_execz .LBB4_9096
; %bb.8776:                             ;   in Loop: Header=BB4_8450 Depth=3
	v_cmp_eq_u16_sdwa s74, v78, v118 src0_sel:BYTE_0 src1_sel:DWORD
	s_mov_b32 s16, -1
	s_and_saveexec_b32 s73, s74
; %bb.8777:                             ;   in Loop: Header=BB4_8450 Depth=3
	s_xor_b32 s16, exec_lo, -1
; %bb.8778:                             ;   in Loop: Header=BB4_8450 Depth=3
	s_or_b32 exec_lo, exec_lo, s73
	s_and_b32 s16, s16, exec_lo
	s_or_saveexec_b32 s23, s23
	v_mov_b32_e32 v89, 0x7f800001
	s_xor_b32 exec_lo, exec_lo, s23
	s_cbranch_execnz .LBB4_9097
.LBB4_8779:                             ;   in Loop: Header=BB4_8450 Depth=3
	s_or_b32 exec_lo, exec_lo, s23
	s_and_saveexec_b32 s23, s16
	s_cbranch_execz .LBB4_8781
.LBB4_8780:                             ;   in Loop: Header=BB4_8450 Depth=3
	v_and_b32_e32 v89, 7, v78
	v_lshrrev_b16 v92, 3, v78
	v_lshlrev_b32_e32 v94, 24, v78
	v_ffbh_u32_e32 v91, v89
	v_and_b32_e32 v92, 15, v92
	v_min_u32_e32 v91, 32, v91
	v_cmp_eq_u32_e32 vcc_lo, 0, v92
	v_subrev_nc_u32_e32 v93, 28, v91
	v_sub_nc_u32_e32 v91, 29, v91
	v_lshlrev_b32_e32 v93, v93, v78
	v_cndmask_b32_e32 v91, v92, v91, vcc_lo
	v_and_b32_e32 v92, 0x80000000, v94
	v_and_b32_e32 v93, 7, v93
	v_lshl_add_u32 v91, v91, 23, 0x3b800000
	v_cndmask_b32_e32 v89, v89, v93, vcc_lo
	v_lshlrev_b32_e32 v89, 20, v89
	v_or3_b32 v89, v92, v91, v89
.LBB4_8781:                             ;   in Loop: Header=BB4_8450 Depth=3
	s_or_b32 exec_lo, exec_lo, s23
	s_waitcnt vmcnt(6) lgkmcnt(6)
	v_cmp_gt_i16_sdwa s23, v77, v117 src0_sel:BYTE_0 src1_sel:DWORD
	s_mov_b32 s16, 0
	s_and_saveexec_b32 s73, s23
	s_xor_b32 s23, exec_lo, s73
	s_cbranch_execz .LBB4_9098
; %bb.8782:                             ;   in Loop: Header=BB4_8450 Depth=3
	v_cmp_eq_u16_sdwa s74, v77, v118 src0_sel:BYTE_0 src1_sel:DWORD
	s_mov_b32 s16, -1
	s_and_saveexec_b32 s73, s74
; %bb.8783:                             ;   in Loop: Header=BB4_8450 Depth=3
	s_xor_b32 s16, exec_lo, -1
; %bb.8784:                             ;   in Loop: Header=BB4_8450 Depth=3
	s_or_b32 exec_lo, exec_lo, s73
	s_and_b32 s16, s16, exec_lo
	s_or_saveexec_b32 s23, s23
	v_mov_b32_e32 v91, 0x7f800001
	s_xor_b32 exec_lo, exec_lo, s23
	s_cbranch_execnz .LBB4_9099
.LBB4_8785:                             ;   in Loop: Header=BB4_8450 Depth=3
	s_or_b32 exec_lo, exec_lo, s23
	s_and_saveexec_b32 s23, s16
	s_cbranch_execz .LBB4_8787
.LBB4_8786:                             ;   in Loop: Header=BB4_8450 Depth=3
	v_and_b32_e32 v91, 7, v77
	v_lshrrev_b16 v93, 3, v77
	v_lshlrev_b32_e32 v95, 24, v77
	v_ffbh_u32_e32 v92, v91
	v_and_b32_e32 v93, 15, v93
	v_min_u32_e32 v92, 32, v92
	v_cmp_eq_u32_e32 vcc_lo, 0, v93
	v_subrev_nc_u32_e32 v94, 28, v92
	v_sub_nc_u32_e32 v92, 29, v92
	v_lshlrev_b32_e32 v94, v94, v77
	v_cndmask_b32_e32 v92, v93, v92, vcc_lo
	v_and_b32_e32 v93, 0x80000000, v95
	v_and_b32_e32 v94, 7, v94
	v_lshl_add_u32 v92, v92, 23, 0x3b800000
	v_cndmask_b32_e32 v91, v91, v94, vcc_lo
	v_lshlrev_b32_e32 v91, 20, v91
	v_or3_b32 v91, v93, v92, v91
.LBB4_8787:                             ;   in Loop: Header=BB4_8450 Depth=3
	s_or_b32 exec_lo, exec_lo, s23
	v_max_f32_e32 v91, v91, v91
	v_max_f32_e32 v89, v89, v89
	v_max_f32_e32 v89, v89, v91
	s_branch .LBB4_8802
.LBB4_8788:                             ;   in Loop: Header=BB4_8450 Depth=3
	s_and_b32 vcc_lo, exec_lo, s16
	s_cbranch_vccz .LBB4_8802
; %bb.8789:                             ;   in Loop: Header=BB4_8450 Depth=3
	v_cmp_gt_i16_sdwa s23, v78, v117 src0_sel:BYTE_0 src1_sel:DWORD
	s_mov_b32 s16, 0
	s_and_saveexec_b32 s73, s23
	s_xor_b32 s23, exec_lo, s73
	s_cbranch_execz .LBB4_9100
; %bb.8790:                             ;   in Loop: Header=BB4_8450 Depth=3
	v_cmp_eq_u16_sdwa s74, v78, v118 src0_sel:BYTE_0 src1_sel:DWORD
	s_mov_b32 s16, -1
	s_and_saveexec_b32 s73, s74
; %bb.8791:                             ;   in Loop: Header=BB4_8450 Depth=3
	s_xor_b32 s16, exec_lo, -1
; %bb.8792:                             ;   in Loop: Header=BB4_8450 Depth=3
	s_or_b32 exec_lo, exec_lo, s73
	s_and_b32 s16, s16, exec_lo
	s_or_saveexec_b32 s23, s23
	v_mov_b32_e32 v89, 0x7f800001
	s_xor_b32 exec_lo, exec_lo, s23
	s_cbranch_execnz .LBB4_9101
.LBB4_8793:                             ;   in Loop: Header=BB4_8450 Depth=3
	s_or_b32 exec_lo, exec_lo, s23
	s_and_saveexec_b32 s23, s16
	s_cbranch_execz .LBB4_8795
.LBB4_8794:                             ;   in Loop: Header=BB4_8450 Depth=3
	v_and_b32_e32 v89, 7, v78
	v_lshrrev_b16 v92, 3, v78
	v_ffbh_u32_e32 v91, v89
	v_and_b32_e32 v92, 15, v92
	v_min_u32_e32 v91, 32, v91
	v_cmp_eq_u32_e32 vcc_lo, 0, v92
	v_subrev_nc_u32_e32 v93, 28, v91
	v_sub_nc_u32_e32 v91, 29, v91
	v_lshlrev_b32_e32 v93, v93, v78
	v_lshlrev_b32_e32 v78, 24, v78
	v_cndmask_b32_e32 v91, v92, v91, vcc_lo
	v_and_b32_e32 v93, 7, v93
	v_and_b32_e32 v78, 0x80000000, v78
	v_lshl_add_u32 v91, v91, 23, 0x3b800000
	v_cndmask_b32_e32 v89, v89, v93, vcc_lo
	v_lshlrev_b32_e32 v89, 20, v89
	v_or3_b32 v89, v78, v91, v89
.LBB4_8795:                             ;   in Loop: Header=BB4_8450 Depth=3
	s_or_b32 exec_lo, exec_lo, s23
	s_waitcnt vmcnt(6) lgkmcnt(6)
	v_cmp_gt_i16_sdwa s23, v77, v117 src0_sel:BYTE_0 src1_sel:DWORD
	s_mov_b32 s16, 0
	s_and_saveexec_b32 s73, s23
	s_xor_b32 s23, exec_lo, s73
	s_cbranch_execz .LBB4_9102
; %bb.8796:                             ;   in Loop: Header=BB4_8450 Depth=3
	v_cmp_eq_u16_sdwa s74, v77, v118 src0_sel:BYTE_0 src1_sel:DWORD
	s_mov_b32 s16, -1
	s_and_saveexec_b32 s73, s74
; %bb.8797:                             ;   in Loop: Header=BB4_8450 Depth=3
	s_xor_b32 s16, exec_lo, -1
; %bb.8798:                             ;   in Loop: Header=BB4_8450 Depth=3
	s_or_b32 exec_lo, exec_lo, s73
	s_and_b32 s16, s16, exec_lo
	s_or_saveexec_b32 s23, s23
	v_mov_b32_e32 v78, 0x7f800001
	s_xor_b32 exec_lo, exec_lo, s23
	s_cbranch_execnz .LBB4_9103
.LBB4_8799:                             ;   in Loop: Header=BB4_8450 Depth=3
	s_or_b32 exec_lo, exec_lo, s23
	s_and_saveexec_b32 s23, s16
	s_cbranch_execz .LBB4_8801
.LBB4_8800:                             ;   in Loop: Header=BB4_8450 Depth=3
	v_and_b32_e32 v78, 7, v77
	v_lshrrev_b16 v92, 3, v77
	v_ffbh_u32_e32 v91, v78
	v_and_b32_e32 v92, 15, v92
	v_min_u32_e32 v91, 32, v91
	v_cmp_eq_u32_e32 vcc_lo, 0, v92
	v_subrev_nc_u32_e32 v93, 28, v91
	v_sub_nc_u32_e32 v91, 29, v91
	v_lshlrev_b32_e32 v93, v93, v77
	v_lshlrev_b32_e32 v77, 24, v77
	v_cndmask_b32_e32 v91, v92, v91, vcc_lo
	v_and_b32_e32 v93, 7, v93
	v_and_b32_e32 v77, 0x80000000, v77
	v_lshl_add_u32 v91, v91, 23, 0x3b800000
	v_cndmask_b32_e32 v78, v78, v93, vcc_lo
	v_lshlrev_b32_e32 v78, 20, v78
	v_or3_b32 v78, v77, v91, v78
.LBB4_8801:                             ;   in Loop: Header=BB4_8450 Depth=3
	s_or_b32 exec_lo, exec_lo, s23
	v_max_f32_e32 v77, v78, v78
	v_max_f32_e32 v78, v89, v89
	v_min_f32_e32 v89, v78, v77
.LBB4_8802:                             ;   in Loop: Header=BB4_8450 Depth=3
	s_waitcnt vmcnt(6) lgkmcnt(6)
	v_and_b32_e32 v77, 0x7f800000, v89
	v_cmp_ne_u32_e32 vcc_lo, 0x7f800000, v77
	v_mov_b32_e32 v77, 0x80
	s_and_saveexec_b32 s23, vcc_lo
	s_cbranch_execz .LBB4_8810
; %bb.8803:                             ;   in Loop: Header=BB4_8450 Depth=3
	v_mov_b32_e32 v77, 0
	s_mov_b32 s73, exec_lo
	v_cmpx_ne_u32_e32 0, v89
	s_cbranch_execz .LBB4_8809
; %bb.8804:                             ;   in Loop: Header=BB4_8450 Depth=3
	v_bfe_u32 v77, v89, 23, 8
	v_and_b32_e32 v78, 0x7fffff, v89
	v_sub_nc_u32_e32 v91, 0x78, v77
	v_cmp_gt_u32_e32 vcc_lo, 0x79, v77
	v_or_b32_e32 v92, 0x800000, v78
	v_cndmask_b32_e32 v91, 0, v91, vcc_lo
	v_cmp_eq_u32_e32 vcc_lo, 0, v77
	v_add_nc_u32_e32 v77, 0xffffff89, v77
	v_cndmask_b32_e64 v91, v91, 0x77, vcc_lo
	v_cndmask_b32_e32 v78, v92, v78, vcc_lo
	v_cndmask_b32_e64 v77, v77, 0xffffff8a, vcc_lo
	v_lshl_add_u32 v92, 0x100000, v91, -1
	v_lshrrev_b32_e32 v93, v91, v78
	v_lshlrev_b32_e64 v95, v91, 0x80000
	v_add_nc_u32_e32 v91, v91, v77
	v_and_b32_e32 v78, v92, v78
	v_bfe_u32 v94, v93, 20, 1
	v_cmp_eq_u32_e64 s16, v78, v95
	v_add_nc_u32_e32 v92, -1, v94
	v_cndmask_b32_e64 v78, 0, v92, s16
	v_lshrrev_b32_e32 v92, 23, v93
	s_mov_b32 s16, exec_lo
	v_add_nc_u32_e32 v78, v78, v93
	v_xor_b32_e32 v92, 1, v92
	v_and_b32_e32 v77, 0xfffff, v78
	v_add_nc_u32_e32 v78, v77, v93
                                        ; implicit-def: $vgpr77
	v_cmpx_ne_u32_e64 v91, v92
	s_xor_b32 s16, exec_lo, s16
; %bb.8805:                             ;   in Loop: Header=BB4_8450 Depth=3
	v_cmp_lt_u32_e32 vcc_lo, 0xffffff, v78
	v_sub_nc_u32_e32 v77, v91, v92
	v_cndmask_b32_e64 v91, 0, 1, vcc_lo
	v_add_co_ci_u32_e64 v77, null, 0, v77, vcc_lo
	v_lshrrev_b32_e32 v78, v91, v78
; %bb.8806:                             ;   in Loop: Header=BB4_8450 Depth=3
	s_andn2_saveexec_b32 s16, s16
; %bb.8807:                             ;   in Loop: Header=BB4_8450 Depth=3
	v_bfe_u32 v77, v78, 23, 1
; %bb.8808:                             ;   in Loop: Header=BB4_8450 Depth=3
	s_or_b32 exec_lo, exec_lo, s16
	v_lshrrev_b32_e32 v78, 20, v78
	v_cmp_gt_i32_e32 vcc_lo, 16, v77
	v_min_i32_e32 v91, 15, v77
	v_and_b32_sdwa v89, v89, v118 dst_sel:DWORD dst_unused:UNUSED_PAD src0_sel:BYTE_3 src1_sel:DWORD
	v_cndmask_b32_e32 v78, 7, v78, vcc_lo
	v_lshlrev_b32_e32 v91, 3, v91
	v_and_b32_e32 v92, 7, v78
	v_or_b32_e32 v77, v77, v78
	v_or3_b32 v78, v91, v89, v92
	v_cmp_ne_u32_e32 vcc_lo, 0, v77
	v_cndmask_b32_e32 v77, 0, v78, vcc_lo
.LBB4_8809:                             ;   in Loop: Header=BB4_8450 Depth=3
	s_or_b32 exec_lo, exec_lo, s73
.LBB4_8810:                             ;   in Loop: Header=BB4_8450 Depth=3
	s_or_b32 exec_lo, exec_lo, s23
	s_andn2_b32 vcc_lo, exec_lo, s19
	s_mov_b32 s16, -1
                                        ; implicit-def: $vgpr78
	s_cbranch_vccnz .LBB4_8824
; %bb.8811:                             ;   in Loop: Header=BB4_8450 Depth=3
	v_cmp_gt_i16_sdwa s23, v98, v117 src0_sel:BYTE_0 src1_sel:DWORD
	s_mov_b32 s16, 0
	s_and_saveexec_b32 s73, s23
	s_xor_b32 s23, exec_lo, s73
	s_cbranch_execz .LBB4_9104
; %bb.8812:                             ;   in Loop: Header=BB4_8450 Depth=3
	v_cmp_eq_u16_sdwa s74, v98, v118 src0_sel:BYTE_0 src1_sel:DWORD
	s_mov_b32 s16, -1
	s_and_saveexec_b32 s73, s74
; %bb.8813:                             ;   in Loop: Header=BB4_8450 Depth=3
	s_xor_b32 s16, exec_lo, -1
; %bb.8814:                             ;   in Loop: Header=BB4_8450 Depth=3
	s_or_b32 exec_lo, exec_lo, s73
	s_and_b32 s16, s16, exec_lo
	s_or_saveexec_b32 s23, s23
	v_mov_b32_e32 v78, 0x7f800001
	s_xor_b32 exec_lo, exec_lo, s23
	s_cbranch_execnz .LBB4_9105
.LBB4_8815:                             ;   in Loop: Header=BB4_8450 Depth=3
	s_or_b32 exec_lo, exec_lo, s23
	s_and_saveexec_b32 s23, s16
	s_cbranch_execz .LBB4_8817
.LBB4_8816:                             ;   in Loop: Header=BB4_8450 Depth=3
	v_and_b32_e32 v78, 7, v98
	v_lshrrev_b16 v91, 3, v98
	v_lshlrev_b32_e32 v93, 24, v98
	v_ffbh_u32_e32 v89, v78
	v_and_b32_e32 v91, 15, v91
	v_min_u32_e32 v89, 32, v89
	v_cmp_eq_u32_e32 vcc_lo, 0, v91
	v_subrev_nc_u32_e32 v92, 28, v89
	v_sub_nc_u32_e32 v89, 29, v89
	v_lshlrev_b32_e32 v92, v92, v98
	v_cndmask_b32_e32 v89, v91, v89, vcc_lo
	v_and_b32_e32 v91, 0x80000000, v93
	v_and_b32_e32 v92, 7, v92
	v_lshl_add_u32 v89, v89, 23, 0x3b800000
	v_cndmask_b32_e32 v78, v78, v92, vcc_lo
	v_lshlrev_b32_e32 v78, 20, v78
	v_or3_b32 v78, v91, v89, v78
.LBB4_8817:                             ;   in Loop: Header=BB4_8450 Depth=3
	s_or_b32 exec_lo, exec_lo, s23
	s_waitcnt vmcnt(5) lgkmcnt(5)
	v_cmp_gt_i16_sdwa s23, v97, v117 src0_sel:BYTE_0 src1_sel:DWORD
	s_mov_b32 s16, 0
	s_and_saveexec_b32 s73, s23
	s_xor_b32 s23, exec_lo, s73
	s_cbranch_execz .LBB4_9106
; %bb.8818:                             ;   in Loop: Header=BB4_8450 Depth=3
	v_cmp_eq_u16_sdwa s74, v97, v118 src0_sel:BYTE_0 src1_sel:DWORD
	s_mov_b32 s16, -1
	s_and_saveexec_b32 s73, s74
; %bb.8819:                             ;   in Loop: Header=BB4_8450 Depth=3
	s_xor_b32 s16, exec_lo, -1
; %bb.8820:                             ;   in Loop: Header=BB4_8450 Depth=3
	s_or_b32 exec_lo, exec_lo, s73
	s_and_b32 s16, s16, exec_lo
	s_or_saveexec_b32 s23, s23
	v_mov_b32_e32 v89, 0x7f800001
	s_xor_b32 exec_lo, exec_lo, s23
	s_cbranch_execnz .LBB4_9107
.LBB4_8821:                             ;   in Loop: Header=BB4_8450 Depth=3
	s_or_b32 exec_lo, exec_lo, s23
	s_and_saveexec_b32 s23, s16
	s_cbranch_execz .LBB4_8823
.LBB4_8822:                             ;   in Loop: Header=BB4_8450 Depth=3
	v_and_b32_e32 v89, 7, v97
	v_lshrrev_b16 v92, 3, v97
	v_lshlrev_b32_e32 v94, 24, v97
	v_ffbh_u32_e32 v91, v89
	v_and_b32_e32 v92, 15, v92
	v_min_u32_e32 v91, 32, v91
	v_cmp_eq_u32_e32 vcc_lo, 0, v92
	v_subrev_nc_u32_e32 v93, 28, v91
	v_sub_nc_u32_e32 v91, 29, v91
	v_lshlrev_b32_e32 v93, v93, v97
	v_cndmask_b32_e32 v91, v92, v91, vcc_lo
	v_and_b32_e32 v92, 0x80000000, v94
	v_and_b32_e32 v93, 7, v93
	v_lshl_add_u32 v91, v91, 23, 0x3b800000
	v_cndmask_b32_e32 v89, v89, v93, vcc_lo
	v_lshlrev_b32_e32 v89, 20, v89
	v_or3_b32 v89, v92, v91, v89
.LBB4_8823:                             ;   in Loop: Header=BB4_8450 Depth=3
	s_or_b32 exec_lo, exec_lo, s23
	v_max_f32_e32 v89, v89, v89
	v_max_f32_e32 v78, v78, v78
	;; [unrolled: 1-line block ×3, first 2 shown]
	s_branch .LBB4_8838
.LBB4_8824:                             ;   in Loop: Header=BB4_8450 Depth=3
	s_and_b32 vcc_lo, exec_lo, s16
	s_cbranch_vccz .LBB4_8838
; %bb.8825:                             ;   in Loop: Header=BB4_8450 Depth=3
	v_cmp_gt_i16_sdwa s23, v98, v117 src0_sel:BYTE_0 src1_sel:DWORD
	s_mov_b32 s16, 0
	s_and_saveexec_b32 s73, s23
	s_xor_b32 s23, exec_lo, s73
	s_cbranch_execz .LBB4_9108
; %bb.8826:                             ;   in Loop: Header=BB4_8450 Depth=3
	v_cmp_eq_u16_sdwa s74, v98, v118 src0_sel:BYTE_0 src1_sel:DWORD
	s_mov_b32 s16, -1
	s_and_saveexec_b32 s73, s74
; %bb.8827:                             ;   in Loop: Header=BB4_8450 Depth=3
	s_xor_b32 s16, exec_lo, -1
; %bb.8828:                             ;   in Loop: Header=BB4_8450 Depth=3
	s_or_b32 exec_lo, exec_lo, s73
	s_and_b32 s16, s16, exec_lo
	s_or_saveexec_b32 s23, s23
	v_mov_b32_e32 v78, 0x7f800001
	s_xor_b32 exec_lo, exec_lo, s23
	s_cbranch_execnz .LBB4_9109
.LBB4_8829:                             ;   in Loop: Header=BB4_8450 Depth=3
	s_or_b32 exec_lo, exec_lo, s23
	s_and_saveexec_b32 s23, s16
	s_cbranch_execz .LBB4_8831
.LBB4_8830:                             ;   in Loop: Header=BB4_8450 Depth=3
	v_and_b32_e32 v78, 7, v98
	v_lshrrev_b16 v91, 3, v98
	v_ffbh_u32_e32 v89, v78
	v_and_b32_e32 v91, 15, v91
	v_min_u32_e32 v89, 32, v89
	v_cmp_eq_u32_e32 vcc_lo, 0, v91
	v_subrev_nc_u32_e32 v92, 28, v89
	v_sub_nc_u32_e32 v89, 29, v89
	v_lshlrev_b32_e32 v92, v92, v98
	v_lshlrev_b32_e32 v98, 24, v98
	v_cndmask_b32_e32 v89, v91, v89, vcc_lo
	v_and_b32_e32 v92, 7, v92
	v_and_b32_e32 v98, 0x80000000, v98
	v_lshl_add_u32 v89, v89, 23, 0x3b800000
	v_cndmask_b32_e32 v78, v78, v92, vcc_lo
	v_lshlrev_b32_e32 v78, 20, v78
	v_or3_b32 v78, v98, v89, v78
.LBB4_8831:                             ;   in Loop: Header=BB4_8450 Depth=3
	s_or_b32 exec_lo, exec_lo, s23
	s_waitcnt vmcnt(5) lgkmcnt(5)
	v_cmp_gt_i16_sdwa s23, v97, v117 src0_sel:BYTE_0 src1_sel:DWORD
	s_mov_b32 s16, 0
	s_and_saveexec_b32 s73, s23
	s_xor_b32 s23, exec_lo, s73
	s_cbranch_execz .LBB4_9110
; %bb.8832:                             ;   in Loop: Header=BB4_8450 Depth=3
	v_cmp_eq_u16_sdwa s74, v97, v118 src0_sel:BYTE_0 src1_sel:DWORD
	s_mov_b32 s16, -1
	s_and_saveexec_b32 s73, s74
; %bb.8833:                             ;   in Loop: Header=BB4_8450 Depth=3
	s_xor_b32 s16, exec_lo, -1
; %bb.8834:                             ;   in Loop: Header=BB4_8450 Depth=3
	s_or_b32 exec_lo, exec_lo, s73
	s_and_b32 s16, s16, exec_lo
	s_or_saveexec_b32 s23, s23
	v_mov_b32_e32 v98, 0x7f800001
	s_xor_b32 exec_lo, exec_lo, s23
	s_cbranch_execnz .LBB4_9111
.LBB4_8835:                             ;   in Loop: Header=BB4_8450 Depth=3
	s_or_b32 exec_lo, exec_lo, s23
	s_and_saveexec_b32 s23, s16
	s_cbranch_execz .LBB4_8837
.LBB4_8836:                             ;   in Loop: Header=BB4_8450 Depth=3
	v_and_b32_e32 v98, 7, v97
	v_lshrrev_b16 v91, 3, v97
	v_ffbh_u32_e32 v89, v98
	v_and_b32_e32 v91, 15, v91
	v_min_u32_e32 v89, 32, v89
	v_cmp_eq_u32_e32 vcc_lo, 0, v91
	v_subrev_nc_u32_e32 v92, 28, v89
	v_sub_nc_u32_e32 v89, 29, v89
	v_lshlrev_b32_e32 v92, v92, v97
	v_lshlrev_b32_e32 v97, 24, v97
	v_cndmask_b32_e32 v89, v91, v89, vcc_lo
	v_and_b32_e32 v92, 7, v92
	v_and_b32_e32 v97, 0x80000000, v97
	v_lshl_add_u32 v89, v89, 23, 0x3b800000
	v_cndmask_b32_e32 v98, v98, v92, vcc_lo
	v_lshlrev_b32_e32 v98, 20, v98
	v_or3_b32 v98, v97, v89, v98
.LBB4_8837:                             ;   in Loop: Header=BB4_8450 Depth=3
	s_or_b32 exec_lo, exec_lo, s23
	v_max_f32_e32 v97, v98, v98
	v_max_f32_e32 v98, v78, v78
	v_min_f32_e32 v78, v98, v97
.LBB4_8838:                             ;   in Loop: Header=BB4_8450 Depth=3
	s_waitcnt vmcnt(5) lgkmcnt(5)
	v_and_b32_e32 v97, 0x7f800000, v78
	v_cmp_ne_u32_e32 vcc_lo, 0x7f800000, v97
	v_mov_b32_e32 v97, 0x80
	s_and_saveexec_b32 s23, vcc_lo
	s_cbranch_execz .LBB4_8846
; %bb.8839:                             ;   in Loop: Header=BB4_8450 Depth=3
	v_mov_b32_e32 v97, 0
	s_mov_b32 s73, exec_lo
	v_cmpx_ne_u32_e32 0, v78
	s_cbranch_execz .LBB4_8845
; %bb.8840:                             ;   in Loop: Header=BB4_8450 Depth=3
	v_bfe_u32 v97, v78, 23, 8
	v_and_b32_e32 v98, 0x7fffff, v78
	v_sub_nc_u32_e32 v89, 0x78, v97
	v_cmp_gt_u32_e32 vcc_lo, 0x79, v97
	v_or_b32_e32 v91, 0x800000, v98
	v_cndmask_b32_e32 v89, 0, v89, vcc_lo
	v_cmp_eq_u32_e32 vcc_lo, 0, v97
	v_add_nc_u32_e32 v97, 0xffffff89, v97
	v_cndmask_b32_e64 v89, v89, 0x77, vcc_lo
	v_cndmask_b32_e32 v98, v91, v98, vcc_lo
	v_cndmask_b32_e64 v97, v97, 0xffffff8a, vcc_lo
	v_lshl_add_u32 v91, 0x100000, v89, -1
	v_lshrrev_b32_e32 v92, v89, v98
	v_lshlrev_b32_e64 v94, v89, 0x80000
	v_add_nc_u32_e32 v89, v89, v97
	v_and_b32_e32 v98, v91, v98
	v_bfe_u32 v93, v92, 20, 1
	v_cmp_eq_u32_e64 s16, v98, v94
	v_add_nc_u32_e32 v91, -1, v93
	v_cndmask_b32_e64 v98, 0, v91, s16
	v_lshrrev_b32_e32 v91, 23, v92
	s_mov_b32 s16, exec_lo
	v_add_nc_u32_e32 v98, v98, v92
	v_xor_b32_e32 v91, 1, v91
	v_and_b32_e32 v97, 0xfffff, v98
	v_add_nc_u32_e32 v98, v97, v92
                                        ; implicit-def: $vgpr97
	v_cmpx_ne_u32_e64 v89, v91
	s_xor_b32 s16, exec_lo, s16
; %bb.8841:                             ;   in Loop: Header=BB4_8450 Depth=3
	v_cmp_lt_u32_e32 vcc_lo, 0xffffff, v98
	v_sub_nc_u32_e32 v97, v89, v91
	v_cndmask_b32_e64 v89, 0, 1, vcc_lo
	v_add_co_ci_u32_e64 v97, null, 0, v97, vcc_lo
	v_lshrrev_b32_e32 v98, v89, v98
; %bb.8842:                             ;   in Loop: Header=BB4_8450 Depth=3
	s_andn2_saveexec_b32 s16, s16
; %bb.8843:                             ;   in Loop: Header=BB4_8450 Depth=3
	v_bfe_u32 v97, v98, 23, 1
; %bb.8844:                             ;   in Loop: Header=BB4_8450 Depth=3
	s_or_b32 exec_lo, exec_lo, s16
	v_lshrrev_b32_e32 v98, 20, v98
	v_cmp_gt_i32_e32 vcc_lo, 16, v97
	v_min_i32_e32 v89, 15, v97
	v_and_b32_sdwa v78, v78, v118 dst_sel:DWORD dst_unused:UNUSED_PAD src0_sel:BYTE_3 src1_sel:DWORD
	v_cndmask_b32_e32 v98, 7, v98, vcc_lo
	v_lshlrev_b32_e32 v89, 3, v89
	v_and_b32_e32 v91, 7, v98
	v_or_b32_e32 v97, v97, v98
	v_or3_b32 v98, v89, v78, v91
	v_cmp_ne_u32_e32 vcc_lo, 0, v97
	v_cndmask_b32_e32 v97, 0, v98, vcc_lo
.LBB4_8845:                             ;   in Loop: Header=BB4_8450 Depth=3
	s_or_b32 exec_lo, exec_lo, s73
.LBB4_8846:                             ;   in Loop: Header=BB4_8450 Depth=3
	s_or_b32 exec_lo, exec_lo, s23
	s_andn2_b32 vcc_lo, exec_lo, s19
	s_mov_b32 s16, -1
                                        ; implicit-def: $vgpr98
	s_cbranch_vccnz .LBB4_8860
; %bb.8847:                             ;   in Loop: Header=BB4_8450 Depth=3
	v_cmp_gt_i16_sdwa s23, v87, v117 src0_sel:BYTE_0 src1_sel:DWORD
	s_mov_b32 s16, 0
	s_and_saveexec_b32 s73, s23
	s_xor_b32 s23, exec_lo, s73
	s_cbranch_execz .LBB4_9112
; %bb.8848:                             ;   in Loop: Header=BB4_8450 Depth=3
	v_cmp_eq_u16_sdwa s74, v87, v118 src0_sel:BYTE_0 src1_sel:DWORD
	s_mov_b32 s16, -1
	s_and_saveexec_b32 s73, s74
; %bb.8849:                             ;   in Loop: Header=BB4_8450 Depth=3
	s_xor_b32 s16, exec_lo, -1
; %bb.8850:                             ;   in Loop: Header=BB4_8450 Depth=3
	s_or_b32 exec_lo, exec_lo, s73
	s_and_b32 s16, s16, exec_lo
	s_or_saveexec_b32 s23, s23
	v_mov_b32_e32 v98, 0x7f800001
	s_xor_b32 exec_lo, exec_lo, s23
	s_cbranch_execnz .LBB4_9113
.LBB4_8851:                             ;   in Loop: Header=BB4_8450 Depth=3
	s_or_b32 exec_lo, exec_lo, s23
	s_and_saveexec_b32 s23, s16
	s_cbranch_execz .LBB4_8853
.LBB4_8852:                             ;   in Loop: Header=BB4_8450 Depth=3
	v_and_b32_e32 v98, 7, v87
	v_lshrrev_b16 v89, 3, v87
	v_lshlrev_b32_e32 v92, 24, v87
	v_ffbh_u32_e32 v78, v98
	v_and_b32_e32 v89, 15, v89
	v_min_u32_e32 v78, 32, v78
	v_cmp_eq_u32_e32 vcc_lo, 0, v89
	v_subrev_nc_u32_e32 v91, 28, v78
	v_sub_nc_u32_e32 v78, 29, v78
	v_lshlrev_b32_e32 v91, v91, v87
	v_cndmask_b32_e32 v78, v89, v78, vcc_lo
	v_and_b32_e32 v89, 0x80000000, v92
	v_and_b32_e32 v91, 7, v91
	v_lshl_add_u32 v78, v78, 23, 0x3b800000
	v_cndmask_b32_e32 v98, v98, v91, vcc_lo
	v_lshlrev_b32_e32 v98, 20, v98
	v_or3_b32 v98, v89, v78, v98
.LBB4_8853:                             ;   in Loop: Header=BB4_8450 Depth=3
	s_or_b32 exec_lo, exec_lo, s23
	s_waitcnt vmcnt(4) lgkmcnt(4)
	v_cmp_gt_i16_sdwa s23, v86, v117 src0_sel:BYTE_0 src1_sel:DWORD
	s_mov_b32 s16, 0
	s_and_saveexec_b32 s73, s23
	s_xor_b32 s23, exec_lo, s73
	s_cbranch_execz .LBB4_9114
; %bb.8854:                             ;   in Loop: Header=BB4_8450 Depth=3
	v_cmp_eq_u16_sdwa s74, v86, v118 src0_sel:BYTE_0 src1_sel:DWORD
	s_mov_b32 s16, -1
	s_and_saveexec_b32 s73, s74
; %bb.8855:                             ;   in Loop: Header=BB4_8450 Depth=3
	s_xor_b32 s16, exec_lo, -1
; %bb.8856:                             ;   in Loop: Header=BB4_8450 Depth=3
	s_or_b32 exec_lo, exec_lo, s73
	s_and_b32 s16, s16, exec_lo
	s_or_saveexec_b32 s23, s23
	v_mov_b32_e32 v78, 0x7f800001
	s_xor_b32 exec_lo, exec_lo, s23
	s_cbranch_execnz .LBB4_9115
.LBB4_8857:                             ;   in Loop: Header=BB4_8450 Depth=3
	s_or_b32 exec_lo, exec_lo, s23
	s_and_saveexec_b32 s23, s16
	s_cbranch_execz .LBB4_8859
.LBB4_8858:                             ;   in Loop: Header=BB4_8450 Depth=3
	v_and_b32_e32 v78, 7, v86
	v_lshrrev_b16 v91, 3, v86
	v_lshlrev_b32_e32 v93, 24, v86
	v_ffbh_u32_e32 v89, v78
	v_and_b32_e32 v91, 15, v91
	v_min_u32_e32 v89, 32, v89
	v_cmp_eq_u32_e32 vcc_lo, 0, v91
	v_subrev_nc_u32_e32 v92, 28, v89
	v_sub_nc_u32_e32 v89, 29, v89
	v_lshlrev_b32_e32 v92, v92, v86
	v_cndmask_b32_e32 v89, v91, v89, vcc_lo
	v_and_b32_e32 v91, 0x80000000, v93
	v_and_b32_e32 v92, 7, v92
	v_lshl_add_u32 v89, v89, 23, 0x3b800000
	v_cndmask_b32_e32 v78, v78, v92, vcc_lo
	v_lshlrev_b32_e32 v78, 20, v78
	v_or3_b32 v78, v91, v89, v78
.LBB4_8859:                             ;   in Loop: Header=BB4_8450 Depth=3
	s_or_b32 exec_lo, exec_lo, s23
	v_max_f32_e32 v78, v78, v78
	v_max_f32_e32 v98, v98, v98
	;; [unrolled: 1-line block ×3, first 2 shown]
	s_branch .LBB4_8874
.LBB4_8860:                             ;   in Loop: Header=BB4_8450 Depth=3
	s_and_b32 vcc_lo, exec_lo, s16
	s_cbranch_vccz .LBB4_8874
; %bb.8861:                             ;   in Loop: Header=BB4_8450 Depth=3
	v_cmp_gt_i16_sdwa s23, v87, v117 src0_sel:BYTE_0 src1_sel:DWORD
	s_mov_b32 s16, 0
	s_and_saveexec_b32 s73, s23
	s_xor_b32 s23, exec_lo, s73
	s_cbranch_execz .LBB4_9116
; %bb.8862:                             ;   in Loop: Header=BB4_8450 Depth=3
	v_cmp_eq_u16_sdwa s74, v87, v118 src0_sel:BYTE_0 src1_sel:DWORD
	s_mov_b32 s16, -1
	s_and_saveexec_b32 s73, s74
; %bb.8863:                             ;   in Loop: Header=BB4_8450 Depth=3
	s_xor_b32 s16, exec_lo, -1
; %bb.8864:                             ;   in Loop: Header=BB4_8450 Depth=3
	s_or_b32 exec_lo, exec_lo, s73
	s_and_b32 s16, s16, exec_lo
	s_or_saveexec_b32 s23, s23
	v_mov_b32_e32 v98, 0x7f800001
	s_xor_b32 exec_lo, exec_lo, s23
	s_cbranch_execnz .LBB4_9117
.LBB4_8865:                             ;   in Loop: Header=BB4_8450 Depth=3
	s_or_b32 exec_lo, exec_lo, s23
	s_and_saveexec_b32 s23, s16
	s_cbranch_execz .LBB4_8867
.LBB4_8866:                             ;   in Loop: Header=BB4_8450 Depth=3
	v_and_b32_e32 v98, 7, v87
	v_lshrrev_b16 v89, 3, v87
	v_ffbh_u32_e32 v78, v98
	v_and_b32_e32 v89, 15, v89
	v_min_u32_e32 v78, 32, v78
	v_cmp_eq_u32_e32 vcc_lo, 0, v89
	v_subrev_nc_u32_e32 v91, 28, v78
	v_sub_nc_u32_e32 v78, 29, v78
	v_lshlrev_b32_e32 v91, v91, v87
	v_lshlrev_b32_e32 v87, 24, v87
	v_cndmask_b32_e32 v78, v89, v78, vcc_lo
	v_and_b32_e32 v91, 7, v91
	v_and_b32_e32 v87, 0x80000000, v87
	v_lshl_add_u32 v78, v78, 23, 0x3b800000
	v_cndmask_b32_e32 v98, v98, v91, vcc_lo
	v_lshlrev_b32_e32 v98, 20, v98
	v_or3_b32 v98, v87, v78, v98
.LBB4_8867:                             ;   in Loop: Header=BB4_8450 Depth=3
	s_or_b32 exec_lo, exec_lo, s23
	s_waitcnt vmcnt(4) lgkmcnt(4)
	v_cmp_gt_i16_sdwa s23, v86, v117 src0_sel:BYTE_0 src1_sel:DWORD
	s_mov_b32 s16, 0
	s_and_saveexec_b32 s73, s23
	s_xor_b32 s23, exec_lo, s73
	s_cbranch_execz .LBB4_9118
; %bb.8868:                             ;   in Loop: Header=BB4_8450 Depth=3
	v_cmp_eq_u16_sdwa s74, v86, v118 src0_sel:BYTE_0 src1_sel:DWORD
	s_mov_b32 s16, -1
	s_and_saveexec_b32 s73, s74
; %bb.8869:                             ;   in Loop: Header=BB4_8450 Depth=3
	s_xor_b32 s16, exec_lo, -1
; %bb.8870:                             ;   in Loop: Header=BB4_8450 Depth=3
	s_or_b32 exec_lo, exec_lo, s73
	s_and_b32 s16, s16, exec_lo
	s_or_saveexec_b32 s23, s23
	v_mov_b32_e32 v87, 0x7f800001
	s_xor_b32 exec_lo, exec_lo, s23
	s_cbranch_execnz .LBB4_9119
.LBB4_8871:                             ;   in Loop: Header=BB4_8450 Depth=3
	s_or_b32 exec_lo, exec_lo, s23
	s_and_saveexec_b32 s23, s16
	s_cbranch_execz .LBB4_8873
.LBB4_8872:                             ;   in Loop: Header=BB4_8450 Depth=3
	v_and_b32_e32 v87, 7, v86
	v_lshrrev_b16 v89, 3, v86
	v_ffbh_u32_e32 v78, v87
	v_and_b32_e32 v89, 15, v89
	v_min_u32_e32 v78, 32, v78
	v_cmp_eq_u32_e32 vcc_lo, 0, v89
	v_subrev_nc_u32_e32 v91, 28, v78
	v_sub_nc_u32_e32 v78, 29, v78
	v_lshlrev_b32_e32 v91, v91, v86
	v_lshlrev_b32_e32 v86, 24, v86
	v_cndmask_b32_e32 v78, v89, v78, vcc_lo
	v_and_b32_e32 v91, 7, v91
	v_and_b32_e32 v86, 0x80000000, v86
	v_lshl_add_u32 v78, v78, 23, 0x3b800000
	v_cndmask_b32_e32 v87, v87, v91, vcc_lo
	v_lshlrev_b32_e32 v87, 20, v87
	v_or3_b32 v87, v86, v78, v87
.LBB4_8873:                             ;   in Loop: Header=BB4_8450 Depth=3
	s_or_b32 exec_lo, exec_lo, s23
	v_max_f32_e32 v86, v87, v87
	v_max_f32_e32 v87, v98, v98
	v_min_f32_e32 v98, v87, v86
.LBB4_8874:                             ;   in Loop: Header=BB4_8450 Depth=3
	s_waitcnt vmcnt(4) lgkmcnt(4)
	v_and_b32_e32 v86, 0x7f800000, v98
	v_cmp_ne_u32_e32 vcc_lo, 0x7f800000, v86
	v_mov_b32_e32 v86, 0x80
	s_and_saveexec_b32 s23, vcc_lo
	s_cbranch_execz .LBB4_8882
; %bb.8875:                             ;   in Loop: Header=BB4_8450 Depth=3
	v_mov_b32_e32 v86, 0
	s_mov_b32 s73, exec_lo
	v_cmpx_ne_u32_e32 0, v98
	s_cbranch_execz .LBB4_8881
; %bb.8876:                             ;   in Loop: Header=BB4_8450 Depth=3
	v_bfe_u32 v86, v98, 23, 8
	v_and_b32_e32 v87, 0x7fffff, v98
	v_sub_nc_u32_e32 v78, 0x78, v86
	v_cmp_gt_u32_e32 vcc_lo, 0x79, v86
	v_or_b32_e32 v89, 0x800000, v87
	v_cndmask_b32_e32 v78, 0, v78, vcc_lo
	v_cmp_eq_u32_e32 vcc_lo, 0, v86
	v_add_nc_u32_e32 v86, 0xffffff89, v86
	v_cndmask_b32_e64 v78, v78, 0x77, vcc_lo
	v_cndmask_b32_e32 v87, v89, v87, vcc_lo
	v_cndmask_b32_e64 v86, v86, 0xffffff8a, vcc_lo
	v_lshl_add_u32 v89, 0x100000, v78, -1
	v_lshrrev_b32_e32 v91, v78, v87
	v_lshlrev_b32_e64 v93, v78, 0x80000
	v_add_nc_u32_e32 v78, v78, v86
	v_and_b32_e32 v87, v89, v87
	v_bfe_u32 v92, v91, 20, 1
	v_cmp_eq_u32_e64 s16, v87, v93
	v_add_nc_u32_e32 v89, -1, v92
	v_cndmask_b32_e64 v87, 0, v89, s16
	v_lshrrev_b32_e32 v89, 23, v91
	s_mov_b32 s16, exec_lo
	v_add_nc_u32_e32 v87, v87, v91
	v_xor_b32_e32 v89, 1, v89
	v_and_b32_e32 v86, 0xfffff, v87
	v_add_nc_u32_e32 v87, v86, v91
                                        ; implicit-def: $vgpr86
	v_cmpx_ne_u32_e64 v78, v89
	s_xor_b32 s16, exec_lo, s16
; %bb.8877:                             ;   in Loop: Header=BB4_8450 Depth=3
	v_cmp_lt_u32_e32 vcc_lo, 0xffffff, v87
	v_sub_nc_u32_e32 v86, v78, v89
	v_cndmask_b32_e64 v78, 0, 1, vcc_lo
	v_add_co_ci_u32_e64 v86, null, 0, v86, vcc_lo
	v_lshrrev_b32_e32 v87, v78, v87
; %bb.8878:                             ;   in Loop: Header=BB4_8450 Depth=3
	s_andn2_saveexec_b32 s16, s16
; %bb.8879:                             ;   in Loop: Header=BB4_8450 Depth=3
	v_bfe_u32 v86, v87, 23, 1
; %bb.8880:                             ;   in Loop: Header=BB4_8450 Depth=3
	s_or_b32 exec_lo, exec_lo, s16
	v_lshrrev_b32_e32 v87, 20, v87
	v_cmp_gt_i32_e32 vcc_lo, 16, v86
	v_min_i32_e32 v78, 15, v86
	v_and_b32_sdwa v98, v98, v118 dst_sel:DWORD dst_unused:UNUSED_PAD src0_sel:BYTE_3 src1_sel:DWORD
	v_cndmask_b32_e32 v87, 7, v87, vcc_lo
	v_lshlrev_b32_e32 v78, 3, v78
	v_and_b32_e32 v89, 7, v87
	v_or_b32_e32 v86, v86, v87
	v_or3_b32 v87, v78, v98, v89
	v_cmp_ne_u32_e32 vcc_lo, 0, v86
	v_cndmask_b32_e32 v86, 0, v87, vcc_lo
.LBB4_8881:                             ;   in Loop: Header=BB4_8450 Depth=3
	s_or_b32 exec_lo, exec_lo, s73
.LBB4_8882:                             ;   in Loop: Header=BB4_8450 Depth=3
	s_or_b32 exec_lo, exec_lo, s23
	s_andn2_b32 vcc_lo, exec_lo, s19
	s_mov_b32 s16, -1
                                        ; implicit-def: $vgpr87
	s_cbranch_vccnz .LBB4_8896
; %bb.8883:                             ;   in Loop: Header=BB4_8450 Depth=3
	v_cmp_gt_i16_sdwa s23, v84, v117 src0_sel:BYTE_0 src1_sel:DWORD
	s_mov_b32 s16, 0
	s_and_saveexec_b32 s73, s23
	s_xor_b32 s23, exec_lo, s73
	s_cbranch_execz .LBB4_9120
; %bb.8884:                             ;   in Loop: Header=BB4_8450 Depth=3
	v_cmp_eq_u16_sdwa s74, v84, v118 src0_sel:BYTE_0 src1_sel:DWORD
	s_mov_b32 s16, -1
	s_and_saveexec_b32 s73, s74
; %bb.8885:                             ;   in Loop: Header=BB4_8450 Depth=3
	s_xor_b32 s16, exec_lo, -1
; %bb.8886:                             ;   in Loop: Header=BB4_8450 Depth=3
	s_or_b32 exec_lo, exec_lo, s73
	s_and_b32 s16, s16, exec_lo
	s_or_saveexec_b32 s23, s23
	v_mov_b32_e32 v87, 0x7f800001
	s_xor_b32 exec_lo, exec_lo, s23
	s_cbranch_execnz .LBB4_9121
.LBB4_8887:                             ;   in Loop: Header=BB4_8450 Depth=3
	s_or_b32 exec_lo, exec_lo, s23
	s_and_saveexec_b32 s23, s16
	s_cbranch_execz .LBB4_8889
.LBB4_8888:                             ;   in Loop: Header=BB4_8450 Depth=3
	v_and_b32_e32 v87, 7, v84
	v_lshrrev_b16 v78, 3, v84
	v_lshlrev_b32_e32 v91, 24, v84
	v_ffbh_u32_e32 v98, v87
	v_and_b32_e32 v78, 15, v78
	v_min_u32_e32 v98, 32, v98
	v_cmp_eq_u32_e32 vcc_lo, 0, v78
	v_subrev_nc_u32_e32 v89, 28, v98
	v_sub_nc_u32_e32 v98, 29, v98
	v_lshlrev_b32_e32 v89, v89, v84
	v_cndmask_b32_e32 v98, v78, v98, vcc_lo
	v_and_b32_e32 v78, 0x80000000, v91
	v_and_b32_e32 v89, 7, v89
	v_lshl_add_u32 v98, v98, 23, 0x3b800000
	v_cndmask_b32_e32 v87, v87, v89, vcc_lo
	v_lshlrev_b32_e32 v87, 20, v87
	v_or3_b32 v87, v78, v98, v87
.LBB4_8889:                             ;   in Loop: Header=BB4_8450 Depth=3
	s_or_b32 exec_lo, exec_lo, s23
	s_waitcnt vmcnt(3) lgkmcnt(3)
	v_cmp_gt_i16_sdwa s23, v83, v117 src0_sel:BYTE_0 src1_sel:DWORD
	s_mov_b32 s16, 0
	s_and_saveexec_b32 s73, s23
	s_xor_b32 s23, exec_lo, s73
	s_cbranch_execz .LBB4_9122
; %bb.8890:                             ;   in Loop: Header=BB4_8450 Depth=3
	v_cmp_eq_u16_sdwa s74, v83, v118 src0_sel:BYTE_0 src1_sel:DWORD
	s_mov_b32 s16, -1
	s_and_saveexec_b32 s73, s74
; %bb.8891:                             ;   in Loop: Header=BB4_8450 Depth=3
	s_xor_b32 s16, exec_lo, -1
; %bb.8892:                             ;   in Loop: Header=BB4_8450 Depth=3
	s_or_b32 exec_lo, exec_lo, s73
	s_and_b32 s16, s16, exec_lo
	s_or_saveexec_b32 s23, s23
	v_mov_b32_e32 v98, 0x7f800001
	s_xor_b32 exec_lo, exec_lo, s23
	s_cbranch_execnz .LBB4_9123
.LBB4_8893:                             ;   in Loop: Header=BB4_8450 Depth=3
	s_or_b32 exec_lo, exec_lo, s23
	s_and_saveexec_b32 s23, s16
	s_cbranch_execz .LBB4_8895
.LBB4_8894:                             ;   in Loop: Header=BB4_8450 Depth=3
	v_and_b32_e32 v98, 7, v83
	v_lshrrev_b16 v89, 3, v83
	v_lshlrev_b32_e32 v92, 24, v83
	v_ffbh_u32_e32 v78, v98
	v_and_b32_e32 v89, 15, v89
	v_min_u32_e32 v78, 32, v78
	v_cmp_eq_u32_e32 vcc_lo, 0, v89
	v_subrev_nc_u32_e32 v91, 28, v78
	v_sub_nc_u32_e32 v78, 29, v78
	v_lshlrev_b32_e32 v91, v91, v83
	v_cndmask_b32_e32 v78, v89, v78, vcc_lo
	v_and_b32_e32 v89, 0x80000000, v92
	v_and_b32_e32 v91, 7, v91
	v_lshl_add_u32 v78, v78, 23, 0x3b800000
	v_cndmask_b32_e32 v98, v98, v91, vcc_lo
	v_lshlrev_b32_e32 v98, 20, v98
	v_or3_b32 v98, v89, v78, v98
.LBB4_8895:                             ;   in Loop: Header=BB4_8450 Depth=3
	s_or_b32 exec_lo, exec_lo, s23
	v_max_f32_e32 v98, v98, v98
	v_max_f32_e32 v87, v87, v87
	;; [unrolled: 1-line block ×3, first 2 shown]
	s_branch .LBB4_8910
.LBB4_8896:                             ;   in Loop: Header=BB4_8450 Depth=3
	s_and_b32 vcc_lo, exec_lo, s16
	s_cbranch_vccz .LBB4_8910
; %bb.8897:                             ;   in Loop: Header=BB4_8450 Depth=3
	v_cmp_gt_i16_sdwa s23, v84, v117 src0_sel:BYTE_0 src1_sel:DWORD
	s_mov_b32 s16, 0
	s_and_saveexec_b32 s73, s23
	s_xor_b32 s23, exec_lo, s73
	s_cbranch_execz .LBB4_9124
; %bb.8898:                             ;   in Loop: Header=BB4_8450 Depth=3
	v_cmp_eq_u16_sdwa s74, v84, v118 src0_sel:BYTE_0 src1_sel:DWORD
	s_mov_b32 s16, -1
	s_and_saveexec_b32 s73, s74
; %bb.8899:                             ;   in Loop: Header=BB4_8450 Depth=3
	s_xor_b32 s16, exec_lo, -1
; %bb.8900:                             ;   in Loop: Header=BB4_8450 Depth=3
	s_or_b32 exec_lo, exec_lo, s73
	s_and_b32 s16, s16, exec_lo
	s_or_saveexec_b32 s23, s23
	v_mov_b32_e32 v87, 0x7f800001
	s_xor_b32 exec_lo, exec_lo, s23
	s_cbranch_execnz .LBB4_9125
.LBB4_8901:                             ;   in Loop: Header=BB4_8450 Depth=3
	s_or_b32 exec_lo, exec_lo, s23
	s_and_saveexec_b32 s23, s16
	s_cbranch_execz .LBB4_8903
.LBB4_8902:                             ;   in Loop: Header=BB4_8450 Depth=3
	v_and_b32_e32 v87, 7, v84
	v_lshrrev_b16 v78, 3, v84
	v_ffbh_u32_e32 v98, v87
	v_and_b32_e32 v78, 15, v78
	v_min_u32_e32 v98, 32, v98
	v_cmp_eq_u32_e32 vcc_lo, 0, v78
	v_subrev_nc_u32_e32 v89, 28, v98
	v_sub_nc_u32_e32 v98, 29, v98
	v_lshlrev_b32_e32 v89, v89, v84
	v_lshlrev_b32_e32 v84, 24, v84
	v_cndmask_b32_e32 v98, v78, v98, vcc_lo
	v_and_b32_e32 v89, 7, v89
	v_and_b32_e32 v84, 0x80000000, v84
	v_lshl_add_u32 v98, v98, 23, 0x3b800000
	v_cndmask_b32_e32 v87, v87, v89, vcc_lo
	v_lshlrev_b32_e32 v87, 20, v87
	v_or3_b32 v87, v84, v98, v87
.LBB4_8903:                             ;   in Loop: Header=BB4_8450 Depth=3
	s_or_b32 exec_lo, exec_lo, s23
	s_waitcnt vmcnt(3) lgkmcnt(3)
	v_cmp_gt_i16_sdwa s23, v83, v117 src0_sel:BYTE_0 src1_sel:DWORD
	s_mov_b32 s16, 0
	s_and_saveexec_b32 s73, s23
	s_xor_b32 s23, exec_lo, s73
	s_cbranch_execz .LBB4_9126
; %bb.8904:                             ;   in Loop: Header=BB4_8450 Depth=3
	v_cmp_eq_u16_sdwa s74, v83, v118 src0_sel:BYTE_0 src1_sel:DWORD
	s_mov_b32 s16, -1
	s_and_saveexec_b32 s73, s74
; %bb.8905:                             ;   in Loop: Header=BB4_8450 Depth=3
	s_xor_b32 s16, exec_lo, -1
; %bb.8906:                             ;   in Loop: Header=BB4_8450 Depth=3
	s_or_b32 exec_lo, exec_lo, s73
	s_and_b32 s16, s16, exec_lo
	s_or_saveexec_b32 s23, s23
	v_mov_b32_e32 v84, 0x7f800001
	s_xor_b32 exec_lo, exec_lo, s23
	s_cbranch_execnz .LBB4_9127
.LBB4_8907:                             ;   in Loop: Header=BB4_8450 Depth=3
	s_or_b32 exec_lo, exec_lo, s23
	s_and_saveexec_b32 s23, s16
	s_cbranch_execz .LBB4_8909
.LBB4_8908:                             ;   in Loop: Header=BB4_8450 Depth=3
	v_and_b32_e32 v84, 7, v83
	v_lshrrev_b16 v78, 3, v83
	v_ffbh_u32_e32 v98, v84
	v_and_b32_e32 v78, 15, v78
	v_min_u32_e32 v98, 32, v98
	v_cmp_eq_u32_e32 vcc_lo, 0, v78
	v_subrev_nc_u32_e32 v89, 28, v98
	v_sub_nc_u32_e32 v98, 29, v98
	v_lshlrev_b32_e32 v89, v89, v83
	v_lshlrev_b32_e32 v83, 24, v83
	v_cndmask_b32_e32 v98, v78, v98, vcc_lo
	v_and_b32_e32 v89, 7, v89
	v_and_b32_e32 v83, 0x80000000, v83
	v_lshl_add_u32 v98, v98, 23, 0x3b800000
	v_cndmask_b32_e32 v84, v84, v89, vcc_lo
	v_lshlrev_b32_e32 v84, 20, v84
	v_or3_b32 v84, v83, v98, v84
.LBB4_8909:                             ;   in Loop: Header=BB4_8450 Depth=3
	s_or_b32 exec_lo, exec_lo, s23
	v_max_f32_e32 v83, v84, v84
	v_max_f32_e32 v84, v87, v87
	v_min_f32_e32 v87, v84, v83
.LBB4_8910:                             ;   in Loop: Header=BB4_8450 Depth=3
	s_waitcnt vmcnt(3) lgkmcnt(3)
	v_and_b32_e32 v83, 0x7f800000, v87
	v_cmp_ne_u32_e32 vcc_lo, 0x7f800000, v83
	v_mov_b32_e32 v83, 0x80
	s_and_saveexec_b32 s23, vcc_lo
	s_cbranch_execz .LBB4_8918
; %bb.8911:                             ;   in Loop: Header=BB4_8450 Depth=3
	v_mov_b32_e32 v83, 0
	s_mov_b32 s73, exec_lo
	v_cmpx_ne_u32_e32 0, v87
	s_cbranch_execz .LBB4_8917
; %bb.8912:                             ;   in Loop: Header=BB4_8450 Depth=3
	v_bfe_u32 v83, v87, 23, 8
	v_and_b32_e32 v84, 0x7fffff, v87
	v_sub_nc_u32_e32 v98, 0x78, v83
	v_cmp_gt_u32_e32 vcc_lo, 0x79, v83
	v_or_b32_e32 v78, 0x800000, v84
	v_cndmask_b32_e32 v98, 0, v98, vcc_lo
	v_cmp_eq_u32_e32 vcc_lo, 0, v83
	v_add_nc_u32_e32 v83, 0xffffff89, v83
	v_cndmask_b32_e64 v98, v98, 0x77, vcc_lo
	v_cndmask_b32_e32 v84, v78, v84, vcc_lo
	v_cndmask_b32_e64 v83, v83, 0xffffff8a, vcc_lo
	v_lshl_add_u32 v78, 0x100000, v98, -1
	v_lshrrev_b32_e32 v89, v98, v84
	v_lshlrev_b32_e64 v92, v98, 0x80000
	v_add_nc_u32_e32 v98, v98, v83
	v_and_b32_e32 v84, v78, v84
	v_bfe_u32 v91, v89, 20, 1
	v_cmp_eq_u32_e64 s16, v84, v92
	v_add_nc_u32_e32 v78, -1, v91
	v_cndmask_b32_e64 v84, 0, v78, s16
	v_lshrrev_b32_e32 v78, 23, v89
	s_mov_b32 s16, exec_lo
	v_add_nc_u32_e32 v84, v84, v89
	v_xor_b32_e32 v78, 1, v78
	v_and_b32_e32 v83, 0xfffff, v84
	v_add_nc_u32_e32 v84, v83, v89
                                        ; implicit-def: $vgpr83
	v_cmpx_ne_u32_e64 v98, v78
	s_xor_b32 s16, exec_lo, s16
; %bb.8913:                             ;   in Loop: Header=BB4_8450 Depth=3
	v_cmp_lt_u32_e32 vcc_lo, 0xffffff, v84
	v_sub_nc_u32_e32 v83, v98, v78
	v_cndmask_b32_e64 v98, 0, 1, vcc_lo
	v_add_co_ci_u32_e64 v83, null, 0, v83, vcc_lo
	v_lshrrev_b32_e32 v84, v98, v84
; %bb.8914:                             ;   in Loop: Header=BB4_8450 Depth=3
	s_andn2_saveexec_b32 s16, s16
; %bb.8915:                             ;   in Loop: Header=BB4_8450 Depth=3
	v_bfe_u32 v83, v84, 23, 1
; %bb.8916:                             ;   in Loop: Header=BB4_8450 Depth=3
	s_or_b32 exec_lo, exec_lo, s16
	v_lshrrev_b32_e32 v84, 20, v84
	v_cmp_gt_i32_e32 vcc_lo, 16, v83
	v_min_i32_e32 v98, 15, v83
	v_and_b32_sdwa v87, v87, v118 dst_sel:DWORD dst_unused:UNUSED_PAD src0_sel:BYTE_3 src1_sel:DWORD
	v_cndmask_b32_e32 v84, 7, v84, vcc_lo
	v_lshlrev_b32_e32 v98, 3, v98
	v_and_b32_e32 v78, 7, v84
	v_or_b32_e32 v83, v83, v84
	v_or3_b32 v84, v98, v87, v78
	v_cmp_ne_u32_e32 vcc_lo, 0, v83
	v_cndmask_b32_e32 v83, 0, v84, vcc_lo
.LBB4_8917:                             ;   in Loop: Header=BB4_8450 Depth=3
	s_or_b32 exec_lo, exec_lo, s73
.LBB4_8918:                             ;   in Loop: Header=BB4_8450 Depth=3
	s_or_b32 exec_lo, exec_lo, s23
	s_andn2_b32 vcc_lo, exec_lo, s19
	s_mov_b32 s16, -1
                                        ; implicit-def: $vgpr84
	s_cbranch_vccnz .LBB4_8932
; %bb.8919:                             ;   in Loop: Header=BB4_8450 Depth=3
	v_cmp_gt_i16_sdwa s23, v81, v117 src0_sel:BYTE_0 src1_sel:DWORD
	s_mov_b32 s16, 0
	s_and_saveexec_b32 s73, s23
	s_xor_b32 s23, exec_lo, s73
	s_cbranch_execz .LBB4_9128
; %bb.8920:                             ;   in Loop: Header=BB4_8450 Depth=3
	v_cmp_eq_u16_sdwa s74, v81, v118 src0_sel:BYTE_0 src1_sel:DWORD
	s_mov_b32 s16, -1
	s_and_saveexec_b32 s73, s74
; %bb.8921:                             ;   in Loop: Header=BB4_8450 Depth=3
	s_xor_b32 s16, exec_lo, -1
; %bb.8922:                             ;   in Loop: Header=BB4_8450 Depth=3
	s_or_b32 exec_lo, exec_lo, s73
	s_and_b32 s16, s16, exec_lo
	s_or_saveexec_b32 s23, s23
	v_mov_b32_e32 v84, 0x7f800001
	s_xor_b32 exec_lo, exec_lo, s23
	s_cbranch_execnz .LBB4_9129
.LBB4_8923:                             ;   in Loop: Header=BB4_8450 Depth=3
	s_or_b32 exec_lo, exec_lo, s23
	s_and_saveexec_b32 s23, s16
	s_cbranch_execz .LBB4_8925
.LBB4_8924:                             ;   in Loop: Header=BB4_8450 Depth=3
	v_and_b32_e32 v84, 7, v81
	v_lshrrev_b16 v98, 3, v81
	v_lshlrev_b32_e32 v89, 24, v81
	v_ffbh_u32_e32 v87, v84
	v_and_b32_e32 v98, 15, v98
	v_min_u32_e32 v87, 32, v87
	v_cmp_eq_u32_e32 vcc_lo, 0, v98
	v_subrev_nc_u32_e32 v78, 28, v87
	v_sub_nc_u32_e32 v87, 29, v87
	v_lshlrev_b32_e32 v78, v78, v81
	v_cndmask_b32_e32 v87, v98, v87, vcc_lo
	v_and_b32_e32 v98, 0x80000000, v89
	v_and_b32_e32 v78, 7, v78
	v_lshl_add_u32 v87, v87, 23, 0x3b800000
	v_cndmask_b32_e32 v84, v84, v78, vcc_lo
	v_lshlrev_b32_e32 v84, 20, v84
	v_or3_b32 v84, v98, v87, v84
.LBB4_8925:                             ;   in Loop: Header=BB4_8450 Depth=3
	s_or_b32 exec_lo, exec_lo, s23
	s_waitcnt vmcnt(2) lgkmcnt(2)
	v_cmp_gt_i16_sdwa s23, v80, v117 src0_sel:BYTE_0 src1_sel:DWORD
	s_mov_b32 s16, 0
	s_and_saveexec_b32 s73, s23
	s_xor_b32 s23, exec_lo, s73
	s_cbranch_execz .LBB4_9130
; %bb.8926:                             ;   in Loop: Header=BB4_8450 Depth=3
	v_cmp_eq_u16_sdwa s74, v80, v118 src0_sel:BYTE_0 src1_sel:DWORD
	s_mov_b32 s16, -1
	s_and_saveexec_b32 s73, s74
; %bb.8927:                             ;   in Loop: Header=BB4_8450 Depth=3
	s_xor_b32 s16, exec_lo, -1
; %bb.8928:                             ;   in Loop: Header=BB4_8450 Depth=3
	s_or_b32 exec_lo, exec_lo, s73
	s_and_b32 s16, s16, exec_lo
	s_or_saveexec_b32 s23, s23
	v_mov_b32_e32 v87, 0x7f800001
	s_xor_b32 exec_lo, exec_lo, s23
	s_cbranch_execnz .LBB4_9131
.LBB4_8929:                             ;   in Loop: Header=BB4_8450 Depth=3
	s_or_b32 exec_lo, exec_lo, s23
	s_and_saveexec_b32 s23, s16
	s_cbranch_execz .LBB4_8931
.LBB4_8930:                             ;   in Loop: Header=BB4_8450 Depth=3
	v_and_b32_e32 v87, 7, v80
	v_lshrrev_b16 v78, 3, v80
	v_lshlrev_b32_e32 v91, 24, v80
	v_ffbh_u32_e32 v98, v87
	v_and_b32_e32 v78, 15, v78
	v_min_u32_e32 v98, 32, v98
	v_cmp_eq_u32_e32 vcc_lo, 0, v78
	v_subrev_nc_u32_e32 v89, 28, v98
	v_sub_nc_u32_e32 v98, 29, v98
	v_lshlrev_b32_e32 v89, v89, v80
	v_cndmask_b32_e32 v98, v78, v98, vcc_lo
	v_and_b32_e32 v78, 0x80000000, v91
	v_and_b32_e32 v89, 7, v89
	v_lshl_add_u32 v98, v98, 23, 0x3b800000
	v_cndmask_b32_e32 v87, v87, v89, vcc_lo
	v_lshlrev_b32_e32 v87, 20, v87
	v_or3_b32 v87, v78, v98, v87
.LBB4_8931:                             ;   in Loop: Header=BB4_8450 Depth=3
	s_or_b32 exec_lo, exec_lo, s23
	v_max_f32_e32 v87, v87, v87
	v_max_f32_e32 v84, v84, v84
	v_max_f32_e32 v84, v84, v87
	s_branch .LBB4_8946
.LBB4_8932:                             ;   in Loop: Header=BB4_8450 Depth=3
	s_and_b32 vcc_lo, exec_lo, s16
	s_cbranch_vccz .LBB4_8946
; %bb.8933:                             ;   in Loop: Header=BB4_8450 Depth=3
	v_cmp_gt_i16_sdwa s23, v81, v117 src0_sel:BYTE_0 src1_sel:DWORD
	s_mov_b32 s16, 0
	s_and_saveexec_b32 s73, s23
	s_xor_b32 s23, exec_lo, s73
	s_cbranch_execz .LBB4_9132
; %bb.8934:                             ;   in Loop: Header=BB4_8450 Depth=3
	v_cmp_eq_u16_sdwa s74, v81, v118 src0_sel:BYTE_0 src1_sel:DWORD
	s_mov_b32 s16, -1
	s_and_saveexec_b32 s73, s74
; %bb.8935:                             ;   in Loop: Header=BB4_8450 Depth=3
	s_xor_b32 s16, exec_lo, -1
; %bb.8936:                             ;   in Loop: Header=BB4_8450 Depth=3
	s_or_b32 exec_lo, exec_lo, s73
	s_and_b32 s16, s16, exec_lo
	s_or_saveexec_b32 s23, s23
	v_mov_b32_e32 v84, 0x7f800001
	s_xor_b32 exec_lo, exec_lo, s23
	s_cbranch_execnz .LBB4_9133
.LBB4_8937:                             ;   in Loop: Header=BB4_8450 Depth=3
	s_or_b32 exec_lo, exec_lo, s23
	s_and_saveexec_b32 s23, s16
	s_cbranch_execz .LBB4_8939
.LBB4_8938:                             ;   in Loop: Header=BB4_8450 Depth=3
	v_and_b32_e32 v84, 7, v81
	v_lshrrev_b16 v98, 3, v81
	v_ffbh_u32_e32 v87, v84
	v_and_b32_e32 v98, 15, v98
	v_min_u32_e32 v87, 32, v87
	v_cmp_eq_u32_e32 vcc_lo, 0, v98
	v_subrev_nc_u32_e32 v78, 28, v87
	v_sub_nc_u32_e32 v87, 29, v87
	v_lshlrev_b32_e32 v78, v78, v81
	v_lshlrev_b32_e32 v81, 24, v81
	v_cndmask_b32_e32 v87, v98, v87, vcc_lo
	v_and_b32_e32 v78, 7, v78
	v_and_b32_e32 v81, 0x80000000, v81
	v_lshl_add_u32 v87, v87, 23, 0x3b800000
	v_cndmask_b32_e32 v84, v84, v78, vcc_lo
	v_lshlrev_b32_e32 v84, 20, v84
	v_or3_b32 v84, v81, v87, v84
.LBB4_8939:                             ;   in Loop: Header=BB4_8450 Depth=3
	s_or_b32 exec_lo, exec_lo, s23
	s_waitcnt vmcnt(2) lgkmcnt(2)
	v_cmp_gt_i16_sdwa s23, v80, v117 src0_sel:BYTE_0 src1_sel:DWORD
	s_mov_b32 s16, 0
	s_and_saveexec_b32 s73, s23
	s_xor_b32 s23, exec_lo, s73
	s_cbranch_execz .LBB4_9134
; %bb.8940:                             ;   in Loop: Header=BB4_8450 Depth=3
	v_cmp_eq_u16_sdwa s74, v80, v118 src0_sel:BYTE_0 src1_sel:DWORD
	s_mov_b32 s16, -1
	s_and_saveexec_b32 s73, s74
; %bb.8941:                             ;   in Loop: Header=BB4_8450 Depth=3
	s_xor_b32 s16, exec_lo, -1
; %bb.8942:                             ;   in Loop: Header=BB4_8450 Depth=3
	s_or_b32 exec_lo, exec_lo, s73
	s_and_b32 s16, s16, exec_lo
	s_or_saveexec_b32 s23, s23
	v_mov_b32_e32 v81, 0x7f800001
	s_xor_b32 exec_lo, exec_lo, s23
	s_cbranch_execnz .LBB4_9135
.LBB4_8943:                             ;   in Loop: Header=BB4_8450 Depth=3
	s_or_b32 exec_lo, exec_lo, s23
	s_and_saveexec_b32 s23, s16
	s_cbranch_execz .LBB4_8945
.LBB4_8944:                             ;   in Loop: Header=BB4_8450 Depth=3
	v_and_b32_e32 v81, 7, v80
	v_lshrrev_b16 v98, 3, v80
	v_ffbh_u32_e32 v87, v81
	v_and_b32_e32 v98, 15, v98
	v_min_u32_e32 v87, 32, v87
	v_cmp_eq_u32_e32 vcc_lo, 0, v98
	v_subrev_nc_u32_e32 v78, 28, v87
	v_sub_nc_u32_e32 v87, 29, v87
	v_lshlrev_b32_e32 v78, v78, v80
	v_lshlrev_b32_e32 v80, 24, v80
	v_cndmask_b32_e32 v87, v98, v87, vcc_lo
	v_and_b32_e32 v78, 7, v78
	v_and_b32_e32 v80, 0x80000000, v80
	v_lshl_add_u32 v87, v87, 23, 0x3b800000
	v_cndmask_b32_e32 v81, v81, v78, vcc_lo
	v_lshlrev_b32_e32 v81, 20, v81
	v_or3_b32 v81, v80, v87, v81
.LBB4_8945:                             ;   in Loop: Header=BB4_8450 Depth=3
	s_or_b32 exec_lo, exec_lo, s23
	v_max_f32_e32 v80, v81, v81
	v_max_f32_e32 v81, v84, v84
	v_min_f32_e32 v84, v81, v80
.LBB4_8946:                             ;   in Loop: Header=BB4_8450 Depth=3
	s_waitcnt vmcnt(2) lgkmcnt(2)
	v_and_b32_e32 v80, 0x7f800000, v84
	v_cmp_ne_u32_e32 vcc_lo, 0x7f800000, v80
	v_mov_b32_e32 v80, 0x80
	s_and_saveexec_b32 s23, vcc_lo
	s_cbranch_execz .LBB4_8954
; %bb.8947:                             ;   in Loop: Header=BB4_8450 Depth=3
	v_mov_b32_e32 v80, 0
	s_mov_b32 s73, exec_lo
	v_cmpx_ne_u32_e32 0, v84
	s_cbranch_execz .LBB4_8953
; %bb.8948:                             ;   in Loop: Header=BB4_8450 Depth=3
	v_bfe_u32 v80, v84, 23, 8
	v_and_b32_e32 v81, 0x7fffff, v84
	v_sub_nc_u32_e32 v87, 0x78, v80
	v_cmp_gt_u32_e32 vcc_lo, 0x79, v80
	v_or_b32_e32 v98, 0x800000, v81
	v_cndmask_b32_e32 v87, 0, v87, vcc_lo
	v_cmp_eq_u32_e32 vcc_lo, 0, v80
	v_add_nc_u32_e32 v80, 0xffffff89, v80
	v_cndmask_b32_e64 v87, v87, 0x77, vcc_lo
	v_cndmask_b32_e32 v81, v98, v81, vcc_lo
	v_cndmask_b32_e64 v80, v80, 0xffffff8a, vcc_lo
	v_lshl_add_u32 v98, 0x100000, v87, -1
	v_lshrrev_b32_e32 v78, v87, v81
	v_lshlrev_b32_e64 v91, v87, 0x80000
	v_add_nc_u32_e32 v87, v87, v80
	v_and_b32_e32 v81, v98, v81
	v_bfe_u32 v89, v78, 20, 1
	v_cmp_eq_u32_e64 s16, v81, v91
	v_add_nc_u32_e32 v98, -1, v89
	v_cndmask_b32_e64 v81, 0, v98, s16
	v_lshrrev_b32_e32 v98, 23, v78
	s_mov_b32 s16, exec_lo
	v_add_nc_u32_e32 v81, v81, v78
	v_xor_b32_e32 v98, 1, v98
	v_and_b32_e32 v80, 0xfffff, v81
	v_add_nc_u32_e32 v81, v80, v78
                                        ; implicit-def: $vgpr80
	v_cmpx_ne_u32_e64 v87, v98
	s_xor_b32 s16, exec_lo, s16
; %bb.8949:                             ;   in Loop: Header=BB4_8450 Depth=3
	v_cmp_lt_u32_e32 vcc_lo, 0xffffff, v81
	v_sub_nc_u32_e32 v80, v87, v98
	v_cndmask_b32_e64 v87, 0, 1, vcc_lo
	v_add_co_ci_u32_e64 v80, null, 0, v80, vcc_lo
	v_lshrrev_b32_e32 v81, v87, v81
; %bb.8950:                             ;   in Loop: Header=BB4_8450 Depth=3
	s_andn2_saveexec_b32 s16, s16
; %bb.8951:                             ;   in Loop: Header=BB4_8450 Depth=3
	v_bfe_u32 v80, v81, 23, 1
; %bb.8952:                             ;   in Loop: Header=BB4_8450 Depth=3
	s_or_b32 exec_lo, exec_lo, s16
	v_lshrrev_b32_e32 v81, 20, v81
	v_cmp_gt_i32_e32 vcc_lo, 16, v80
	v_min_i32_e32 v87, 15, v80
	v_and_b32_sdwa v84, v84, v118 dst_sel:DWORD dst_unused:UNUSED_PAD src0_sel:BYTE_3 src1_sel:DWORD
	v_cndmask_b32_e32 v81, 7, v81, vcc_lo
	v_lshlrev_b32_e32 v87, 3, v87
	v_and_b32_e32 v98, 7, v81
	v_or_b32_e32 v80, v80, v81
	v_or3_b32 v81, v87, v84, v98
	v_cmp_ne_u32_e32 vcc_lo, 0, v80
	v_cndmask_b32_e32 v80, 0, v81, vcc_lo
.LBB4_8953:                             ;   in Loop: Header=BB4_8450 Depth=3
	s_or_b32 exec_lo, exec_lo, s73
.LBB4_8954:                             ;   in Loop: Header=BB4_8450 Depth=3
	s_or_b32 exec_lo, exec_lo, s23
	s_andn2_b32 vcc_lo, exec_lo, s19
	s_mov_b32 s16, -1
                                        ; implicit-def: $vgpr81
	s_cbranch_vccnz .LBB4_8968
; %bb.8955:                             ;   in Loop: Header=BB4_8450 Depth=3
	v_cmp_gt_i16_sdwa s23, v69, v117 src0_sel:BYTE_0 src1_sel:DWORD
	s_mov_b32 s16, 0
	s_and_saveexec_b32 s73, s23
	s_xor_b32 s23, exec_lo, s73
	s_cbranch_execz .LBB4_9136
; %bb.8956:                             ;   in Loop: Header=BB4_8450 Depth=3
	v_cmp_eq_u16_sdwa s74, v69, v118 src0_sel:BYTE_0 src1_sel:DWORD
	s_mov_b32 s16, -1
	s_and_saveexec_b32 s73, s74
; %bb.8957:                             ;   in Loop: Header=BB4_8450 Depth=3
	s_xor_b32 s16, exec_lo, -1
; %bb.8958:                             ;   in Loop: Header=BB4_8450 Depth=3
	s_or_b32 exec_lo, exec_lo, s73
	s_and_b32 s16, s16, exec_lo
	s_or_saveexec_b32 s23, s23
	v_mov_b32_e32 v81, 0x7f800001
	s_xor_b32 exec_lo, exec_lo, s23
	s_cbranch_execnz .LBB4_9137
.LBB4_8959:                             ;   in Loop: Header=BB4_8450 Depth=3
	s_or_b32 exec_lo, exec_lo, s23
	s_and_saveexec_b32 s23, s16
	s_cbranch_execz .LBB4_8961
.LBB4_8960:                             ;   in Loop: Header=BB4_8450 Depth=3
	v_and_b32_e32 v81, 7, v69
	v_lshrrev_b16 v87, 3, v69
	v_lshlrev_b32_e32 v78, 24, v69
	v_ffbh_u32_e32 v84, v81
	v_and_b32_e32 v87, 15, v87
	v_min_u32_e32 v84, 32, v84
	v_cmp_eq_u32_e32 vcc_lo, 0, v87
	v_subrev_nc_u32_e32 v98, 28, v84
	v_sub_nc_u32_e32 v84, 29, v84
	v_lshlrev_b32_e32 v98, v98, v69
	v_cndmask_b32_e32 v84, v87, v84, vcc_lo
	v_and_b32_e32 v87, 0x80000000, v78
	v_and_b32_e32 v98, 7, v98
	v_lshl_add_u32 v84, v84, 23, 0x3b800000
	v_cndmask_b32_e32 v81, v81, v98, vcc_lo
	v_lshlrev_b32_e32 v81, 20, v81
	v_or3_b32 v81, v87, v84, v81
.LBB4_8961:                             ;   in Loop: Header=BB4_8450 Depth=3
	s_or_b32 exec_lo, exec_lo, s23
	s_waitcnt vmcnt(1) lgkmcnt(1)
	v_cmp_gt_i16_sdwa s23, v23, v117 src0_sel:BYTE_0 src1_sel:DWORD
	s_mov_b32 s16, 0
	s_and_saveexec_b32 s73, s23
	s_xor_b32 s23, exec_lo, s73
	s_cbranch_execz .LBB4_9138
; %bb.8962:                             ;   in Loop: Header=BB4_8450 Depth=3
	v_cmp_eq_u16_sdwa s74, v23, v118 src0_sel:BYTE_0 src1_sel:DWORD
	s_mov_b32 s16, -1
	s_and_saveexec_b32 s73, s74
; %bb.8963:                             ;   in Loop: Header=BB4_8450 Depth=3
	s_xor_b32 s16, exec_lo, -1
; %bb.8964:                             ;   in Loop: Header=BB4_8450 Depth=3
	s_or_b32 exec_lo, exec_lo, s73
	s_and_b32 s16, s16, exec_lo
	s_or_saveexec_b32 s23, s23
	v_mov_b32_e32 v84, 0x7f800001
	s_xor_b32 exec_lo, exec_lo, s23
	s_cbranch_execnz .LBB4_9139
.LBB4_8965:                             ;   in Loop: Header=BB4_8450 Depth=3
	s_or_b32 exec_lo, exec_lo, s23
	s_and_saveexec_b32 s23, s16
	s_cbranch_execz .LBB4_8967
.LBB4_8966:                             ;   in Loop: Header=BB4_8450 Depth=3
	v_and_b32_e32 v84, 7, v23
	v_lshrrev_b16 v98, 3, v23
	v_lshlrev_b32_e32 v89, 24, v23
	v_ffbh_u32_e32 v87, v84
	v_and_b32_e32 v98, 15, v98
	v_min_u32_e32 v87, 32, v87
	v_cmp_eq_u32_e32 vcc_lo, 0, v98
	v_subrev_nc_u32_e32 v78, 28, v87
	v_sub_nc_u32_e32 v87, 29, v87
	v_lshlrev_b32_e32 v78, v78, v23
	v_cndmask_b32_e32 v87, v98, v87, vcc_lo
	v_and_b32_e32 v98, 0x80000000, v89
	v_and_b32_e32 v78, 7, v78
	v_lshl_add_u32 v87, v87, 23, 0x3b800000
	v_cndmask_b32_e32 v84, v84, v78, vcc_lo
	v_lshlrev_b32_e32 v84, 20, v84
	v_or3_b32 v84, v98, v87, v84
.LBB4_8967:                             ;   in Loop: Header=BB4_8450 Depth=3
	s_or_b32 exec_lo, exec_lo, s23
	v_max_f32_e32 v84, v84, v84
	v_max_f32_e32 v81, v81, v81
	;; [unrolled: 1-line block ×3, first 2 shown]
	s_branch .LBB4_8982
.LBB4_8968:                             ;   in Loop: Header=BB4_8450 Depth=3
	s_and_b32 vcc_lo, exec_lo, s16
	s_cbranch_vccz .LBB4_8982
; %bb.8969:                             ;   in Loop: Header=BB4_8450 Depth=3
	v_cmp_gt_i16_sdwa s23, v69, v117 src0_sel:BYTE_0 src1_sel:DWORD
	s_mov_b32 s16, 0
	s_and_saveexec_b32 s73, s23
	s_xor_b32 s23, exec_lo, s73
	s_cbranch_execz .LBB4_9140
; %bb.8970:                             ;   in Loop: Header=BB4_8450 Depth=3
	v_cmp_eq_u16_sdwa s74, v69, v118 src0_sel:BYTE_0 src1_sel:DWORD
	s_mov_b32 s16, -1
	s_and_saveexec_b32 s73, s74
; %bb.8971:                             ;   in Loop: Header=BB4_8450 Depth=3
	s_xor_b32 s16, exec_lo, -1
; %bb.8972:                             ;   in Loop: Header=BB4_8450 Depth=3
	s_or_b32 exec_lo, exec_lo, s73
	s_and_b32 s16, s16, exec_lo
	s_or_saveexec_b32 s23, s23
	v_mov_b32_e32 v81, 0x7f800001
	s_xor_b32 exec_lo, exec_lo, s23
	s_cbranch_execnz .LBB4_9141
.LBB4_8973:                             ;   in Loop: Header=BB4_8450 Depth=3
	s_or_b32 exec_lo, exec_lo, s23
	s_and_saveexec_b32 s23, s16
	s_cbranch_execz .LBB4_8975
.LBB4_8974:                             ;   in Loop: Header=BB4_8450 Depth=3
	v_and_b32_e32 v81, 7, v69
	v_lshrrev_b16 v87, 3, v69
	v_ffbh_u32_e32 v84, v81
	v_and_b32_e32 v87, 15, v87
	v_min_u32_e32 v84, 32, v84
	v_cmp_eq_u32_e32 vcc_lo, 0, v87
	v_subrev_nc_u32_e32 v98, 28, v84
	v_sub_nc_u32_e32 v84, 29, v84
	v_lshlrev_b32_e32 v98, v98, v69
	v_lshlrev_b32_e32 v69, 24, v69
	v_cndmask_b32_e32 v84, v87, v84, vcc_lo
	v_and_b32_e32 v98, 7, v98
	v_and_b32_e32 v69, 0x80000000, v69
	v_lshl_add_u32 v84, v84, 23, 0x3b800000
	v_cndmask_b32_e32 v81, v81, v98, vcc_lo
	v_lshlrev_b32_e32 v81, 20, v81
	v_or3_b32 v81, v69, v84, v81
.LBB4_8975:                             ;   in Loop: Header=BB4_8450 Depth=3
	s_or_b32 exec_lo, exec_lo, s23
	s_waitcnt vmcnt(1) lgkmcnt(1)
	v_cmp_gt_i16_sdwa s23, v23, v117 src0_sel:BYTE_0 src1_sel:DWORD
	s_mov_b32 s16, 0
	s_and_saveexec_b32 s73, s23
	s_xor_b32 s23, exec_lo, s73
	s_cbranch_execz .LBB4_9142
; %bb.8976:                             ;   in Loop: Header=BB4_8450 Depth=3
	v_cmp_eq_u16_sdwa s74, v23, v118 src0_sel:BYTE_0 src1_sel:DWORD
	s_mov_b32 s16, -1
	s_and_saveexec_b32 s73, s74
; %bb.8977:                             ;   in Loop: Header=BB4_8450 Depth=3
	s_xor_b32 s16, exec_lo, -1
; %bb.8978:                             ;   in Loop: Header=BB4_8450 Depth=3
	s_or_b32 exec_lo, exec_lo, s73
	s_and_b32 s16, s16, exec_lo
	s_or_saveexec_b32 s23, s23
	v_mov_b32_e32 v69, 0x7f800001
	s_xor_b32 exec_lo, exec_lo, s23
	s_cbranch_execnz .LBB4_9143
.LBB4_8979:                             ;   in Loop: Header=BB4_8450 Depth=3
	s_or_b32 exec_lo, exec_lo, s23
	s_and_saveexec_b32 s23, s16
	s_cbranch_execz .LBB4_8981
.LBB4_8980:                             ;   in Loop: Header=BB4_8450 Depth=3
	v_and_b32_e32 v69, 7, v23
	v_lshrrev_b16 v87, 3, v23
	v_ffbh_u32_e32 v84, v69
	v_and_b32_e32 v87, 15, v87
	v_min_u32_e32 v84, 32, v84
	v_cmp_eq_u32_e32 vcc_lo, 0, v87
	v_subrev_nc_u32_e32 v98, 28, v84
	v_sub_nc_u32_e32 v84, 29, v84
	v_lshlrev_b32_e32 v98, v98, v23
	v_lshlrev_b32_e32 v23, 24, v23
	v_cndmask_b32_e32 v84, v87, v84, vcc_lo
	v_and_b32_e32 v98, 7, v98
	v_and_b32_e32 v23, 0x80000000, v23
	v_lshl_add_u32 v84, v84, 23, 0x3b800000
	v_cndmask_b32_e32 v69, v69, v98, vcc_lo
	v_lshlrev_b32_e32 v69, 20, v69
	v_or3_b32 v69, v23, v84, v69
.LBB4_8981:                             ;   in Loop: Header=BB4_8450 Depth=3
	s_or_b32 exec_lo, exec_lo, s23
	v_max_f32_e32 v23, v69, v69
	v_max_f32_e32 v69, v81, v81
	v_min_f32_e32 v81, v69, v23
.LBB4_8982:                             ;   in Loop: Header=BB4_8450 Depth=3
	s_waitcnt vmcnt(1) lgkmcnt(1)
	v_and_b32_e32 v23, 0x7f800000, v81
	v_cmp_ne_u32_e32 vcc_lo, 0x7f800000, v23
	v_mov_b32_e32 v23, 0x80
	s_and_saveexec_b32 s23, vcc_lo
	s_cbranch_execz .LBB4_8990
; %bb.8983:                             ;   in Loop: Header=BB4_8450 Depth=3
	v_mov_b32_e32 v23, 0
	s_mov_b32 s73, exec_lo
	v_cmpx_ne_u32_e32 0, v81
	s_cbranch_execz .LBB4_8989
; %bb.8984:                             ;   in Loop: Header=BB4_8450 Depth=3
	v_bfe_u32 v23, v81, 23, 8
	v_and_b32_e32 v69, 0x7fffff, v81
	v_sub_nc_u32_e32 v84, 0x78, v23
	v_cmp_gt_u32_e32 vcc_lo, 0x79, v23
	v_or_b32_e32 v87, 0x800000, v69
	v_cndmask_b32_e32 v84, 0, v84, vcc_lo
	v_cmp_eq_u32_e32 vcc_lo, 0, v23
	v_add_nc_u32_e32 v23, 0xffffff89, v23
	v_cndmask_b32_e64 v84, v84, 0x77, vcc_lo
	v_cndmask_b32_e32 v69, v87, v69, vcc_lo
	v_cndmask_b32_e64 v23, v23, 0xffffff8a, vcc_lo
	v_lshl_add_u32 v87, 0x100000, v84, -1
	v_lshrrev_b32_e32 v98, v84, v69
	v_lshlrev_b32_e64 v89, v84, 0x80000
	v_add_nc_u32_e32 v84, v84, v23
	v_and_b32_e32 v69, v87, v69
	v_bfe_u32 v78, v98, 20, 1
	v_cmp_eq_u32_e64 s16, v69, v89
	v_add_nc_u32_e32 v87, -1, v78
	v_cndmask_b32_e64 v69, 0, v87, s16
	v_lshrrev_b32_e32 v87, 23, v98
	s_mov_b32 s16, exec_lo
	v_add_nc_u32_e32 v69, v69, v98
	v_xor_b32_e32 v87, 1, v87
	v_and_b32_e32 v23, 0xfffff, v69
	v_add_nc_u32_e32 v69, v23, v98
                                        ; implicit-def: $vgpr23
	v_cmpx_ne_u32_e64 v84, v87
	s_xor_b32 s16, exec_lo, s16
; %bb.8985:                             ;   in Loop: Header=BB4_8450 Depth=3
	v_cmp_lt_u32_e32 vcc_lo, 0xffffff, v69
	v_sub_nc_u32_e32 v23, v84, v87
	v_cndmask_b32_e64 v84, 0, 1, vcc_lo
	v_add_co_ci_u32_e64 v23, null, 0, v23, vcc_lo
	v_lshrrev_b32_e32 v69, v84, v69
; %bb.8986:                             ;   in Loop: Header=BB4_8450 Depth=3
	s_andn2_saveexec_b32 s16, s16
; %bb.8987:                             ;   in Loop: Header=BB4_8450 Depth=3
	v_bfe_u32 v23, v69, 23, 1
; %bb.8988:                             ;   in Loop: Header=BB4_8450 Depth=3
	s_or_b32 exec_lo, exec_lo, s16
	v_lshrrev_b32_e32 v69, 20, v69
	v_cmp_gt_i32_e32 vcc_lo, 16, v23
	v_min_i32_e32 v84, 15, v23
	v_and_b32_sdwa v81, v81, v118 dst_sel:DWORD dst_unused:UNUSED_PAD src0_sel:BYTE_3 src1_sel:DWORD
	v_cndmask_b32_e32 v69, 7, v69, vcc_lo
	v_lshlrev_b32_e32 v84, 3, v84
	v_and_b32_e32 v87, 7, v69
	v_or_b32_e32 v23, v23, v69
	v_or3_b32 v69, v84, v81, v87
	v_cmp_ne_u32_e32 vcc_lo, 0, v23
	v_cndmask_b32_e32 v23, 0, v69, vcc_lo
.LBB4_8989:                             ;   in Loop: Header=BB4_8450 Depth=3
	s_or_b32 exec_lo, exec_lo, s73
.LBB4_8990:                             ;   in Loop: Header=BB4_8450 Depth=3
	s_or_b32 exec_lo, exec_lo, s23
	s_andn2_b32 vcc_lo, exec_lo, s19
	s_mov_b32 s16, -1
                                        ; implicit-def: $vgpr69
	s_cbranch_vccnz .LBB4_9004
; %bb.8991:                             ;   in Loop: Header=BB4_8450 Depth=3
	v_cmp_gt_i16_sdwa s23, v21, v117 src0_sel:BYTE_0 src1_sel:DWORD
	s_mov_b32 s16, 0
	s_and_saveexec_b32 s73, s23
	s_xor_b32 s23, exec_lo, s73
	s_cbranch_execz .LBB4_9144
; %bb.8992:                             ;   in Loop: Header=BB4_8450 Depth=3
	v_cmp_eq_u16_sdwa s74, v21, v118 src0_sel:BYTE_0 src1_sel:DWORD
	s_mov_b32 s16, -1
	s_and_saveexec_b32 s73, s74
; %bb.8993:                             ;   in Loop: Header=BB4_8450 Depth=3
	s_xor_b32 s16, exec_lo, -1
; %bb.8994:                             ;   in Loop: Header=BB4_8450 Depth=3
	s_or_b32 exec_lo, exec_lo, s73
	s_and_b32 s16, s16, exec_lo
	s_or_saveexec_b32 s23, s23
	v_mov_b32_e32 v69, 0x7f800001
	s_xor_b32 exec_lo, exec_lo, s23
	s_cbranch_execnz .LBB4_9145
.LBB4_8995:                             ;   in Loop: Header=BB4_8450 Depth=3
	s_or_b32 exec_lo, exec_lo, s23
	s_and_saveexec_b32 s23, s16
	s_cbranch_execz .LBB4_8997
.LBB4_8996:                             ;   in Loop: Header=BB4_8450 Depth=3
	v_and_b32_e32 v69, 7, v21
	v_lshrrev_b16 v84, 3, v21
	v_lshlrev_b32_e32 v98, 24, v21
	v_ffbh_u32_e32 v81, v69
	v_and_b32_e32 v84, 15, v84
	v_min_u32_e32 v81, 32, v81
	v_cmp_eq_u32_e32 vcc_lo, 0, v84
	v_subrev_nc_u32_e32 v87, 28, v81
	v_sub_nc_u32_e32 v81, 29, v81
	v_lshlrev_b32_e32 v87, v87, v21
	v_cndmask_b32_e32 v81, v84, v81, vcc_lo
	v_and_b32_e32 v84, 0x80000000, v98
	v_and_b32_e32 v87, 7, v87
	v_lshl_add_u32 v81, v81, 23, 0x3b800000
	v_cndmask_b32_e32 v69, v69, v87, vcc_lo
	v_lshlrev_b32_e32 v69, 20, v69
	v_or3_b32 v69, v84, v81, v69
.LBB4_8997:                             ;   in Loop: Header=BB4_8450 Depth=3
	s_or_b32 exec_lo, exec_lo, s23
	s_waitcnt vmcnt(0) lgkmcnt(0)
	v_cmp_gt_i16_sdwa s23, v20, v117 src0_sel:BYTE_0 src1_sel:DWORD
	s_mov_b32 s16, 0
	s_and_saveexec_b32 s73, s23
	s_xor_b32 s23, exec_lo, s73
	s_cbranch_execz .LBB4_9146
; %bb.8998:                             ;   in Loop: Header=BB4_8450 Depth=3
	v_cmp_eq_u16_sdwa s74, v20, v118 src0_sel:BYTE_0 src1_sel:DWORD
	s_mov_b32 s16, -1
	s_and_saveexec_b32 s73, s74
; %bb.8999:                             ;   in Loop: Header=BB4_8450 Depth=3
	s_xor_b32 s16, exec_lo, -1
; %bb.9000:                             ;   in Loop: Header=BB4_8450 Depth=3
	s_or_b32 exec_lo, exec_lo, s73
	s_and_b32 s16, s16, exec_lo
	s_or_saveexec_b32 s23, s23
	v_mov_b32_e32 v81, 0x7f800001
	s_xor_b32 exec_lo, exec_lo, s23
	s_cbranch_execnz .LBB4_9147
.LBB4_9001:                             ;   in Loop: Header=BB4_8450 Depth=3
	s_or_b32 exec_lo, exec_lo, s23
	s_and_saveexec_b32 s23, s16
	s_cbranch_execz .LBB4_9003
.LBB4_9002:                             ;   in Loop: Header=BB4_8450 Depth=3
	v_and_b32_e32 v81, 7, v20
	v_lshrrev_b16 v87, 3, v20
	v_lshlrev_b32_e32 v78, 24, v20
	v_ffbh_u32_e32 v84, v81
	v_and_b32_e32 v87, 15, v87
	v_min_u32_e32 v84, 32, v84
	v_cmp_eq_u32_e32 vcc_lo, 0, v87
	v_subrev_nc_u32_e32 v98, 28, v84
	v_sub_nc_u32_e32 v84, 29, v84
	v_lshlrev_b32_e32 v98, v98, v20
	v_cndmask_b32_e32 v84, v87, v84, vcc_lo
	v_and_b32_e32 v87, 0x80000000, v78
	v_and_b32_e32 v98, 7, v98
	v_lshl_add_u32 v84, v84, 23, 0x3b800000
	v_cndmask_b32_e32 v81, v81, v98, vcc_lo
	v_lshlrev_b32_e32 v81, 20, v81
	v_or3_b32 v81, v87, v84, v81
.LBB4_9003:                             ;   in Loop: Header=BB4_8450 Depth=3
	s_or_b32 exec_lo, exec_lo, s23
	v_max_f32_e32 v81, v81, v81
	v_max_f32_e32 v69, v69, v69
	;; [unrolled: 1-line block ×3, first 2 shown]
	s_branch .LBB4_9018
.LBB4_9004:                             ;   in Loop: Header=BB4_8450 Depth=3
	s_and_b32 vcc_lo, exec_lo, s16
	s_cbranch_vccz .LBB4_9018
; %bb.9005:                             ;   in Loop: Header=BB4_8450 Depth=3
	v_cmp_gt_i16_sdwa s23, v21, v117 src0_sel:BYTE_0 src1_sel:DWORD
	s_mov_b32 s16, 0
	s_and_saveexec_b32 s73, s23
	s_xor_b32 s23, exec_lo, s73
	s_cbranch_execz .LBB4_9148
; %bb.9006:                             ;   in Loop: Header=BB4_8450 Depth=3
	v_cmp_eq_u16_sdwa s74, v21, v118 src0_sel:BYTE_0 src1_sel:DWORD
	s_mov_b32 s16, -1
	s_and_saveexec_b32 s73, s74
; %bb.9007:                             ;   in Loop: Header=BB4_8450 Depth=3
	s_xor_b32 s16, exec_lo, -1
; %bb.9008:                             ;   in Loop: Header=BB4_8450 Depth=3
	s_or_b32 exec_lo, exec_lo, s73
	s_and_b32 s16, s16, exec_lo
	s_or_saveexec_b32 s23, s23
	v_mov_b32_e32 v69, 0x7f800001
	s_xor_b32 exec_lo, exec_lo, s23
	s_cbranch_execnz .LBB4_9149
.LBB4_9009:                             ;   in Loop: Header=BB4_8450 Depth=3
	s_or_b32 exec_lo, exec_lo, s23
	s_and_saveexec_b32 s23, s16
	s_cbranch_execz .LBB4_9011
.LBB4_9010:                             ;   in Loop: Header=BB4_8450 Depth=3
	v_and_b32_e32 v69, 7, v21
	v_lshrrev_b16 v84, 3, v21
	v_ffbh_u32_e32 v81, v69
	v_and_b32_e32 v84, 15, v84
	v_min_u32_e32 v81, 32, v81
	v_cmp_eq_u32_e32 vcc_lo, 0, v84
	v_subrev_nc_u32_e32 v87, 28, v81
	v_sub_nc_u32_e32 v81, 29, v81
	v_lshlrev_b32_e32 v87, v87, v21
	v_lshlrev_b32_e32 v21, 24, v21
	v_cndmask_b32_e32 v81, v84, v81, vcc_lo
	v_and_b32_e32 v87, 7, v87
	v_and_b32_e32 v21, 0x80000000, v21
	v_lshl_add_u32 v81, v81, 23, 0x3b800000
	v_cndmask_b32_e32 v69, v69, v87, vcc_lo
	v_lshlrev_b32_e32 v69, 20, v69
	v_or3_b32 v69, v21, v81, v69
.LBB4_9011:                             ;   in Loop: Header=BB4_8450 Depth=3
	s_or_b32 exec_lo, exec_lo, s23
	s_waitcnt vmcnt(0) lgkmcnt(0)
	v_cmp_gt_i16_sdwa s23, v20, v117 src0_sel:BYTE_0 src1_sel:DWORD
	s_mov_b32 s16, 0
	s_and_saveexec_b32 s73, s23
	s_xor_b32 s23, exec_lo, s73
	s_cbranch_execz .LBB4_9150
; %bb.9012:                             ;   in Loop: Header=BB4_8450 Depth=3
	v_cmp_eq_u16_sdwa s74, v20, v118 src0_sel:BYTE_0 src1_sel:DWORD
	s_mov_b32 s16, -1
	s_and_saveexec_b32 s73, s74
; %bb.9013:                             ;   in Loop: Header=BB4_8450 Depth=3
	s_xor_b32 s16, exec_lo, -1
; %bb.9014:                             ;   in Loop: Header=BB4_8450 Depth=3
	s_or_b32 exec_lo, exec_lo, s73
	s_and_b32 s16, s16, exec_lo
	s_or_saveexec_b32 s23, s23
	v_mov_b32_e32 v21, 0x7f800001
	s_xor_b32 exec_lo, exec_lo, s23
	s_cbranch_execnz .LBB4_9151
.LBB4_9015:                             ;   in Loop: Header=BB4_8450 Depth=3
	s_or_b32 exec_lo, exec_lo, s23
	s_and_saveexec_b32 s23, s16
	s_cbranch_execz .LBB4_9017
.LBB4_9016:                             ;   in Loop: Header=BB4_8450 Depth=3
	v_and_b32_e32 v21, 7, v20
	v_lshrrev_b16 v84, 3, v20
	v_ffbh_u32_e32 v81, v21
	v_and_b32_e32 v84, 15, v84
	v_min_u32_e32 v81, 32, v81
	v_cmp_eq_u32_e32 vcc_lo, 0, v84
	v_subrev_nc_u32_e32 v87, 28, v81
	v_sub_nc_u32_e32 v81, 29, v81
	v_lshlrev_b32_e32 v87, v87, v20
	v_lshlrev_b32_e32 v20, 24, v20
	v_cndmask_b32_e32 v81, v84, v81, vcc_lo
	v_and_b32_e32 v87, 7, v87
	v_and_b32_e32 v20, 0x80000000, v20
	v_lshl_add_u32 v81, v81, 23, 0x3b800000
	v_cndmask_b32_e32 v21, v21, v87, vcc_lo
	v_lshlrev_b32_e32 v21, 20, v21
	v_or3_b32 v21, v20, v81, v21
.LBB4_9017:                             ;   in Loop: Header=BB4_8450 Depth=3
	s_or_b32 exec_lo, exec_lo, s23
	v_max_f32_e32 v20, v21, v21
	v_max_f32_e32 v21, v69, v69
	v_min_f32_e32 v69, v21, v20
.LBB4_9018:                             ;   in Loop: Header=BB4_8450 Depth=3
	s_waitcnt vmcnt(0) lgkmcnt(0)
	v_and_b32_e32 v20, 0x7f800000, v69
	v_cmp_ne_u32_e32 vcc_lo, 0x7f800000, v20
	v_mov_b32_e32 v20, 0x80
	s_and_saveexec_b32 s23, vcc_lo
	s_cbranch_execz .LBB4_8449
; %bb.9019:                             ;   in Loop: Header=BB4_8450 Depth=3
	v_mov_b32_e32 v20, 0
	s_mov_b32 s73, exec_lo
	v_cmpx_ne_u32_e32 0, v69
	s_cbranch_execz .LBB4_8448
; %bb.9020:                             ;   in Loop: Header=BB4_8450 Depth=3
	v_bfe_u32 v20, v69, 23, 8
	v_and_b32_e32 v21, 0x7fffff, v69
	v_sub_nc_u32_e32 v81, 0x78, v20
	v_cmp_gt_u32_e32 vcc_lo, 0x79, v20
	v_or_b32_e32 v84, 0x800000, v21
	v_cndmask_b32_e32 v81, 0, v81, vcc_lo
	v_cmp_eq_u32_e32 vcc_lo, 0, v20
	v_add_nc_u32_e32 v20, 0xffffff89, v20
	v_cndmask_b32_e64 v81, v81, 0x77, vcc_lo
	v_cndmask_b32_e32 v21, v84, v21, vcc_lo
	v_cndmask_b32_e64 v20, v20, 0xffffff8a, vcc_lo
	v_lshl_add_u32 v84, 0x100000, v81, -1
	v_lshrrev_b32_e32 v87, v81, v21
	v_lshlrev_b32_e64 v78, v81, 0x80000
	v_add_nc_u32_e32 v81, v81, v20
	v_and_b32_e32 v21, v84, v21
	v_bfe_u32 v98, v87, 20, 1
	v_cmp_eq_u32_e64 s16, v21, v78
	v_add_nc_u32_e32 v84, -1, v98
	v_cndmask_b32_e64 v21, 0, v84, s16
	v_lshrrev_b32_e32 v84, 23, v87
	s_mov_b32 s16, exec_lo
	v_add_nc_u32_e32 v21, v21, v87
	v_xor_b32_e32 v84, 1, v84
	v_and_b32_e32 v20, 0xfffff, v21
	v_add_nc_u32_e32 v21, v20, v87
                                        ; implicit-def: $vgpr20
	v_cmpx_ne_u32_e64 v81, v84
	s_xor_b32 s16, exec_lo, s16
; %bb.9021:                             ;   in Loop: Header=BB4_8450 Depth=3
	v_cmp_lt_u32_e32 vcc_lo, 0xffffff, v21
	v_sub_nc_u32_e32 v20, v81, v84
	v_cndmask_b32_e64 v81, 0, 1, vcc_lo
	v_add_co_ci_u32_e64 v20, null, 0, v20, vcc_lo
	v_lshrrev_b32_e32 v21, v81, v21
; %bb.9022:                             ;   in Loop: Header=BB4_8450 Depth=3
	s_andn2_saveexec_b32 s16, s16
	s_cbranch_execz .LBB4_8447
; %bb.9023:                             ;   in Loop: Header=BB4_8450 Depth=3
	v_bfe_u32 v20, v21, 23, 1
	s_branch .LBB4_8447
.LBB4_9024:                             ;   in Loop: Header=BB4_8450 Depth=3
	s_or_saveexec_b32 s23, s23
	v_mov_b32_e32 v107, 0x7f800001
	s_xor_b32 exec_lo, exec_lo, s23
	s_cbranch_execz .LBB4_8455
.LBB4_9025:                             ;   in Loop: Header=BB4_8450 Depth=3
	v_cmp_ne_u16_sdwa s73, v106, v2 src0_sel:BYTE_0 src1_sel:DWORD
	v_mov_b32_e32 v107, 0
	s_andn2_b32 s16, s16, exec_lo
	s_and_b32 s73, s73, exec_lo
	s_or_b32 s16, s16, s73
	s_or_b32 exec_lo, exec_lo, s23
	s_and_saveexec_b32 s23, s16
	s_cbranch_execnz .LBB4_8456
	s_branch .LBB4_8457
.LBB4_9026:                             ;   in Loop: Header=BB4_8450 Depth=3
	s_or_saveexec_b32 s23, s23
	v_mov_b32_e32 v108, 0x7f800001
	s_xor_b32 exec_lo, exec_lo, s23
	s_cbranch_execz .LBB4_8461
.LBB4_9027:                             ;   in Loop: Header=BB4_8450 Depth=3
	v_cmp_ne_u16_sdwa s73, v22, v2 src0_sel:BYTE_0 src1_sel:DWORD
	v_mov_b32_e32 v108, 0
	s_andn2_b32 s16, s16, exec_lo
	s_and_b32 s73, s73, exec_lo
	s_or_b32 s16, s16, s73
	s_or_b32 exec_lo, exec_lo, s23
	s_and_saveexec_b32 s23, s16
	s_cbranch_execnz .LBB4_8462
	s_branch .LBB4_8463
.LBB4_9028:                             ;   in Loop: Header=BB4_8450 Depth=3
	s_or_saveexec_b32 s23, s23
	v_mov_b32_e32 v107, 0x7f800001
	s_xor_b32 exec_lo, exec_lo, s23
	s_cbranch_execz .LBB4_8469
.LBB4_9029:                             ;   in Loop: Header=BB4_8450 Depth=3
	v_cmp_ne_u16_sdwa s73, v106, v2 src0_sel:BYTE_0 src1_sel:DWORD
	v_mov_b32_e32 v107, 0
	s_andn2_b32 s16, s16, exec_lo
	s_and_b32 s73, s73, exec_lo
	s_or_b32 s16, s16, s73
	s_or_b32 exec_lo, exec_lo, s23
	s_and_saveexec_b32 s23, s16
	s_cbranch_execnz .LBB4_8470
	s_branch .LBB4_8471
.LBB4_9030:                             ;   in Loop: Header=BB4_8450 Depth=3
	s_or_saveexec_b32 s23, s23
	v_mov_b32_e32 v106, 0x7f800001
	s_xor_b32 exec_lo, exec_lo, s23
	s_cbranch_execz .LBB4_8475
.LBB4_9031:                             ;   in Loop: Header=BB4_8450 Depth=3
	v_cmp_ne_u16_sdwa s73, v22, v2 src0_sel:BYTE_0 src1_sel:DWORD
	v_mov_b32_e32 v106, 0
	s_andn2_b32 s16, s16, exec_lo
	s_and_b32 s73, s73, exec_lo
	s_or_b32 s16, s16, s73
	s_or_b32 exec_lo, exec_lo, s23
	s_and_saveexec_b32 s23, s16
	s_cbranch_execnz .LBB4_8476
	s_branch .LBB4_8477
.LBB4_9032:                             ;   in Loop: Header=BB4_8450 Depth=3
	s_or_saveexec_b32 s23, s23
	v_mov_b32_e32 v106, 0x7f800001
	s_xor_b32 exec_lo, exec_lo, s23
	s_cbranch_execz .LBB4_8491
.LBB4_9033:                             ;   in Loop: Header=BB4_8450 Depth=3
	v_cmp_ne_u16_sdwa s73, v105, v2 src0_sel:BYTE_0 src1_sel:DWORD
	v_mov_b32_e32 v106, 0
	s_andn2_b32 s16, s16, exec_lo
	s_and_b32 s73, s73, exec_lo
	s_or_b32 s16, s16, s73
	s_or_b32 exec_lo, exec_lo, s23
	s_and_saveexec_b32 s23, s16
	s_cbranch_execnz .LBB4_8492
	s_branch .LBB4_8493
.LBB4_9034:                             ;   in Loop: Header=BB4_8450 Depth=3
	s_or_saveexec_b32 s23, s23
	v_mov_b32_e32 v107, 0x7f800001
	s_xor_b32 exec_lo, exec_lo, s23
	s_cbranch_execz .LBB4_8497
.LBB4_9035:                             ;   in Loop: Header=BB4_8450 Depth=3
	v_cmp_ne_u16_sdwa s73, v70, v2 src0_sel:BYTE_0 src1_sel:DWORD
	v_mov_b32_e32 v107, 0
	s_andn2_b32 s16, s16, exec_lo
	s_and_b32 s73, s73, exec_lo
	s_or_b32 s16, s16, s73
	s_or_b32 exec_lo, exec_lo, s23
	s_and_saveexec_b32 s23, s16
	s_cbranch_execnz .LBB4_8498
	s_branch .LBB4_8499
.LBB4_9036:                             ;   in Loop: Header=BB4_8450 Depth=3
	s_or_saveexec_b32 s23, s23
	v_mov_b32_e32 v106, 0x7f800001
	s_xor_b32 exec_lo, exec_lo, s23
	s_cbranch_execz .LBB4_8505
.LBB4_9037:                             ;   in Loop: Header=BB4_8450 Depth=3
	v_cmp_ne_u16_sdwa s73, v105, v2 src0_sel:BYTE_0 src1_sel:DWORD
	v_mov_b32_e32 v106, 0
	s_andn2_b32 s16, s16, exec_lo
	s_and_b32 s73, s73, exec_lo
	s_or_b32 s16, s16, s73
	s_or_b32 exec_lo, exec_lo, s23
	s_and_saveexec_b32 s23, s16
	s_cbranch_execnz .LBB4_8506
	s_branch .LBB4_8507
.LBB4_9038:                             ;   in Loop: Header=BB4_8450 Depth=3
	s_or_saveexec_b32 s23, s23
	v_mov_b32_e32 v105, 0x7f800001
	s_xor_b32 exec_lo, exec_lo, s23
	s_cbranch_execz .LBB4_8511
.LBB4_9039:                             ;   in Loop: Header=BB4_8450 Depth=3
	v_cmp_ne_u16_sdwa s73, v70, v2 src0_sel:BYTE_0 src1_sel:DWORD
	v_mov_b32_e32 v105, 0
	s_andn2_b32 s16, s16, exec_lo
	s_and_b32 s73, s73, exec_lo
	s_or_b32 s16, s16, s73
	s_or_b32 exec_lo, exec_lo, s23
	s_and_saveexec_b32 s23, s16
	s_cbranch_execnz .LBB4_8512
	s_branch .LBB4_8513
.LBB4_9040:                             ;   in Loop: Header=BB4_8450 Depth=3
	s_or_saveexec_b32 s23, s23
	v_mov_b32_e32 v105, 0x7f800001
	s_xor_b32 exec_lo, exec_lo, s23
	s_cbranch_execz .LBB4_8527
.LBB4_9041:                             ;   in Loop: Header=BB4_8450 Depth=3
	v_cmp_ne_u16_sdwa s73, v104, v2 src0_sel:BYTE_0 src1_sel:DWORD
	v_mov_b32_e32 v105, 0
	s_andn2_b32 s16, s16, exec_lo
	s_and_b32 s73, s73, exec_lo
	s_or_b32 s16, s16, s73
	s_or_b32 exec_lo, exec_lo, s23
	s_and_saveexec_b32 s23, s16
	s_cbranch_execnz .LBB4_8528
	s_branch .LBB4_8529
.LBB4_9042:                             ;   in Loop: Header=BB4_8450 Depth=3
	s_or_saveexec_b32 s23, s23
	v_mov_b32_e32 v106, 0x7f800001
	s_xor_b32 exec_lo, exec_lo, s23
	s_cbranch_execz .LBB4_8533
.LBB4_9043:                             ;   in Loop: Header=BB4_8450 Depth=3
	v_cmp_ne_u16_sdwa s73, v82, v2 src0_sel:BYTE_0 src1_sel:DWORD
	v_mov_b32_e32 v106, 0
	s_andn2_b32 s16, s16, exec_lo
	s_and_b32 s73, s73, exec_lo
	s_or_b32 s16, s16, s73
	s_or_b32 exec_lo, exec_lo, s23
	s_and_saveexec_b32 s23, s16
	s_cbranch_execnz .LBB4_8534
	s_branch .LBB4_8535
.LBB4_9044:                             ;   in Loop: Header=BB4_8450 Depth=3
	s_or_saveexec_b32 s23, s23
	v_mov_b32_e32 v105, 0x7f800001
	s_xor_b32 exec_lo, exec_lo, s23
	s_cbranch_execz .LBB4_8541
.LBB4_9045:                             ;   in Loop: Header=BB4_8450 Depth=3
	v_cmp_ne_u16_sdwa s73, v104, v2 src0_sel:BYTE_0 src1_sel:DWORD
	v_mov_b32_e32 v105, 0
	s_andn2_b32 s16, s16, exec_lo
	s_and_b32 s73, s73, exec_lo
	s_or_b32 s16, s16, s73
	s_or_b32 exec_lo, exec_lo, s23
	s_and_saveexec_b32 s23, s16
	s_cbranch_execnz .LBB4_8542
	s_branch .LBB4_8543
.LBB4_9046:                             ;   in Loop: Header=BB4_8450 Depth=3
	s_or_saveexec_b32 s23, s23
	v_mov_b32_e32 v104, 0x7f800001
	s_xor_b32 exec_lo, exec_lo, s23
	s_cbranch_execz .LBB4_8547
.LBB4_9047:                             ;   in Loop: Header=BB4_8450 Depth=3
	v_cmp_ne_u16_sdwa s73, v82, v2 src0_sel:BYTE_0 src1_sel:DWORD
	v_mov_b32_e32 v104, 0
	s_andn2_b32 s16, s16, exec_lo
	s_and_b32 s73, s73, exec_lo
	s_or_b32 s16, s16, s73
	s_or_b32 exec_lo, exec_lo, s23
	s_and_saveexec_b32 s23, s16
	s_cbranch_execnz .LBB4_8548
	s_branch .LBB4_8549
.LBB4_9048:                             ;   in Loop: Header=BB4_8450 Depth=3
	s_or_saveexec_b32 s23, s23
	v_mov_b32_e32 v104, 0x7f800001
	s_xor_b32 exec_lo, exec_lo, s23
	s_cbranch_execz .LBB4_8563
.LBB4_9049:                             ;   in Loop: Header=BB4_8450 Depth=3
	v_cmp_ne_u16_sdwa s73, v95, v2 src0_sel:BYTE_0 src1_sel:DWORD
	v_mov_b32_e32 v104, 0
	s_andn2_b32 s16, s16, exec_lo
	s_and_b32 s73, s73, exec_lo
	s_or_b32 s16, s16, s73
	s_or_b32 exec_lo, exec_lo, s23
	s_and_saveexec_b32 s23, s16
	s_cbranch_execnz .LBB4_8564
	s_branch .LBB4_8565
.LBB4_9050:                             ;   in Loop: Header=BB4_8450 Depth=3
	s_or_saveexec_b32 s23, s23
	v_mov_b32_e32 v105, 0x7f800001
	s_xor_b32 exec_lo, exec_lo, s23
	s_cbranch_execz .LBB4_8569
.LBB4_9051:                             ;   in Loop: Header=BB4_8450 Depth=3
	v_cmp_ne_u16_sdwa s73, v85, v2 src0_sel:BYTE_0 src1_sel:DWORD
	v_mov_b32_e32 v105, 0
	s_andn2_b32 s16, s16, exec_lo
	s_and_b32 s73, s73, exec_lo
	s_or_b32 s16, s16, s73
	s_or_b32 exec_lo, exec_lo, s23
	s_and_saveexec_b32 s23, s16
	s_cbranch_execnz .LBB4_8570
	s_branch .LBB4_8571
.LBB4_9052:                             ;   in Loop: Header=BB4_8450 Depth=3
	s_or_saveexec_b32 s23, s23
	v_mov_b32_e32 v104, 0x7f800001
	s_xor_b32 exec_lo, exec_lo, s23
	s_cbranch_execz .LBB4_8577
.LBB4_9053:                             ;   in Loop: Header=BB4_8450 Depth=3
	v_cmp_ne_u16_sdwa s73, v95, v2 src0_sel:BYTE_0 src1_sel:DWORD
	v_mov_b32_e32 v104, 0
	s_andn2_b32 s16, s16, exec_lo
	s_and_b32 s73, s73, exec_lo
	s_or_b32 s16, s16, s73
	s_or_b32 exec_lo, exec_lo, s23
	s_and_saveexec_b32 s23, s16
	s_cbranch_execnz .LBB4_8578
	s_branch .LBB4_8579
.LBB4_9054:                             ;   in Loop: Header=BB4_8450 Depth=3
	s_or_saveexec_b32 s23, s23
	v_mov_b32_e32 v95, 0x7f800001
	s_xor_b32 exec_lo, exec_lo, s23
	s_cbranch_execz .LBB4_8583
.LBB4_9055:                             ;   in Loop: Header=BB4_8450 Depth=3
	v_cmp_ne_u16_sdwa s73, v85, v2 src0_sel:BYTE_0 src1_sel:DWORD
	v_mov_b32_e32 v95, 0
	s_andn2_b32 s16, s16, exec_lo
	s_and_b32 s73, s73, exec_lo
	s_or_b32 s16, s16, s73
	s_or_b32 exec_lo, exec_lo, s23
	s_and_saveexec_b32 s23, s16
	s_cbranch_execnz .LBB4_8584
	s_branch .LBB4_8585
.LBB4_9056:                             ;   in Loop: Header=BB4_8450 Depth=3
	s_or_saveexec_b32 s23, s23
	v_mov_b32_e32 v95, 0x7f800001
	s_xor_b32 exec_lo, exec_lo, s23
	s_cbranch_execz .LBB4_8599
.LBB4_9057:                             ;   in Loop: Header=BB4_8450 Depth=3
	v_cmp_ne_u16_sdwa s73, v94, v2 src0_sel:BYTE_0 src1_sel:DWORD
	v_mov_b32_e32 v95, 0
	s_andn2_b32 s16, s16, exec_lo
	s_and_b32 s73, s73, exec_lo
	s_or_b32 s16, s16, s73
	s_or_b32 exec_lo, exec_lo, s23
	s_and_saveexec_b32 s23, s16
	s_cbranch_execnz .LBB4_8600
	s_branch .LBB4_8601
.LBB4_9058:                             ;   in Loop: Header=BB4_8450 Depth=3
	s_or_saveexec_b32 s23, s23
	v_mov_b32_e32 v104, 0x7f800001
	s_xor_b32 exec_lo, exec_lo, s23
	s_cbranch_execz .LBB4_8605
.LBB4_9059:                             ;   in Loop: Header=BB4_8450 Depth=3
	v_cmp_ne_u16_sdwa s73, v96, v2 src0_sel:BYTE_0 src1_sel:DWORD
	v_mov_b32_e32 v104, 0
	s_andn2_b32 s16, s16, exec_lo
	s_and_b32 s73, s73, exec_lo
	s_or_b32 s16, s16, s73
	s_or_b32 exec_lo, exec_lo, s23
	s_and_saveexec_b32 s23, s16
	s_cbranch_execnz .LBB4_8606
	s_branch .LBB4_8607
.LBB4_9060:                             ;   in Loop: Header=BB4_8450 Depth=3
	s_or_saveexec_b32 s23, s23
	v_mov_b32_e32 v95, 0x7f800001
	s_xor_b32 exec_lo, exec_lo, s23
	s_cbranch_execz .LBB4_8613
.LBB4_9061:                             ;   in Loop: Header=BB4_8450 Depth=3
	v_cmp_ne_u16_sdwa s73, v94, v2 src0_sel:BYTE_0 src1_sel:DWORD
	v_mov_b32_e32 v95, 0
	s_andn2_b32 s16, s16, exec_lo
	s_and_b32 s73, s73, exec_lo
	s_or_b32 s16, s16, s73
	s_or_b32 exec_lo, exec_lo, s23
	s_and_saveexec_b32 s23, s16
	s_cbranch_execnz .LBB4_8614
	s_branch .LBB4_8615
.LBB4_9062:                             ;   in Loop: Header=BB4_8450 Depth=3
	s_or_saveexec_b32 s23, s23
	v_mov_b32_e32 v94, 0x7f800001
	s_xor_b32 exec_lo, exec_lo, s23
	s_cbranch_execz .LBB4_8619
.LBB4_9063:                             ;   in Loop: Header=BB4_8450 Depth=3
	v_cmp_ne_u16_sdwa s73, v96, v2 src0_sel:BYTE_0 src1_sel:DWORD
	v_mov_b32_e32 v94, 0
	s_andn2_b32 s16, s16, exec_lo
	s_and_b32 s73, s73, exec_lo
	s_or_b32 s16, s16, s73
	s_or_b32 exec_lo, exec_lo, s23
	s_and_saveexec_b32 s23, s16
	s_cbranch_execnz .LBB4_8620
	s_branch .LBB4_8621
.LBB4_9064:                             ;   in Loop: Header=BB4_8450 Depth=3
	s_or_saveexec_b32 s23, s23
	v_mov_b32_e32 v94, 0x7f800001
	s_xor_b32 exec_lo, exec_lo, s23
	s_cbranch_execz .LBB4_8635
.LBB4_9065:                             ;   in Loop: Header=BB4_8450 Depth=3
	v_cmp_ne_u16_sdwa s73, v93, v2 src0_sel:BYTE_0 src1_sel:DWORD
	v_mov_b32_e32 v94, 0
	s_andn2_b32 s16, s16, exec_lo
	s_and_b32 s73, s73, exec_lo
	s_or_b32 s16, s16, s73
	s_or_b32 exec_lo, exec_lo, s23
	s_and_saveexec_b32 s23, s16
	s_cbranch_execnz .LBB4_8636
	s_branch .LBB4_8637
.LBB4_9066:                             ;   in Loop: Header=BB4_8450 Depth=3
	s_or_saveexec_b32 s23, s23
	v_mov_b32_e32 v95, 0x7f800001
	s_xor_b32 exec_lo, exec_lo, s23
	s_cbranch_execz .LBB4_8641
.LBB4_9067:                             ;   in Loop: Header=BB4_8450 Depth=3
	v_cmp_ne_u16_sdwa s73, v99, v2 src0_sel:BYTE_0 src1_sel:DWORD
	v_mov_b32_e32 v95, 0
	s_andn2_b32 s16, s16, exec_lo
	s_and_b32 s73, s73, exec_lo
	s_or_b32 s16, s16, s73
	s_or_b32 exec_lo, exec_lo, s23
	s_and_saveexec_b32 s23, s16
	s_cbranch_execnz .LBB4_8642
	s_branch .LBB4_8643
.LBB4_9068:                             ;   in Loop: Header=BB4_8450 Depth=3
	s_or_saveexec_b32 s23, s23
	v_mov_b32_e32 v94, 0x7f800001
	s_xor_b32 exec_lo, exec_lo, s23
	s_cbranch_execz .LBB4_8649
.LBB4_9069:                             ;   in Loop: Header=BB4_8450 Depth=3
	v_cmp_ne_u16_sdwa s73, v93, v2 src0_sel:BYTE_0 src1_sel:DWORD
	v_mov_b32_e32 v94, 0
	s_andn2_b32 s16, s16, exec_lo
	s_and_b32 s73, s73, exec_lo
	s_or_b32 s16, s16, s73
	s_or_b32 exec_lo, exec_lo, s23
	s_and_saveexec_b32 s23, s16
	s_cbranch_execnz .LBB4_8650
	s_branch .LBB4_8651
.LBB4_9070:                             ;   in Loop: Header=BB4_8450 Depth=3
	s_or_saveexec_b32 s23, s23
	v_mov_b32_e32 v93, 0x7f800001
	s_xor_b32 exec_lo, exec_lo, s23
	s_cbranch_execz .LBB4_8655
.LBB4_9071:                             ;   in Loop: Header=BB4_8450 Depth=3
	v_cmp_ne_u16_sdwa s73, v99, v2 src0_sel:BYTE_0 src1_sel:DWORD
	v_mov_b32_e32 v93, 0
	s_andn2_b32 s16, s16, exec_lo
	s_and_b32 s73, s73, exec_lo
	s_or_b32 s16, s16, s73
	s_or_b32 exec_lo, exec_lo, s23
	s_and_saveexec_b32 s23, s16
	s_cbranch_execnz .LBB4_8656
	s_branch .LBB4_8657
.LBB4_9072:                             ;   in Loop: Header=BB4_8450 Depth=3
	s_or_saveexec_b32 s23, s23
	v_mov_b32_e32 v93, 0x7f800001
	s_xor_b32 exec_lo, exec_lo, s23
	s_cbranch_execz .LBB4_8671
.LBB4_9073:                             ;   in Loop: Header=BB4_8450 Depth=3
	v_cmp_ne_u16_sdwa s73, v92, v2 src0_sel:BYTE_0 src1_sel:DWORD
	v_mov_b32_e32 v93, 0
	s_andn2_b32 s16, s16, exec_lo
	s_and_b32 s73, s73, exec_lo
	s_or_b32 s16, s16, s73
	s_or_b32 exec_lo, exec_lo, s23
	s_and_saveexec_b32 s23, s16
	s_cbranch_execnz .LBB4_8672
	s_branch .LBB4_8673
.LBB4_9074:                             ;   in Loop: Header=BB4_8450 Depth=3
	s_or_saveexec_b32 s23, s23
	v_mov_b32_e32 v94, 0x7f800001
	s_xor_b32 exec_lo, exec_lo, s23
	s_cbranch_execz .LBB4_8677
.LBB4_9075:                             ;   in Loop: Header=BB4_8450 Depth=3
	v_cmp_ne_u16_sdwa s73, v79, v2 src0_sel:BYTE_0 src1_sel:DWORD
	v_mov_b32_e32 v94, 0
	s_andn2_b32 s16, s16, exec_lo
	s_and_b32 s73, s73, exec_lo
	s_or_b32 s16, s16, s73
	s_or_b32 exec_lo, exec_lo, s23
	s_and_saveexec_b32 s23, s16
	s_cbranch_execnz .LBB4_8678
	s_branch .LBB4_8679
.LBB4_9076:                             ;   in Loop: Header=BB4_8450 Depth=3
	s_or_saveexec_b32 s23, s23
	v_mov_b32_e32 v93, 0x7f800001
	s_xor_b32 exec_lo, exec_lo, s23
	s_cbranch_execz .LBB4_8685
.LBB4_9077:                             ;   in Loop: Header=BB4_8450 Depth=3
	v_cmp_ne_u16_sdwa s73, v92, v2 src0_sel:BYTE_0 src1_sel:DWORD
	v_mov_b32_e32 v93, 0
	s_andn2_b32 s16, s16, exec_lo
	s_and_b32 s73, s73, exec_lo
	s_or_b32 s16, s16, s73
	s_or_b32 exec_lo, exec_lo, s23
	s_and_saveexec_b32 s23, s16
	s_cbranch_execnz .LBB4_8686
	s_branch .LBB4_8687
.LBB4_9078:                             ;   in Loop: Header=BB4_8450 Depth=3
	s_or_saveexec_b32 s23, s23
	v_mov_b32_e32 v92, 0x7f800001
	s_xor_b32 exec_lo, exec_lo, s23
	s_cbranch_execz .LBB4_8691
.LBB4_9079:                             ;   in Loop: Header=BB4_8450 Depth=3
	v_cmp_ne_u16_sdwa s73, v79, v2 src0_sel:BYTE_0 src1_sel:DWORD
	v_mov_b32_e32 v92, 0
	s_andn2_b32 s16, s16, exec_lo
	s_and_b32 s73, s73, exec_lo
	s_or_b32 s16, s16, s73
	s_or_b32 exec_lo, exec_lo, s23
	s_and_saveexec_b32 s23, s16
	s_cbranch_execnz .LBB4_8692
	s_branch .LBB4_8693
.LBB4_9080:                             ;   in Loop: Header=BB4_8450 Depth=3
	s_or_saveexec_b32 s23, s23
	v_mov_b32_e32 v92, 0x7f800001
	s_xor_b32 exec_lo, exec_lo, s23
	s_cbranch_execz .LBB4_8707
.LBB4_9081:                             ;   in Loop: Header=BB4_8450 Depth=3
	v_cmp_ne_u16_sdwa s73, v91, v2 src0_sel:BYTE_0 src1_sel:DWORD
	v_mov_b32_e32 v92, 0
	s_andn2_b32 s16, s16, exec_lo
	s_and_b32 s73, s73, exec_lo
	s_or_b32 s16, s16, s73
	s_or_b32 exec_lo, exec_lo, s23
	s_and_saveexec_b32 s23, s16
	s_cbranch_execnz .LBB4_8708
	s_branch .LBB4_8709
.LBB4_9082:                             ;   in Loop: Header=BB4_8450 Depth=3
	s_or_saveexec_b32 s23, s23
	v_mov_b32_e32 v93, 0x7f800001
	s_xor_b32 exec_lo, exec_lo, s23
	s_cbranch_execz .LBB4_8713
.LBB4_9083:                             ;   in Loop: Header=BB4_8450 Depth=3
	v_cmp_ne_u16_sdwa s73, v90, v2 src0_sel:BYTE_0 src1_sel:DWORD
	v_mov_b32_e32 v93, 0
	s_andn2_b32 s16, s16, exec_lo
	s_and_b32 s73, s73, exec_lo
	s_or_b32 s16, s16, s73
	s_or_b32 exec_lo, exec_lo, s23
	s_and_saveexec_b32 s23, s16
	s_cbranch_execnz .LBB4_8714
	s_branch .LBB4_8715
.LBB4_9084:                             ;   in Loop: Header=BB4_8450 Depth=3
	s_or_saveexec_b32 s23, s23
	v_mov_b32_e32 v92, 0x7f800001
	s_xor_b32 exec_lo, exec_lo, s23
	s_cbranch_execz .LBB4_8721
.LBB4_9085:                             ;   in Loop: Header=BB4_8450 Depth=3
	v_cmp_ne_u16_sdwa s73, v91, v2 src0_sel:BYTE_0 src1_sel:DWORD
	v_mov_b32_e32 v92, 0
	s_andn2_b32 s16, s16, exec_lo
	s_and_b32 s73, s73, exec_lo
	s_or_b32 s16, s16, s73
	s_or_b32 exec_lo, exec_lo, s23
	s_and_saveexec_b32 s23, s16
	s_cbranch_execnz .LBB4_8722
	s_branch .LBB4_8723
.LBB4_9086:                             ;   in Loop: Header=BB4_8450 Depth=3
	s_or_saveexec_b32 s23, s23
	v_mov_b32_e32 v91, 0x7f800001
	s_xor_b32 exec_lo, exec_lo, s23
	s_cbranch_execz .LBB4_8727
.LBB4_9087:                             ;   in Loop: Header=BB4_8450 Depth=3
	v_cmp_ne_u16_sdwa s73, v90, v2 src0_sel:BYTE_0 src1_sel:DWORD
	v_mov_b32_e32 v91, 0
	s_andn2_b32 s16, s16, exec_lo
	s_and_b32 s73, s73, exec_lo
	s_or_b32 s16, s16, s73
	s_or_b32 exec_lo, exec_lo, s23
	s_and_saveexec_b32 s23, s16
	s_cbranch_execnz .LBB4_8728
	s_branch .LBB4_8729
.LBB4_9088:                             ;   in Loop: Header=BB4_8450 Depth=3
	s_or_saveexec_b32 s23, s23
	v_mov_b32_e32 v91, 0x7f800001
	s_xor_b32 exec_lo, exec_lo, s23
	s_cbranch_execz .LBB4_8743
.LBB4_9089:                             ;   in Loop: Header=BB4_8450 Depth=3
	v_cmp_ne_u16_sdwa s73, v89, v2 src0_sel:BYTE_0 src1_sel:DWORD
	v_mov_b32_e32 v91, 0
	s_andn2_b32 s16, s16, exec_lo
	s_and_b32 s73, s73, exec_lo
	s_or_b32 s16, s16, s73
	s_or_b32 exec_lo, exec_lo, s23
	s_and_saveexec_b32 s23, s16
	s_cbranch_execnz .LBB4_8744
	s_branch .LBB4_8745
.LBB4_9090:                             ;   in Loop: Header=BB4_8450 Depth=3
	s_or_saveexec_b32 s23, s23
	v_mov_b32_e32 v92, 0x7f800001
	s_xor_b32 exec_lo, exec_lo, s23
	s_cbranch_execz .LBB4_8749
.LBB4_9091:                             ;   in Loop: Header=BB4_8450 Depth=3
	v_cmp_ne_u16_sdwa s73, v88, v2 src0_sel:BYTE_0 src1_sel:DWORD
	v_mov_b32_e32 v92, 0
	s_andn2_b32 s16, s16, exec_lo
	s_and_b32 s73, s73, exec_lo
	s_or_b32 s16, s16, s73
	s_or_b32 exec_lo, exec_lo, s23
	s_and_saveexec_b32 s23, s16
	s_cbranch_execnz .LBB4_8750
	s_branch .LBB4_8751
.LBB4_9092:                             ;   in Loop: Header=BB4_8450 Depth=3
	s_or_saveexec_b32 s23, s23
	v_mov_b32_e32 v91, 0x7f800001
	s_xor_b32 exec_lo, exec_lo, s23
	s_cbranch_execz .LBB4_8757
.LBB4_9093:                             ;   in Loop: Header=BB4_8450 Depth=3
	v_cmp_ne_u16_sdwa s73, v89, v2 src0_sel:BYTE_0 src1_sel:DWORD
	v_mov_b32_e32 v91, 0
	s_andn2_b32 s16, s16, exec_lo
	s_and_b32 s73, s73, exec_lo
	s_or_b32 s16, s16, s73
	s_or_b32 exec_lo, exec_lo, s23
	s_and_saveexec_b32 s23, s16
	s_cbranch_execnz .LBB4_8758
	s_branch .LBB4_8759
.LBB4_9094:                             ;   in Loop: Header=BB4_8450 Depth=3
	s_or_saveexec_b32 s23, s23
	v_mov_b32_e32 v89, 0x7f800001
	s_xor_b32 exec_lo, exec_lo, s23
	s_cbranch_execz .LBB4_8763
.LBB4_9095:                             ;   in Loop: Header=BB4_8450 Depth=3
	v_cmp_ne_u16_sdwa s73, v88, v2 src0_sel:BYTE_0 src1_sel:DWORD
	v_mov_b32_e32 v89, 0
	s_andn2_b32 s16, s16, exec_lo
	s_and_b32 s73, s73, exec_lo
	s_or_b32 s16, s16, s73
	s_or_b32 exec_lo, exec_lo, s23
	s_and_saveexec_b32 s23, s16
	s_cbranch_execnz .LBB4_8764
	s_branch .LBB4_8765
.LBB4_9096:                             ;   in Loop: Header=BB4_8450 Depth=3
	s_or_saveexec_b32 s23, s23
	v_mov_b32_e32 v89, 0x7f800001
	s_xor_b32 exec_lo, exec_lo, s23
	s_cbranch_execz .LBB4_8779
.LBB4_9097:                             ;   in Loop: Header=BB4_8450 Depth=3
	v_cmp_ne_u16_sdwa s73, v78, v2 src0_sel:BYTE_0 src1_sel:DWORD
	v_mov_b32_e32 v89, 0
	s_andn2_b32 s16, s16, exec_lo
	s_and_b32 s73, s73, exec_lo
	s_or_b32 s16, s16, s73
	s_or_b32 exec_lo, exec_lo, s23
	s_and_saveexec_b32 s23, s16
	s_cbranch_execnz .LBB4_8780
	s_branch .LBB4_8781
.LBB4_9098:                             ;   in Loop: Header=BB4_8450 Depth=3
	s_or_saveexec_b32 s23, s23
	v_mov_b32_e32 v91, 0x7f800001
	s_xor_b32 exec_lo, exec_lo, s23
	s_cbranch_execz .LBB4_8785
.LBB4_9099:                             ;   in Loop: Header=BB4_8450 Depth=3
	v_cmp_ne_u16_sdwa s73, v77, v2 src0_sel:BYTE_0 src1_sel:DWORD
	v_mov_b32_e32 v91, 0
	s_andn2_b32 s16, s16, exec_lo
	s_and_b32 s73, s73, exec_lo
	s_or_b32 s16, s16, s73
	s_or_b32 exec_lo, exec_lo, s23
	s_and_saveexec_b32 s23, s16
	s_cbranch_execnz .LBB4_8786
	s_branch .LBB4_8787
.LBB4_9100:                             ;   in Loop: Header=BB4_8450 Depth=3
	s_or_saveexec_b32 s23, s23
	v_mov_b32_e32 v89, 0x7f800001
	s_xor_b32 exec_lo, exec_lo, s23
	s_cbranch_execz .LBB4_8793
.LBB4_9101:                             ;   in Loop: Header=BB4_8450 Depth=3
	v_cmp_ne_u16_sdwa s73, v78, v2 src0_sel:BYTE_0 src1_sel:DWORD
	v_mov_b32_e32 v89, 0
	s_andn2_b32 s16, s16, exec_lo
	s_and_b32 s73, s73, exec_lo
	s_or_b32 s16, s16, s73
	s_or_b32 exec_lo, exec_lo, s23
	s_and_saveexec_b32 s23, s16
	s_cbranch_execnz .LBB4_8794
	s_branch .LBB4_8795
.LBB4_9102:                             ;   in Loop: Header=BB4_8450 Depth=3
	s_or_saveexec_b32 s23, s23
	v_mov_b32_e32 v78, 0x7f800001
	s_xor_b32 exec_lo, exec_lo, s23
	s_cbranch_execz .LBB4_8799
.LBB4_9103:                             ;   in Loop: Header=BB4_8450 Depth=3
	v_cmp_ne_u16_sdwa s73, v77, v2 src0_sel:BYTE_0 src1_sel:DWORD
	v_mov_b32_e32 v78, 0
	s_andn2_b32 s16, s16, exec_lo
	s_and_b32 s73, s73, exec_lo
	s_or_b32 s16, s16, s73
	s_or_b32 exec_lo, exec_lo, s23
	s_and_saveexec_b32 s23, s16
	s_cbranch_execnz .LBB4_8800
	s_branch .LBB4_8801
.LBB4_9104:                             ;   in Loop: Header=BB4_8450 Depth=3
	s_or_saveexec_b32 s23, s23
	v_mov_b32_e32 v78, 0x7f800001
	s_xor_b32 exec_lo, exec_lo, s23
	s_cbranch_execz .LBB4_8815
.LBB4_9105:                             ;   in Loop: Header=BB4_8450 Depth=3
	v_cmp_ne_u16_sdwa s73, v98, v2 src0_sel:BYTE_0 src1_sel:DWORD
	v_mov_b32_e32 v78, 0
	s_andn2_b32 s16, s16, exec_lo
	s_and_b32 s73, s73, exec_lo
	s_or_b32 s16, s16, s73
	s_or_b32 exec_lo, exec_lo, s23
	s_and_saveexec_b32 s23, s16
	s_cbranch_execnz .LBB4_8816
	s_branch .LBB4_8817
.LBB4_9106:                             ;   in Loop: Header=BB4_8450 Depth=3
	s_or_saveexec_b32 s23, s23
	v_mov_b32_e32 v89, 0x7f800001
	s_xor_b32 exec_lo, exec_lo, s23
	s_cbranch_execz .LBB4_8821
.LBB4_9107:                             ;   in Loop: Header=BB4_8450 Depth=3
	v_cmp_ne_u16_sdwa s73, v97, v2 src0_sel:BYTE_0 src1_sel:DWORD
	v_mov_b32_e32 v89, 0
	s_andn2_b32 s16, s16, exec_lo
	s_and_b32 s73, s73, exec_lo
	s_or_b32 s16, s16, s73
	s_or_b32 exec_lo, exec_lo, s23
	s_and_saveexec_b32 s23, s16
	s_cbranch_execnz .LBB4_8822
	s_branch .LBB4_8823
.LBB4_9108:                             ;   in Loop: Header=BB4_8450 Depth=3
	s_or_saveexec_b32 s23, s23
	v_mov_b32_e32 v78, 0x7f800001
	s_xor_b32 exec_lo, exec_lo, s23
	s_cbranch_execz .LBB4_8829
.LBB4_9109:                             ;   in Loop: Header=BB4_8450 Depth=3
	v_cmp_ne_u16_sdwa s73, v98, v2 src0_sel:BYTE_0 src1_sel:DWORD
	v_mov_b32_e32 v78, 0
	s_andn2_b32 s16, s16, exec_lo
	s_and_b32 s73, s73, exec_lo
	s_or_b32 s16, s16, s73
	s_or_b32 exec_lo, exec_lo, s23
	s_and_saveexec_b32 s23, s16
	s_cbranch_execnz .LBB4_8830
	s_branch .LBB4_8831
.LBB4_9110:                             ;   in Loop: Header=BB4_8450 Depth=3
	s_or_saveexec_b32 s23, s23
	v_mov_b32_e32 v98, 0x7f800001
	s_xor_b32 exec_lo, exec_lo, s23
	s_cbranch_execz .LBB4_8835
.LBB4_9111:                             ;   in Loop: Header=BB4_8450 Depth=3
	v_cmp_ne_u16_sdwa s73, v97, v2 src0_sel:BYTE_0 src1_sel:DWORD
	v_mov_b32_e32 v98, 0
	s_andn2_b32 s16, s16, exec_lo
	s_and_b32 s73, s73, exec_lo
	s_or_b32 s16, s16, s73
	s_or_b32 exec_lo, exec_lo, s23
	s_and_saveexec_b32 s23, s16
	s_cbranch_execnz .LBB4_8836
	s_branch .LBB4_8837
.LBB4_9112:                             ;   in Loop: Header=BB4_8450 Depth=3
	s_or_saveexec_b32 s23, s23
	v_mov_b32_e32 v98, 0x7f800001
	s_xor_b32 exec_lo, exec_lo, s23
	s_cbranch_execz .LBB4_8851
.LBB4_9113:                             ;   in Loop: Header=BB4_8450 Depth=3
	v_cmp_ne_u16_sdwa s73, v87, v2 src0_sel:BYTE_0 src1_sel:DWORD
	v_mov_b32_e32 v98, 0
	s_andn2_b32 s16, s16, exec_lo
	s_and_b32 s73, s73, exec_lo
	s_or_b32 s16, s16, s73
	s_or_b32 exec_lo, exec_lo, s23
	s_and_saveexec_b32 s23, s16
	s_cbranch_execnz .LBB4_8852
	s_branch .LBB4_8853
.LBB4_9114:                             ;   in Loop: Header=BB4_8450 Depth=3
	s_or_saveexec_b32 s23, s23
	v_mov_b32_e32 v78, 0x7f800001
	s_xor_b32 exec_lo, exec_lo, s23
	s_cbranch_execz .LBB4_8857
.LBB4_9115:                             ;   in Loop: Header=BB4_8450 Depth=3
	v_cmp_ne_u16_sdwa s73, v86, v2 src0_sel:BYTE_0 src1_sel:DWORD
	v_mov_b32_e32 v78, 0
	s_andn2_b32 s16, s16, exec_lo
	s_and_b32 s73, s73, exec_lo
	s_or_b32 s16, s16, s73
	s_or_b32 exec_lo, exec_lo, s23
	s_and_saveexec_b32 s23, s16
	s_cbranch_execnz .LBB4_8858
	s_branch .LBB4_8859
.LBB4_9116:                             ;   in Loop: Header=BB4_8450 Depth=3
	s_or_saveexec_b32 s23, s23
	v_mov_b32_e32 v98, 0x7f800001
	s_xor_b32 exec_lo, exec_lo, s23
	s_cbranch_execz .LBB4_8865
.LBB4_9117:                             ;   in Loop: Header=BB4_8450 Depth=3
	v_cmp_ne_u16_sdwa s73, v87, v2 src0_sel:BYTE_0 src1_sel:DWORD
	v_mov_b32_e32 v98, 0
	s_andn2_b32 s16, s16, exec_lo
	s_and_b32 s73, s73, exec_lo
	s_or_b32 s16, s16, s73
	s_or_b32 exec_lo, exec_lo, s23
	s_and_saveexec_b32 s23, s16
	s_cbranch_execnz .LBB4_8866
	s_branch .LBB4_8867
.LBB4_9118:                             ;   in Loop: Header=BB4_8450 Depth=3
	s_or_saveexec_b32 s23, s23
	v_mov_b32_e32 v87, 0x7f800001
	s_xor_b32 exec_lo, exec_lo, s23
	s_cbranch_execz .LBB4_8871
.LBB4_9119:                             ;   in Loop: Header=BB4_8450 Depth=3
	v_cmp_ne_u16_sdwa s73, v86, v2 src0_sel:BYTE_0 src1_sel:DWORD
	v_mov_b32_e32 v87, 0
	s_andn2_b32 s16, s16, exec_lo
	s_and_b32 s73, s73, exec_lo
	s_or_b32 s16, s16, s73
	s_or_b32 exec_lo, exec_lo, s23
	s_and_saveexec_b32 s23, s16
	s_cbranch_execnz .LBB4_8872
	s_branch .LBB4_8873
.LBB4_9120:                             ;   in Loop: Header=BB4_8450 Depth=3
	s_or_saveexec_b32 s23, s23
	v_mov_b32_e32 v87, 0x7f800001
	s_xor_b32 exec_lo, exec_lo, s23
	s_cbranch_execz .LBB4_8887
.LBB4_9121:                             ;   in Loop: Header=BB4_8450 Depth=3
	v_cmp_ne_u16_sdwa s73, v84, v2 src0_sel:BYTE_0 src1_sel:DWORD
	v_mov_b32_e32 v87, 0
	s_andn2_b32 s16, s16, exec_lo
	s_and_b32 s73, s73, exec_lo
	s_or_b32 s16, s16, s73
	s_or_b32 exec_lo, exec_lo, s23
	s_and_saveexec_b32 s23, s16
	s_cbranch_execnz .LBB4_8888
	s_branch .LBB4_8889
.LBB4_9122:                             ;   in Loop: Header=BB4_8450 Depth=3
	s_or_saveexec_b32 s23, s23
	v_mov_b32_e32 v98, 0x7f800001
	s_xor_b32 exec_lo, exec_lo, s23
	s_cbranch_execz .LBB4_8893
.LBB4_9123:                             ;   in Loop: Header=BB4_8450 Depth=3
	v_cmp_ne_u16_sdwa s73, v83, v2 src0_sel:BYTE_0 src1_sel:DWORD
	v_mov_b32_e32 v98, 0
	s_andn2_b32 s16, s16, exec_lo
	s_and_b32 s73, s73, exec_lo
	s_or_b32 s16, s16, s73
	s_or_b32 exec_lo, exec_lo, s23
	s_and_saveexec_b32 s23, s16
	s_cbranch_execnz .LBB4_8894
	s_branch .LBB4_8895
.LBB4_9124:                             ;   in Loop: Header=BB4_8450 Depth=3
	s_or_saveexec_b32 s23, s23
	v_mov_b32_e32 v87, 0x7f800001
	s_xor_b32 exec_lo, exec_lo, s23
	s_cbranch_execz .LBB4_8901
.LBB4_9125:                             ;   in Loop: Header=BB4_8450 Depth=3
	v_cmp_ne_u16_sdwa s73, v84, v2 src0_sel:BYTE_0 src1_sel:DWORD
	v_mov_b32_e32 v87, 0
	s_andn2_b32 s16, s16, exec_lo
	s_and_b32 s73, s73, exec_lo
	s_or_b32 s16, s16, s73
	s_or_b32 exec_lo, exec_lo, s23
	s_and_saveexec_b32 s23, s16
	s_cbranch_execnz .LBB4_8902
	s_branch .LBB4_8903
.LBB4_9126:                             ;   in Loop: Header=BB4_8450 Depth=3
	s_or_saveexec_b32 s23, s23
	v_mov_b32_e32 v84, 0x7f800001
	s_xor_b32 exec_lo, exec_lo, s23
	s_cbranch_execz .LBB4_8907
.LBB4_9127:                             ;   in Loop: Header=BB4_8450 Depth=3
	v_cmp_ne_u16_sdwa s73, v83, v2 src0_sel:BYTE_0 src1_sel:DWORD
	v_mov_b32_e32 v84, 0
	s_andn2_b32 s16, s16, exec_lo
	s_and_b32 s73, s73, exec_lo
	s_or_b32 s16, s16, s73
	s_or_b32 exec_lo, exec_lo, s23
	s_and_saveexec_b32 s23, s16
	s_cbranch_execnz .LBB4_8908
	s_branch .LBB4_8909
.LBB4_9128:                             ;   in Loop: Header=BB4_8450 Depth=3
	s_or_saveexec_b32 s23, s23
	v_mov_b32_e32 v84, 0x7f800001
	s_xor_b32 exec_lo, exec_lo, s23
	s_cbranch_execz .LBB4_8923
.LBB4_9129:                             ;   in Loop: Header=BB4_8450 Depth=3
	v_cmp_ne_u16_sdwa s73, v81, v2 src0_sel:BYTE_0 src1_sel:DWORD
	v_mov_b32_e32 v84, 0
	s_andn2_b32 s16, s16, exec_lo
	s_and_b32 s73, s73, exec_lo
	s_or_b32 s16, s16, s73
	s_or_b32 exec_lo, exec_lo, s23
	s_and_saveexec_b32 s23, s16
	s_cbranch_execnz .LBB4_8924
	s_branch .LBB4_8925
.LBB4_9130:                             ;   in Loop: Header=BB4_8450 Depth=3
	s_or_saveexec_b32 s23, s23
	v_mov_b32_e32 v87, 0x7f800001
	s_xor_b32 exec_lo, exec_lo, s23
	s_cbranch_execz .LBB4_8929
.LBB4_9131:                             ;   in Loop: Header=BB4_8450 Depth=3
	v_cmp_ne_u16_sdwa s73, v80, v2 src0_sel:BYTE_0 src1_sel:DWORD
	v_mov_b32_e32 v87, 0
	s_andn2_b32 s16, s16, exec_lo
	s_and_b32 s73, s73, exec_lo
	s_or_b32 s16, s16, s73
	s_or_b32 exec_lo, exec_lo, s23
	s_and_saveexec_b32 s23, s16
	s_cbranch_execnz .LBB4_8930
	s_branch .LBB4_8931
.LBB4_9132:                             ;   in Loop: Header=BB4_8450 Depth=3
	s_or_saveexec_b32 s23, s23
	v_mov_b32_e32 v84, 0x7f800001
	s_xor_b32 exec_lo, exec_lo, s23
	s_cbranch_execz .LBB4_8937
.LBB4_9133:                             ;   in Loop: Header=BB4_8450 Depth=3
	v_cmp_ne_u16_sdwa s73, v81, v2 src0_sel:BYTE_0 src1_sel:DWORD
	v_mov_b32_e32 v84, 0
	s_andn2_b32 s16, s16, exec_lo
	s_and_b32 s73, s73, exec_lo
	s_or_b32 s16, s16, s73
	s_or_b32 exec_lo, exec_lo, s23
	s_and_saveexec_b32 s23, s16
	s_cbranch_execnz .LBB4_8938
	s_branch .LBB4_8939
.LBB4_9134:                             ;   in Loop: Header=BB4_8450 Depth=3
	s_or_saveexec_b32 s23, s23
	v_mov_b32_e32 v81, 0x7f800001
	s_xor_b32 exec_lo, exec_lo, s23
	s_cbranch_execz .LBB4_8943
.LBB4_9135:                             ;   in Loop: Header=BB4_8450 Depth=3
	v_cmp_ne_u16_sdwa s73, v80, v2 src0_sel:BYTE_0 src1_sel:DWORD
	v_mov_b32_e32 v81, 0
	s_andn2_b32 s16, s16, exec_lo
	s_and_b32 s73, s73, exec_lo
	s_or_b32 s16, s16, s73
	s_or_b32 exec_lo, exec_lo, s23
	s_and_saveexec_b32 s23, s16
	s_cbranch_execnz .LBB4_8944
	s_branch .LBB4_8945
.LBB4_9136:                             ;   in Loop: Header=BB4_8450 Depth=3
	s_or_saveexec_b32 s23, s23
	v_mov_b32_e32 v81, 0x7f800001
	s_xor_b32 exec_lo, exec_lo, s23
	s_cbranch_execz .LBB4_8959
.LBB4_9137:                             ;   in Loop: Header=BB4_8450 Depth=3
	v_cmp_ne_u16_sdwa s73, v69, v2 src0_sel:BYTE_0 src1_sel:DWORD
	v_mov_b32_e32 v81, 0
	s_andn2_b32 s16, s16, exec_lo
	s_and_b32 s73, s73, exec_lo
	s_or_b32 s16, s16, s73
	s_or_b32 exec_lo, exec_lo, s23
	s_and_saveexec_b32 s23, s16
	s_cbranch_execnz .LBB4_8960
	s_branch .LBB4_8961
.LBB4_9138:                             ;   in Loop: Header=BB4_8450 Depth=3
	s_or_saveexec_b32 s23, s23
	v_mov_b32_e32 v84, 0x7f800001
	s_xor_b32 exec_lo, exec_lo, s23
	s_cbranch_execz .LBB4_8965
.LBB4_9139:                             ;   in Loop: Header=BB4_8450 Depth=3
	v_cmp_ne_u16_sdwa s73, v23, v2 src0_sel:BYTE_0 src1_sel:DWORD
	v_mov_b32_e32 v84, 0
	s_andn2_b32 s16, s16, exec_lo
	s_and_b32 s73, s73, exec_lo
	s_or_b32 s16, s16, s73
	s_or_b32 exec_lo, exec_lo, s23
	s_and_saveexec_b32 s23, s16
	s_cbranch_execnz .LBB4_8966
	s_branch .LBB4_8967
.LBB4_9140:                             ;   in Loop: Header=BB4_8450 Depth=3
	s_or_saveexec_b32 s23, s23
	v_mov_b32_e32 v81, 0x7f800001
	s_xor_b32 exec_lo, exec_lo, s23
	s_cbranch_execz .LBB4_8973
.LBB4_9141:                             ;   in Loop: Header=BB4_8450 Depth=3
	v_cmp_ne_u16_sdwa s73, v69, v2 src0_sel:BYTE_0 src1_sel:DWORD
	v_mov_b32_e32 v81, 0
	s_andn2_b32 s16, s16, exec_lo
	s_and_b32 s73, s73, exec_lo
	s_or_b32 s16, s16, s73
	s_or_b32 exec_lo, exec_lo, s23
	s_and_saveexec_b32 s23, s16
	s_cbranch_execnz .LBB4_8974
	s_branch .LBB4_8975
.LBB4_9142:                             ;   in Loop: Header=BB4_8450 Depth=3
	s_or_saveexec_b32 s23, s23
	v_mov_b32_e32 v69, 0x7f800001
	s_xor_b32 exec_lo, exec_lo, s23
	s_cbranch_execz .LBB4_8979
.LBB4_9143:                             ;   in Loop: Header=BB4_8450 Depth=3
	v_cmp_ne_u16_sdwa s73, v23, v2 src0_sel:BYTE_0 src1_sel:DWORD
	v_mov_b32_e32 v69, 0
	s_andn2_b32 s16, s16, exec_lo
	s_and_b32 s73, s73, exec_lo
	s_or_b32 s16, s16, s73
	s_or_b32 exec_lo, exec_lo, s23
	s_and_saveexec_b32 s23, s16
	s_cbranch_execnz .LBB4_8980
	s_branch .LBB4_8981
.LBB4_9144:                             ;   in Loop: Header=BB4_8450 Depth=3
	s_or_saveexec_b32 s23, s23
	v_mov_b32_e32 v69, 0x7f800001
	s_xor_b32 exec_lo, exec_lo, s23
	s_cbranch_execz .LBB4_8995
.LBB4_9145:                             ;   in Loop: Header=BB4_8450 Depth=3
	v_cmp_ne_u16_sdwa s73, v21, v2 src0_sel:BYTE_0 src1_sel:DWORD
	v_mov_b32_e32 v69, 0
	s_andn2_b32 s16, s16, exec_lo
	s_and_b32 s73, s73, exec_lo
	s_or_b32 s16, s16, s73
	s_or_b32 exec_lo, exec_lo, s23
	s_and_saveexec_b32 s23, s16
	s_cbranch_execnz .LBB4_8996
	s_branch .LBB4_8997
.LBB4_9146:                             ;   in Loop: Header=BB4_8450 Depth=3
	s_or_saveexec_b32 s23, s23
	v_mov_b32_e32 v81, 0x7f800001
	s_xor_b32 exec_lo, exec_lo, s23
	s_cbranch_execz .LBB4_9001
.LBB4_9147:                             ;   in Loop: Header=BB4_8450 Depth=3
	v_cmp_ne_u16_sdwa s73, v20, v2 src0_sel:BYTE_0 src1_sel:DWORD
	v_mov_b32_e32 v81, 0
	s_andn2_b32 s16, s16, exec_lo
	s_and_b32 s73, s73, exec_lo
	s_or_b32 s16, s16, s73
	s_or_b32 exec_lo, exec_lo, s23
	s_and_saveexec_b32 s23, s16
	s_cbranch_execnz .LBB4_9002
	s_branch .LBB4_9003
.LBB4_9148:                             ;   in Loop: Header=BB4_8450 Depth=3
	s_or_saveexec_b32 s23, s23
	v_mov_b32_e32 v69, 0x7f800001
	s_xor_b32 exec_lo, exec_lo, s23
	s_cbranch_execz .LBB4_9009
.LBB4_9149:                             ;   in Loop: Header=BB4_8450 Depth=3
	v_cmp_ne_u16_sdwa s73, v21, v2 src0_sel:BYTE_0 src1_sel:DWORD
	v_mov_b32_e32 v69, 0
	s_andn2_b32 s16, s16, exec_lo
	s_and_b32 s73, s73, exec_lo
	s_or_b32 s16, s16, s73
	s_or_b32 exec_lo, exec_lo, s23
	s_and_saveexec_b32 s23, s16
	s_cbranch_execnz .LBB4_9010
	s_branch .LBB4_9011
.LBB4_9150:                             ;   in Loop: Header=BB4_8450 Depth=3
	s_or_saveexec_b32 s23, s23
	v_mov_b32_e32 v21, 0x7f800001
	s_xor_b32 exec_lo, exec_lo, s23
	s_cbranch_execz .LBB4_9015
.LBB4_9151:                             ;   in Loop: Header=BB4_8450 Depth=3
	v_cmp_ne_u16_sdwa s73, v20, v2 src0_sel:BYTE_0 src1_sel:DWORD
	v_mov_b32_e32 v21, 0
	s_andn2_b32 s16, s16, exec_lo
	s_and_b32 s73, s73, exec_lo
	s_or_b32 s16, s16, s73
	s_or_b32 exec_lo, exec_lo, s23
	s_and_saveexec_b32 s23, s16
	s_cbranch_execnz .LBB4_9016
	s_branch .LBB4_9017
.LBB4_9152:                             ;   in Loop: Header=BB4_3351 Depth=2
	s_or_b32 exec_lo, exec_lo, s22
.LBB4_9153:                             ;   in Loop: Header=BB4_3351 Depth=2
	s_or_b32 exec_lo, exec_lo, s18
	v_lshlrev_b32_e32 v8, 9, v19
	v_cmp_ne_u32_e32 vcc_lo, v15, v8
	s_and_b32 exec_lo, exec_lo, vcc_lo
	s_cbranch_execz .LBB4_9201
; %bb.9154:                             ;   in Loop: Header=BB4_3351 Depth=2
	v_lshlrev_b32_e32 v9, 5, v17
	v_lshlrev_b32_e32 v10, 5, v18
	v_sub_nc_u32_e32 v9, v16, v9
	v_sub_nc_u32_e32 v9, v9, v10
	v_add_nc_u32_e32 v8, v8, v9
	v_sub_nc_u32_e32 v15, v15, v8
	v_cmp_lt_i32_e32 vcc_lo, 0, v15
	s_and_b32 exec_lo, exec_lo, vcc_lo
	s_cbranch_execz .LBB4_9201
; %bb.9155:                             ;   in Loop: Header=BB4_3351 Depth=2
	s_trap 2
	ds_read_b128 v[9:12], v0
	ds_read_b64 v[16:17], v0
	v_add_nc_u32_e32 v13, v8, v14
	s_bitcmp1_b32 s72, 0
	s_mov_b32 s18, 0
	s_cselect_b32 s19, -1, 0
	v_ashrrev_i32_e32 v14, 31, v13
	s_waitcnt lgkmcnt(1)
	v_add_co_u32 v8, vcc_lo, v9, v13
	v_add_co_ci_u32_e64 v9, null, v10, v14, vcc_lo
	v_add_co_u32 v10, vcc_lo, v11, v13
	v_add_co_ci_u32_e64 v11, null, v12, v14, vcc_lo
	s_waitcnt lgkmcnt(0)
	v_add_co_u32 v12, vcc_lo, v16, v13
	v_add_co_ci_u32_e64 v13, null, v17, v14, vcc_lo
	s_branch .LBB4_9159
.LBB4_9156:                             ;   in Loop: Header=BB4_9159 Depth=3
	s_or_b32 exec_lo, exec_lo, s16
	v_lshrrev_b32_e32 v16, 20, v16
	v_cmp_gt_i32_e32 vcc_lo, 16, v14
	v_min_i32_e32 v17, 15, v14
	v_and_b32_sdwa v18, v18, v118 dst_sel:DWORD dst_unused:UNUSED_PAD src0_sel:BYTE_3 src1_sel:DWORD
	v_cndmask_b32_e32 v16, 7, v16, vcc_lo
	v_lshlrev_b32_e32 v17, 3, v17
	v_and_b32_e32 v19, 7, v16
	v_or_b32_e32 v14, v14, v16
	v_or3_b32 v16, v17, v18, v19
	v_cmp_ne_u32_e32 vcc_lo, 0, v14
	v_cndmask_b32_e32 v14, 0, v16, vcc_lo
.LBB4_9157:                             ;   in Loop: Header=BB4_9159 Depth=3
	s_or_b32 exec_lo, exec_lo, s23
.LBB4_9158:                             ;   in Loop: Header=BB4_9159 Depth=3
	s_or_b32 exec_lo, exec_lo, s22
	v_sub_nc_u32_e32 v15, v15, v114
	v_add_co_u32 v8, vcc_lo, v8, v114
	v_add_co_ci_u32_e64 v9, null, 0, v9, vcc_lo
	v_add_co_u32 v10, vcc_lo, v10, v114
	flat_store_byte v[12:13], v14 glc slc
	v_add_co_ci_u32_e64 v11, null, 0, v11, vcc_lo
	v_cmp_gt_i32_e32 vcc_lo, 1, v15
	v_add_co_u32 v12, s16, v12, v114
	v_add_co_ci_u32_e64 v13, null, 0, v13, s16
	s_or_b32 s18, vcc_lo, s18
	s_andn2_b32 exec_lo, exec_lo, s18
	s_cbranch_execz .LBB4_9201
.LBB4_9159:                             ;   Parent Loop BB4_47 Depth=1
                                        ;     Parent Loop BB4_3351 Depth=2
                                        ; =>    This Inner Loop Header: Depth=3
	flat_load_ubyte v16, v[10:11] slc
	s_waitcnt vmcnt(1) lgkmcnt(2)
	flat_load_ubyte v17, v[8:9] slc
	s_mov_b32 s16, -1
	s_waitcnt vmcnt(1) lgkmcnt(1)
	v_and_b32_e32 v14, 7, v16
	v_bfe_u32 v20, v16, 3, 4
	v_lshlrev_b32_e32 v21, 24, v16
	v_ffbh_u32_e32 v18, v14
	v_cmp_eq_u32_e32 vcc_lo, 0, v20
	v_min_u32_e32 v18, 32, v18
	v_subrev_nc_u32_e32 v19, 28, v18
	v_sub_nc_u32_e32 v18, 29, v18
	v_lshlrev_b32_e32 v19, v19, v16
	v_cndmask_b32_e32 v18, v20, v18, vcc_lo
	v_and_b32_e32 v19, 7, v19
	v_lshl_add_u32 v18, v18, 23, 0x3b800000
	v_cndmask_b32_e32 v14, v14, v19, vcc_lo
	v_and_b32_e32 v19, 0x80000000, v21
	s_and_b32 vcc_lo, exec_lo, s19
	v_lshlrev_b32_e32 v14, 20, v14
	v_or3_b32 v14, v19, v18, v14
                                        ; implicit-def: $vgpr18
	s_cbranch_vccz .LBB4_9173
; %bb.9160:                             ;   in Loop: Header=BB4_9159 Depth=3
	s_waitcnt vmcnt(0) lgkmcnt(0)
	v_cmp_gt_i16_sdwa s22, v17, v117 src0_sel:BYTE_0 src1_sel:DWORD
	s_mov_b32 s16, 0
	s_and_saveexec_b32 s23, s22
	s_xor_b32 s22, exec_lo, s23
	s_cbranch_execz .LBB4_9193
; %bb.9161:                             ;   in Loop: Header=BB4_9159 Depth=3
	v_cmp_eq_u16_sdwa s72, v17, v118 src0_sel:BYTE_0 src1_sel:DWORD
	s_mov_b32 s16, -1
	s_and_saveexec_b32 s23, s72
; %bb.9162:                             ;   in Loop: Header=BB4_9159 Depth=3
	s_xor_b32 s16, exec_lo, -1
; %bb.9163:                             ;   in Loop: Header=BB4_9159 Depth=3
	s_or_b32 exec_lo, exec_lo, s23
	s_and_b32 s16, s16, exec_lo
	s_or_saveexec_b32 s22, s22
	v_mov_b32_e32 v18, 0x7f800001
	s_xor_b32 exec_lo, exec_lo, s22
	s_cbranch_execnz .LBB4_9194
.LBB4_9164:                             ;   in Loop: Header=BB4_9159 Depth=3
	s_or_b32 exec_lo, exec_lo, s22
	s_and_saveexec_b32 s22, s16
	s_cbranch_execz .LBB4_9166
.LBB4_9165:                             ;   in Loop: Header=BB4_9159 Depth=3
	v_and_b32_e32 v18, 7, v17
	v_lshrrev_b16 v20, 3, v17
	v_lshlrev_b32_e32 v22, 24, v17
	v_ffbh_u32_e32 v19, v18
	v_and_b32_e32 v20, 15, v20
	v_min_u32_e32 v19, 32, v19
	v_cmp_eq_u32_e32 vcc_lo, 0, v20
	v_subrev_nc_u32_e32 v21, 28, v19
	v_sub_nc_u32_e32 v19, 29, v19
	v_lshlrev_b32_e32 v21, v21, v17
	v_cndmask_b32_e32 v19, v20, v19, vcc_lo
	v_and_b32_e32 v20, 0x80000000, v22
	v_and_b32_e32 v21, 7, v21
	v_lshl_add_u32 v19, v19, 23, 0x3b800000
	v_cndmask_b32_e32 v18, v18, v21, vcc_lo
	v_lshlrev_b32_e32 v18, 20, v18
	v_or3_b32 v18, v20, v19, v18
.LBB4_9166:                             ;   in Loop: Header=BB4_9159 Depth=3
	s_or_b32 exec_lo, exec_lo, s22
	v_cmp_gt_i16_sdwa s22, v16, v117 src0_sel:BYTE_0 src1_sel:DWORD
	s_mov_b32 s16, 0
	s_and_saveexec_b32 s23, s22
	s_xor_b32 s22, exec_lo, s23
	s_cbranch_execz .LBB4_9195
; %bb.9167:                             ;   in Loop: Header=BB4_9159 Depth=3
	v_cmp_eq_u16_sdwa s72, v16, v118 src0_sel:BYTE_0 src1_sel:DWORD
	s_mov_b32 s16, -1
	s_and_saveexec_b32 s23, s72
; %bb.9168:                             ;   in Loop: Header=BB4_9159 Depth=3
	s_xor_b32 s16, exec_lo, -1
; %bb.9169:                             ;   in Loop: Header=BB4_9159 Depth=3
	s_or_b32 exec_lo, exec_lo, s23
	s_and_b32 s16, s16, exec_lo
	s_or_saveexec_b32 s22, s22
	v_mov_b32_e32 v19, 0x7f800001
	s_xor_b32 exec_lo, exec_lo, s22
	s_cbranch_execnz .LBB4_9196
.LBB4_9170:                             ;   in Loop: Header=BB4_9159 Depth=3
	s_or_b32 exec_lo, exec_lo, s22
	s_and_saveexec_b32 s22, s16
.LBB4_9171:                             ;   in Loop: Header=BB4_9159 Depth=3
	v_mov_b32_e32 v19, v14
.LBB4_9172:                             ;   in Loop: Header=BB4_9159 Depth=3
	s_or_b32 exec_lo, exec_lo, s22
	v_max_f32_e32 v19, v19, v19
	v_max_f32_e32 v18, v18, v18
	s_mov_b32 s16, 0
	v_max_f32_e32 v18, v18, v19
.LBB4_9173:                             ;   in Loop: Header=BB4_9159 Depth=3
	s_and_b32 vcc_lo, exec_lo, s16
	s_cbranch_vccz .LBB4_9187
; %bb.9174:                             ;   in Loop: Header=BB4_9159 Depth=3
	s_waitcnt vmcnt(0) lgkmcnt(0)
	v_cmp_gt_i16_sdwa s22, v17, v117 src0_sel:BYTE_0 src1_sel:DWORD
	s_mov_b32 s16, 0
	s_and_saveexec_b32 s23, s22
	s_xor_b32 s22, exec_lo, s23
	s_cbranch_execz .LBB4_9197
; %bb.9175:                             ;   in Loop: Header=BB4_9159 Depth=3
	v_cmp_eq_u16_sdwa s72, v17, v118 src0_sel:BYTE_0 src1_sel:DWORD
	s_mov_b32 s16, -1
	s_and_saveexec_b32 s23, s72
; %bb.9176:                             ;   in Loop: Header=BB4_9159 Depth=3
	s_xor_b32 s16, exec_lo, -1
; %bb.9177:                             ;   in Loop: Header=BB4_9159 Depth=3
	s_or_b32 exec_lo, exec_lo, s23
	s_and_b32 s16, s16, exec_lo
	s_or_saveexec_b32 s22, s22
	v_mov_b32_e32 v18, 0x7f800001
	s_xor_b32 exec_lo, exec_lo, s22
	s_cbranch_execnz .LBB4_9198
.LBB4_9178:                             ;   in Loop: Header=BB4_9159 Depth=3
	s_or_b32 exec_lo, exec_lo, s22
	s_and_saveexec_b32 s22, s16
	s_cbranch_execz .LBB4_9180
.LBB4_9179:                             ;   in Loop: Header=BB4_9159 Depth=3
	v_and_b32_e32 v18, 7, v17
	v_lshrrev_b16 v20, 3, v17
	v_ffbh_u32_e32 v19, v18
	v_and_b32_e32 v20, 15, v20
	v_min_u32_e32 v19, 32, v19
	v_cmp_eq_u32_e32 vcc_lo, 0, v20
	v_subrev_nc_u32_e32 v21, 28, v19
	v_sub_nc_u32_e32 v19, 29, v19
	v_lshlrev_b32_e32 v21, v21, v17
	v_lshlrev_b32_e32 v17, 24, v17
	v_cndmask_b32_e32 v19, v20, v19, vcc_lo
	v_and_b32_e32 v21, 7, v21
	v_and_b32_e32 v17, 0x80000000, v17
	v_lshl_add_u32 v19, v19, 23, 0x3b800000
	v_cndmask_b32_e32 v18, v18, v21, vcc_lo
	v_lshlrev_b32_e32 v18, 20, v18
	v_or3_b32 v18, v17, v19, v18
.LBB4_9180:                             ;   in Loop: Header=BB4_9159 Depth=3
	s_or_b32 exec_lo, exec_lo, s22
	v_cmp_gt_i16_sdwa s22, v16, v117 src0_sel:BYTE_0 src1_sel:DWORD
	s_mov_b32 s16, 0
	s_and_saveexec_b32 s23, s22
	s_xor_b32 s22, exec_lo, s23
	s_cbranch_execz .LBB4_9199
; %bb.9181:                             ;   in Loop: Header=BB4_9159 Depth=3
	v_cmp_eq_u16_sdwa s72, v16, v118 src0_sel:BYTE_0 src1_sel:DWORD
	s_mov_b32 s16, -1
	s_and_saveexec_b32 s23, s72
; %bb.9182:                             ;   in Loop: Header=BB4_9159 Depth=3
	s_xor_b32 s16, exec_lo, -1
; %bb.9183:                             ;   in Loop: Header=BB4_9159 Depth=3
	s_or_b32 exec_lo, exec_lo, s23
	s_and_b32 s16, s16, exec_lo
                                        ; implicit-def: $vgpr16
	s_or_saveexec_b32 s22, s22
	v_mov_b32_e32 v17, 0x7f800001
	s_xor_b32 exec_lo, exec_lo, s22
	s_cbranch_execnz .LBB4_9200
.LBB4_9184:                             ;   in Loop: Header=BB4_9159 Depth=3
	s_or_b32 exec_lo, exec_lo, s22
	s_and_saveexec_b32 s22, s16
.LBB4_9185:                             ;   in Loop: Header=BB4_9159 Depth=3
	v_mov_b32_e32 v17, v14
.LBB4_9186:                             ;   in Loop: Header=BB4_9159 Depth=3
	s_or_b32 exec_lo, exec_lo, s22
	v_max_f32_e32 v14, v17, v17
	v_max_f32_e32 v16, v18, v18
	v_min_f32_e32 v18, v16, v14
.LBB4_9187:                             ;   in Loop: Header=BB4_9159 Depth=3
	v_and_b32_e32 v14, 0x7f800000, v18
	v_cmp_ne_u32_e32 vcc_lo, 0x7f800000, v14
	v_mov_b32_e32 v14, 0x80
	s_and_saveexec_b32 s22, vcc_lo
	s_cbranch_execz .LBB4_9158
; %bb.9188:                             ;   in Loop: Header=BB4_9159 Depth=3
	v_mov_b32_e32 v14, 0
	s_mov_b32 s23, exec_lo
	v_cmpx_ne_u32_e32 0, v18
	s_cbranch_execz .LBB4_9157
; %bb.9189:                             ;   in Loop: Header=BB4_9159 Depth=3
	v_bfe_u32 v14, v18, 23, 8
	v_and_b32_e32 v16, 0x7fffff, v18
	s_waitcnt vmcnt(0) lgkmcnt(0)
	v_sub_nc_u32_e32 v17, 0x78, v14
	v_cmp_gt_u32_e32 vcc_lo, 0x79, v14
	v_or_b32_e32 v19, 0x800000, v16
	v_cndmask_b32_e32 v17, 0, v17, vcc_lo
	v_cmp_eq_u32_e32 vcc_lo, 0, v14
	v_add_nc_u32_e32 v14, 0xffffff89, v14
	v_cndmask_b32_e64 v17, v17, 0x77, vcc_lo
	v_cndmask_b32_e32 v16, v19, v16, vcc_lo
	v_cndmask_b32_e64 v14, v14, 0xffffff8a, vcc_lo
	v_lshl_add_u32 v19, 0x100000, v17, -1
	v_lshrrev_b32_e32 v20, v17, v16
	v_lshlrev_b32_e64 v22, v17, 0x80000
	v_add_nc_u32_e32 v17, v17, v14
	v_and_b32_e32 v16, v19, v16
	v_bfe_u32 v21, v20, 20, 1
	v_cmp_eq_u32_e64 s16, v16, v22
	v_add_nc_u32_e32 v19, -1, v21
	v_cndmask_b32_e64 v16, 0, v19, s16
	v_lshrrev_b32_e32 v19, 23, v20
	s_mov_b32 s16, exec_lo
	v_add_nc_u32_e32 v16, v16, v20
	v_xor_b32_e32 v19, 1, v19
	v_and_b32_e32 v14, 0xfffff, v16
	v_add_nc_u32_e32 v16, v14, v20
                                        ; implicit-def: $vgpr14
	v_cmpx_ne_u32_e64 v17, v19
	s_xor_b32 s16, exec_lo, s16
; %bb.9190:                             ;   in Loop: Header=BB4_9159 Depth=3
	v_cmp_lt_u32_e32 vcc_lo, 0xffffff, v16
	v_sub_nc_u32_e32 v14, v17, v19
	v_cndmask_b32_e64 v17, 0, 1, vcc_lo
	v_add_co_ci_u32_e64 v14, null, 0, v14, vcc_lo
	v_lshrrev_b32_e32 v16, v17, v16
; %bb.9191:                             ;   in Loop: Header=BB4_9159 Depth=3
	s_andn2_saveexec_b32 s16, s16
	s_cbranch_execz .LBB4_9156
; %bb.9192:                             ;   in Loop: Header=BB4_9159 Depth=3
	v_bfe_u32 v14, v16, 23, 1
	s_branch .LBB4_9156
.LBB4_9193:                             ;   in Loop: Header=BB4_9159 Depth=3
	s_or_saveexec_b32 s22, s22
	v_mov_b32_e32 v18, 0x7f800001
	s_xor_b32 exec_lo, exec_lo, s22
	s_cbranch_execz .LBB4_9164
.LBB4_9194:                             ;   in Loop: Header=BB4_9159 Depth=3
	v_cmp_ne_u16_sdwa s23, v17, v2 src0_sel:BYTE_0 src1_sel:DWORD
	v_mov_b32_e32 v18, 0
	s_andn2_b32 s16, s16, exec_lo
	s_and_b32 s23, s23, exec_lo
	s_or_b32 s16, s16, s23
	s_or_b32 exec_lo, exec_lo, s22
	s_and_saveexec_b32 s22, s16
	s_cbranch_execnz .LBB4_9165
	s_branch .LBB4_9166
.LBB4_9195:                             ;   in Loop: Header=BB4_9159 Depth=3
	s_or_saveexec_b32 s22, s22
	v_mov_b32_e32 v19, 0x7f800001
	s_xor_b32 exec_lo, exec_lo, s22
	s_cbranch_execz .LBB4_9170
.LBB4_9196:                             ;   in Loop: Header=BB4_9159 Depth=3
	v_cmp_ne_u16_sdwa s23, v16, v2 src0_sel:BYTE_0 src1_sel:DWORD
	v_mov_b32_e32 v19, 0
	s_andn2_b32 s16, s16, exec_lo
	s_and_b32 s23, s23, exec_lo
	s_or_b32 s16, s16, s23
	s_or_b32 exec_lo, exec_lo, s22
	s_and_saveexec_b32 s22, s16
	s_cbranch_execnz .LBB4_9171
	s_branch .LBB4_9172
.LBB4_9197:                             ;   in Loop: Header=BB4_9159 Depth=3
	s_or_saveexec_b32 s22, s22
	v_mov_b32_e32 v18, 0x7f800001
	s_xor_b32 exec_lo, exec_lo, s22
	s_cbranch_execz .LBB4_9178
.LBB4_9198:                             ;   in Loop: Header=BB4_9159 Depth=3
	v_cmp_ne_u16_sdwa s23, v17, v2 src0_sel:BYTE_0 src1_sel:DWORD
	v_mov_b32_e32 v18, 0
	s_andn2_b32 s16, s16, exec_lo
	s_and_b32 s23, s23, exec_lo
	s_or_b32 s16, s16, s23
	s_or_b32 exec_lo, exec_lo, s22
	s_and_saveexec_b32 s22, s16
	s_cbranch_execnz .LBB4_9179
	s_branch .LBB4_9180
.LBB4_9199:                             ;   in Loop: Header=BB4_9159 Depth=3
	s_or_saveexec_b32 s22, s22
	v_mov_b32_e32 v17, 0x7f800001
	s_xor_b32 exec_lo, exec_lo, s22
	s_cbranch_execz .LBB4_9184
.LBB4_9200:                             ;   in Loop: Header=BB4_9159 Depth=3
	v_cmp_ne_u16_sdwa s23, v16, v2 src0_sel:BYTE_0 src1_sel:DWORD
	v_mov_b32_e32 v17, 0
	s_andn2_b32 s16, s16, exec_lo
	s_and_b32 s23, s23, exec_lo
	s_or_b32 s16, s16, s23
	s_or_b32 exec_lo, exec_lo, s22
	s_and_saveexec_b32 s22, s16
	s_cbranch_execnz .LBB4_9185
	s_branch .LBB4_9186
.LBB4_9201:                             ;   in Loop: Header=BB4_3351 Depth=2
	s_or_b32 exec_lo, exec_lo, s17
.LBB4_9202:                             ;   in Loop: Header=BB4_3351 Depth=2
	v_cmp_lt_i32_e64 s16, 0, v76
	s_and_saveexec_b32 s17, s6
	s_cbranch_execnz .LBB4_9203
; %bb.9843:                             ;   in Loop: Header=BB4_3351 Depth=2
	s_getpc_b64 s[34:35]
.Lpost_getpc15:
	s_add_u32 s34, s34, (.LBB4_3427-.Lpost_getpc15)&4294967295
	s_addc_u32 s35, s35, (.LBB4_3427-.Lpost_getpc15)>>32
	s_setpc_b64 s[34:35]
.LBB4_9203:                             ;   in Loop: Header=BB4_3351 Depth=2
	s_and_saveexec_b32 s18, s29
	s_xor_b32 s18, exec_lo, s18
	s_cbranch_execz .LBB4_9218
; %bb.9204:                             ;   in Loop: Header=BB4_3351 Depth=2
	s_and_saveexec_b32 s19, s11
	s_cbranch_execz .LBB4_9217
; %bb.9205:                             ;   in Loop: Header=BB4_3351 Depth=2
	s_mov_b32 s23, exec_lo
	s_mov_b32 s22, exec_lo
	v_mbcnt_lo_u32_b32 v8, s23, 0
	s_waitcnt vmcnt(0) lgkmcnt(0)
	s_waitcnt_vscnt null, 0x0
	buffer_gl1_inv
	buffer_gl0_inv
	v_cmpx_eq_u32_e32 0, v8
	s_cbranch_execz .LBB4_9207
; %bb.9206:                             ;   in Loop: Header=BB4_3351 Depth=2
	s_bcnt1_i32_b32 s23, s23
	v_mov_b32_e32 v9, v2
	v_mov_b32_e32 v8, s23
	ds_add_u64 v0, v[8:9]
	s_trap 2
.LBB4_9207:                             ;   in Loop: Header=BB4_3351 Depth=2
	s_or_b32 exec_lo, exec_lo, s22
	s_trap 2
	ds_read_b64 v[8:9], v0
	s_waitcnt lgkmcnt(0)
	buffer_gl0_inv
	v_add_co_u32 v38, vcc_lo, v38, v103
	v_add_co_ci_u32_e64 v39, null, 0, v39, vcc_lo
	s_mov_b32 s22, exec_lo
	v_cmpx_lt_u64_e64 v[8:9], v[38:39]
	s_cbranch_execz .LBB4_9216
; %bb.9208:                             ;   in Loop: Header=BB4_3351 Depth=2
	s_mov_b32 s23, 0
	s_mov_b32 s74, 0
                                        ; implicit-def: $sgpr72
                                        ; implicit-def: $sgpr73
	s_inst_prefetch 0x1
	s_branch .LBB4_9210
	.p2align	6
.LBB4_9209:                             ;   in Loop: Header=BB4_9210 Depth=3
	s_or_b32 exec_lo, exec_lo, s76
	s_and_b32 s75, exec_lo, s77
	s_or_b32 s23, s75, s23
	s_andn2_b32 s72, s72, exec_lo
	s_and_b32 s75, s73, exec_lo
	s_or_b32 s72, s72, s75
	s_andn2_b32 exec_lo, exec_lo, s23
	s_cbranch_execz .LBB4_9214
.LBB4_9210:                             ;   Parent Loop BB4_47 Depth=1
                                        ;     Parent Loop BB4_3351 Depth=2
                                        ; =>    This Inner Loop Header: Depth=3
	s_add_i32 s74, s74, 1
	s_cmpk_lg_i32 s74, 0x2710
	s_cselect_b32 s75, -1, 0
	s_and_b32 vcc_lo, exec_lo, s75
	s_cbranch_vccz .LBB4_9212
; %bb.9211:                             ;   in Loop: Header=BB4_9210 Depth=3
	s_mov_b32 s77, -1
	s_or_b32 s73, s73, exec_lo
	s_and_saveexec_b32 s76, s75
	s_cbranch_execz .LBB4_9209
	s_branch .LBB4_9213
	.p2align	6
.LBB4_9212:                             ;   in Loop: Header=BB4_9210 Depth=3
	s_trap 2
	ds_read_b64 v[8:9], v0
	s_andn2_b32 s75, s75, exec_lo
	s_mov_b32 s74, 0
	s_waitcnt lgkmcnt(0)
	flat_load_dword v8, v[8:9] glc dlc
	s_waitcnt vmcnt(0) lgkmcnt(0)
	buffer_gl1_inv
	buffer_gl0_inv
	v_cmp_eq_u32_e32 vcc_lo, 0, v8
	s_and_b32 s76, vcc_lo, exec_lo
	s_or_b32 s75, s75, s76
	s_mov_b32 s77, -1
	s_or_b32 s73, s73, exec_lo
	s_and_saveexec_b32 s76, s75
	s_cbranch_execz .LBB4_9209
.LBB4_9213:                             ;   in Loop: Header=BB4_9210 Depth=3
	s_sleep 1
	s_trap 2
	ds_read_b64 v[8:9], v0
	s_waitcnt lgkmcnt(0)
	buffer_gl0_inv
	s_andn2_b32 s73, s73, exec_lo
	v_cmp_ge_u64_e32 vcc_lo, v[8:9], v[38:39]
	s_orn2_b32 s77, vcc_lo, exec_lo
	s_branch .LBB4_9209
.LBB4_9214:                             ;   in Loop: Header=BB4_3351 Depth=2
	s_inst_prefetch 0x2
	s_or_b32 exec_lo, exec_lo, s23
	s_and_saveexec_b32 s23, s72
	s_xor_b32 s23, exec_lo, s23
	s_cbranch_execz .LBB4_9216
; %bb.9215:                             ;   in Loop: Header=BB4_3351 Depth=2
	ds_write_b32 v0, v115
	s_trap 2
.LBB4_9216:                             ;   in Loop: Header=BB4_3351 Depth=2
	s_or_b32 exec_lo, exec_lo, s22
	;;#ASMSTART
	s_wakeup
	;;#ASMEND
.LBB4_9217:                             ;   in Loop: Header=BB4_3351 Depth=2
	s_or_b32 exec_lo, exec_lo, s19
.LBB4_9218:                             ;   in Loop: Header=BB4_3351 Depth=2
	s_andn2_saveexec_b32 s18, s18
	s_cbranch_execz .LBB4_9220
; %bb.9219:                             ;   in Loop: Header=BB4_3351 Depth=2
	s_waitcnt vmcnt(0) lgkmcnt(0)
	s_waitcnt_vscnt null, 0x0
	buffer_gl1_inv
	buffer_gl0_inv
	s_barrier
.LBB4_9220:                             ;   in Loop: Header=BB4_3351 Depth=2
	s_or_b32 exec_lo, exec_lo, s18
	s_or_b32 exec_lo, exec_lo, s17
                                        ; implicit-def: $vgpr8
	s_and_saveexec_b32 s17, s15
	s_xor_b32 s17, exec_lo, s17
	s_cbranch_execz .LBB4_9221
; %bb.9845:                             ;   in Loop: Header=BB4_3351 Depth=2
	s_getpc_b64 s[34:35]
.Lpost_getpc16:
	s_add_u32 s34, s34, (.LBB4_3428-.Lpost_getpc16)&4294967295
	s_addc_u32 s35, s35, (.LBB4_3428-.Lpost_getpc16)>>32
	s_setpc_b64 s[34:35]
.LBB4_9221:                             ;   in Loop: Header=BB4_3351 Depth=2
	s_andn2_saveexec_b32 s16, s17
	s_cbranch_execz .LBB4_9240
.LBB4_9222:                             ;   in Loop: Header=BB4_3351 Depth=2
	s_and_saveexec_b32 s17, s29
	s_xor_b32 s17, exec_lo, s17
	s_cbranch_execz .LBB4_9237
; %bb.9223:                             ;   in Loop: Header=BB4_3351 Depth=2
	s_and_saveexec_b32 s18, s11
	s_cbranch_execz .LBB4_9236
; %bb.9224:                             ;   in Loop: Header=BB4_3351 Depth=2
	s_mov_b32 s22, exec_lo
	s_mov_b32 s19, exec_lo
	v_mbcnt_lo_u32_b32 v8, s22, 0
	;;#ASMSTART
	s_waitcnt lgkmcnt(0) vmcnt(0)
	;;#ASMEND
	v_cmpx_eq_u32_e32 0, v8
	s_cbranch_execz .LBB4_9226
; %bb.9225:                             ;   in Loop: Header=BB4_3351 Depth=2
	s_bcnt1_i32_b32 s22, s22
	v_mov_b32_e32 v9, v2
	v_mov_b32_e32 v8, s22
	s_waitcnt vmcnt(0) lgkmcnt(0)
	s_waitcnt_vscnt null, 0x0
	ds_add_u64 v0, v[8:9]
	s_trap 2
.LBB4_9226:                             ;   in Loop: Header=BB4_3351 Depth=2
	s_or_b32 exec_lo, exec_lo, s19
	s_trap 2
	ds_read_b64 v[8:9], v0
	s_waitcnt vmcnt(0) lgkmcnt(0)
	buffer_gl0_inv
	v_add_co_u32 v38, vcc_lo, v38, v103
	v_add_co_ci_u32_e64 v39, null, 0, v39, vcc_lo
	s_mov_b32 s19, exec_lo
	v_cmpx_lt_u64_e64 v[8:9], v[38:39]
	s_cbranch_execz .LBB4_9235
; %bb.9227:                             ;   in Loop: Header=BB4_3351 Depth=2
	s_mov_b32 s22, 0
	s_mov_b32 s73, 0
                                        ; implicit-def: $sgpr23
                                        ; implicit-def: $sgpr72
	s_inst_prefetch 0x1
	s_branch .LBB4_9229
	.p2align	6
.LBB4_9228:                             ;   in Loop: Header=BB4_9229 Depth=3
	s_or_b32 exec_lo, exec_lo, s75
	s_and_b32 s74, exec_lo, s76
	s_or_b32 s22, s74, s22
	s_andn2_b32 s23, s23, exec_lo
	s_and_b32 s74, s72, exec_lo
	s_or_b32 s23, s23, s74
	s_andn2_b32 exec_lo, exec_lo, s22
	s_cbranch_execz .LBB4_9233
.LBB4_9229:                             ;   Parent Loop BB4_47 Depth=1
                                        ;     Parent Loop BB4_3351 Depth=2
                                        ; =>    This Inner Loop Header: Depth=3
	s_add_i32 s73, s73, 1
	s_cmpk_lg_i32 s73, 0x2710
	s_cselect_b32 s74, -1, 0
	s_and_b32 vcc_lo, exec_lo, s74
	s_cbranch_vccz .LBB4_9231
; %bb.9230:                             ;   in Loop: Header=BB4_9229 Depth=3
	s_mov_b32 s76, -1
	s_or_b32 s72, s72, exec_lo
	s_and_saveexec_b32 s75, s74
	s_cbranch_execz .LBB4_9228
	s_branch .LBB4_9232
	.p2align	6
.LBB4_9231:                             ;   in Loop: Header=BB4_9229 Depth=3
	s_trap 2
	ds_read_b64 v[8:9], v0
	s_andn2_b32 s74, s74, exec_lo
	s_mov_b32 s73, 0
	s_waitcnt lgkmcnt(0)
	s_waitcnt_vscnt null, 0x0
	flat_load_dword v8, v[8:9] glc dlc
	s_waitcnt vmcnt(0) lgkmcnt(0)
	buffer_gl1_inv
	buffer_gl0_inv
	v_cmp_eq_u32_e32 vcc_lo, 0, v8
	s_and_b32 s75, vcc_lo, exec_lo
	s_or_b32 s74, s74, s75
	s_mov_b32 s76, -1
	s_or_b32 s72, s72, exec_lo
	s_and_saveexec_b32 s75, s74
	s_cbranch_execz .LBB4_9228
.LBB4_9232:                             ;   in Loop: Header=BB4_9229 Depth=3
	s_sleep 1
	s_trap 2
	ds_read_b64 v[8:9], v0
	s_waitcnt lgkmcnt(0)
	buffer_gl0_inv
	s_andn2_b32 s72, s72, exec_lo
	v_cmp_ge_u64_e32 vcc_lo, v[8:9], v[38:39]
	s_orn2_b32 s76, vcc_lo, exec_lo
	s_branch .LBB4_9228
.LBB4_9233:                             ;   in Loop: Header=BB4_3351 Depth=2
	s_inst_prefetch 0x2
	s_or_b32 exec_lo, exec_lo, s22
	s_and_saveexec_b32 s22, s23
	s_xor_b32 s22, exec_lo, s22
	s_cbranch_execz .LBB4_9235
; %bb.9234:                             ;   in Loop: Header=BB4_3351 Depth=2
	ds_write_b32 v0, v115
	s_trap 2
.LBB4_9235:                             ;   in Loop: Header=BB4_3351 Depth=2
	s_or_b32 exec_lo, exec_lo, s19
	;;#ASMSTART
	s_wakeup
	;;#ASMEND
.LBB4_9236:                             ;   in Loop: Header=BB4_3351 Depth=2
	s_or_b32 exec_lo, exec_lo, s18
.LBB4_9237:                             ;   in Loop: Header=BB4_3351 Depth=2
	s_andn2_saveexec_b32 s17, s17
	s_cbranch_execz .LBB4_9239
; %bb.9238:                             ;   in Loop: Header=BB4_3351 Depth=2
	;;#ASMSTART
	s_waitcnt lgkmcnt(0) vmcnt(0)
	;;#ASMEND
	s_barrier
.LBB4_9239:                             ;   in Loop: Header=BB4_3351 Depth=2
	s_or_b32 exec_lo, exec_lo, s17
	v_and_b32_e32 v8, 16, v100
.LBB4_9240:                             ;   in Loop: Header=BB4_3351 Depth=2
	s_or_b32 exec_lo, exec_lo, s16
	v_cmp_ne_u32_e32 vcc_lo, 0, v8
	s_xor_b32 s16, s7, -1
	s_and_b32 s17, vcc_lo, s16
	s_and_saveexec_b32 s16, s17
	s_cbranch_execz .LBB4_9242
; %bb.9241:                             ;   in Loop: Header=BB4_3351 Depth=2
	s_waitcnt vmcnt(0) lgkmcnt(0)
	s_waitcnt_vscnt null, 0x0
	flat_store_dword v[36:37], v115
.LBB4_9242:                             ;   in Loop: Header=BB4_3351 Depth=2
	s_or_b32 exec_lo, exec_lo, s16
	v_and_b32_e32 v8, 48, v100
	s_mov_b32 s16, exec_lo
	v_cmpx_ne_u32_e32 0, v8
	s_cbranch_execnz .LBB4_9243
; %bb.9847:                             ;   in Loop: Header=BB4_3351 Depth=2
	s_getpc_b64 s[34:35]
.Lpost_getpc17:
	s_add_u32 s34, s34, (.LBB4_3350-.Lpost_getpc17)&4294967295
	s_addc_u32 s35, s35, (.LBB4_3350-.Lpost_getpc17)>>32
	s_setpc_b64 s[34:35]
.LBB4_9243:                             ;   in Loop: Header=BB4_3351 Depth=2
	v_add_co_u32 v64, vcc_lo, v64, 2
	v_add_co_ci_u32_e64 v65, null, 0, v65, vcc_lo
	s_waitcnt vmcnt(0) lgkmcnt(0)
	s_waitcnt_vscnt null, 0x0
	flat_store_dwordx2 v[32:33], v[64:65]
; %bb.9825:                             ;   in Loop: Header=BB4_3351 Depth=2
	s_getpc_b64 s[34:35]
.Lpost_getpc6:
	s_add_u32 s34, s34, (.LBB4_3350-.Lpost_getpc6)&4294967295
	s_addc_u32 s35, s35, (.LBB4_3350-.Lpost_getpc6)>>32
	s_setpc_b64 s[34:35]
.LBB4_9244:                             ;   in Loop: Header=BB4_47 Depth=1
	s_or_b32 exec_lo, exec_lo, s61
.LBB4_9245:                             ;   in Loop: Header=BB4_47 Depth=1
	s_or_b32 exec_lo, exec_lo, s21
	s_mov_b32 s17, exec_lo
	v_cmpx_gt_i32_e32 2, v10
	s_cbranch_execz .LBB4_9321
; %bb.9246:                             ;   in Loop: Header=BB4_47 Depth=1
	v_cmp_eq_u32_e64 s19, 0, v10
	s_mov_b32 s18, 0
	s_branch .LBB4_9248
.LBB4_9247:                             ;   in Loop: Header=BB4_9248 Depth=2
	s_or_b32 exec_lo, exec_lo, s16
	v_add_nc_u32_e32 v71, v68, v71
	s_mov_b32 s19, 0
	s_andn2_b32 exec_lo, exec_lo, s18
	s_cbranch_execz .LBB4_9320
.LBB4_9248:                             ;   Parent Loop BB4_47 Depth=1
                                        ; =>  This Loop Header: Depth=2
                                        ;       Child Loop BB4_9254 Depth 3
                                        ;       Child Loop BB4_9282 Depth 3
	;; [unrolled: 1-line block ×3, first 2 shown]
	v_sub_nc_u32_e32 v8, v3, v71
	v_and_b32_e32 v9, 12, v100
	s_mov_b32 s21, exec_lo
	v_min_i32_e32 v68, v68, v8
	v_cmpx_ne_u32_e32 0, v9
	s_cbranch_execz .LBB4_9274
; %bb.9249:                             ;   in Loop: Header=BB4_9248 Depth=2
	v_and_b32_e32 v16, 8, v100
	s_mov_b32 s22, exec_lo
	s_waitcnt vmcnt(0) lgkmcnt(1)
	v_add_co_u32 v10, vcc_lo, v48, v16
	v_add_co_ci_u32_e64 v11, null, 0, v49, vcc_lo
	v_add_co_u32 v8, vcc_lo, v64, 2
	v_add_co_ci_u32_e64 v9, null, 0, v65, vcc_lo
	v_cmpx_lt_u64_e64 v[10:11], v[8:9]
	s_cbranch_execz .LBB4_9261
; %bb.9250:                             ;   in Loop: Header=BB4_9248 Depth=2
	v_and_b32_e32 v10, 64, v100
	s_mov_b32 s23, 0
	s_mov_b32 s72, 0
                                        ; implicit-def: $sgpr61
                                        ; implicit-def: $sgpr62
                                        ; implicit-def: $sgpr63
	v_cmp_eq_u32_e32 vcc_lo, 0, v10
	s_branch .LBB4_9254
.LBB4_9251:                             ;   in Loop: Header=BB4_9254 Depth=3
	s_waitcnt vmcnt(0) lgkmcnt(0)
	v_add_co_u32 v11, s16, v48, v16
	v_add_co_ci_u32_e64 v12, null, 0, v49, s16
	s_or_b32 s75, s75, exec_lo
	v_cmp_ge_u64_e64 s16, v[11:12], v[8:9]
	s_orn2_b32 s74, s16, exec_lo
.LBB4_9252:                             ;   in Loop: Header=BB4_9254 Depth=3
	s_or_b32 exec_lo, exec_lo, s77
	s_andn2_b32 s16, s63, exec_lo
	s_and_b32 s63, s75, exec_lo
	s_andn2_b32 s62, s62, exec_lo
	s_and_b32 s74, s74, exec_lo
	s_or_b32 s63, s16, s63
	s_or_b32 s62, s62, s74
.LBB4_9253:                             ;   in Loop: Header=BB4_9254 Depth=3
	s_or_b32 exec_lo, exec_lo, s73
	s_and_b32 s16, exec_lo, s62
	s_or_b32 s23, s16, s23
	s_andn2_b32 s16, s61, exec_lo
	s_and_b32 s61, s63, exec_lo
	s_or_b32 s61, s16, s61
	s_andn2_b32 exec_lo, exec_lo, s23
	s_cbranch_execz .LBB4_9258
.LBB4_9254:                             ;   Parent Loop BB4_47 Depth=1
                                        ;     Parent Loop BB4_9248 Depth=2
                                        ; =>    This Inner Loop Header: Depth=3
	s_sleep 1
	s_waitcnt vmcnt(0) lgkmcnt(0)
	flat_load_dwordx2 v[48:49], v[32:33] glc dlc
	s_or_b32 s63, s63, exec_lo
	s_or_b32 s62, s62, exec_lo
                                        ; implicit-def: $vgpr10
	s_and_saveexec_b32 s73, vcc_lo
	s_cbranch_execz .LBB4_9253
; %bb.9255:                             ;   in Loop: Header=BB4_9254 Depth=3
	s_cmpk_lt_i32 s72, 0x270f
	s_mov_b32 s74, -1
	s_cselect_b32 s76, -1, 0
	s_cmpk_gt_i32 s72, 0x270e
	s_cbranch_scc0 .LBB4_9257
; %bb.9256:                             ;   in Loop: Header=BB4_9254 Depth=3
	s_trap 2
	ds_read_b64 v[10:11], v0
	s_andn2_b32 s72, s76, exec_lo
	s_mov_b32 s75, 0
	s_waitcnt vmcnt(0) lgkmcnt(0)
	s_waitcnt_vscnt null, 0x0
	flat_load_dword v10, v[10:11] glc dlc
	s_waitcnt vmcnt(0) lgkmcnt(0)
	buffer_gl1_inv
	buffer_gl0_inv
	v_cmp_eq_u32_e64 s16, 0, v10
	s_and_b32 s16, s16, exec_lo
	s_or_b32 s76, s72, s16
	s_mov_b32 s72, 0
	s_and_saveexec_b32 s77, s76
	s_cbranch_execz .LBB4_9252
	s_branch .LBB4_9251
.LBB4_9257:                             ;   in Loop: Header=BB4_9254 Depth=3
	s_add_i32 s72, s72, 1
	s_mov_b32 s75, -1
                                        ; implicit-def: $vgpr10
	s_and_saveexec_b32 s77, s76
	s_cbranch_execz .LBB4_9252
	s_branch .LBB4_9251
.LBB4_9258:                             ;   in Loop: Header=BB4_9248 Depth=2
	s_or_b32 exec_lo, exec_lo, s23
	s_xor_b32 s16, s61, -1
	s_and_saveexec_b32 s23, s16
	s_xor_b32 s16, exec_lo, s23
	s_cbranch_execz .LBB4_9260
; %bb.9259:                             ;   in Loop: Header=BB4_9248 Depth=2
	v_or_b32_e32 v100, 64, v100
	s_waitcnt vmcnt(0) lgkmcnt(0)
	s_waitcnt_vscnt null, 0x0
	ds_write_b32 v0, v10
	s_trap 2
.LBB4_9260:                             ;   in Loop: Header=BB4_9248 Depth=2
	s_or_b32 exec_lo, exec_lo, s16
.LBB4_9261:                             ;   in Loop: Header=BB4_9248 Depth=2
	s_or_b32 exec_lo, exec_lo, s22
	v_and_b32_e32 v10, 0x108, v100
	;;#ASMSTART
	s_wakeup
	;;#ASMEND
	v_cmp_ne_u32_e32 vcc_lo, 0x108, v10
                                        ; implicit-def: $vgpr10_vgpr11
	s_and_saveexec_b32 s16, vcc_lo
	s_xor_b32 s16, exec_lo, s16
; %bb.9262:                             ;   in Loop: Header=BB4_9248 Depth=2
	v_and_b32_e32 v10, 7, v64
	v_mov_b32_e32 v11, v2
                                        ; implicit-def: $vgpr64_vgpr65
; %bb.9263:                             ;   in Loop: Header=BB4_9248 Depth=2
	s_andn2_saveexec_b32 s16, s16
	s_cbranch_execz .LBB4_9265
; %bb.9264:                             ;   in Loop: Header=BB4_9248 Depth=2
	v_and_b32_e32 v10, 7, v64
	v_ashrrev_i32_e32 v69, 31, v68
	v_mov_b32_e32 v11, v2
	v_mad_u64_u32 v[12:13], null, v10, 24, v[6:7]
	flat_store_dwordx2 v[12:13], v[68:69] offset:8
.LBB4_9265:                             ;   in Loop: Header=BB4_9248 Depth=2
	s_or_b32 exec_lo, exec_lo, s16
	v_and_b32_e32 v12, 0x100, v100
	s_mov_b32 s16, -1
	v_cmp_ne_u32_e32 vcc_lo, 0, v12
                                        ; implicit-def: $vgpr12_vgpr13
	s_and_saveexec_b32 s22, vcc_lo
	s_cbranch_execz .LBB4_9269
; %bb.9266:                             ;   in Loop: Header=BB4_9248 Depth=2
	v_mad_u64_u32 v[14:15], null, v10, 24, v[6:7]
	v_mov_b32_e32 v12, v15
	v_mad_u64_u32 v[12:13], null, v11, 24, v[12:13]
	v_mov_b32_e32 v15, v12
	flat_load_dword v12, v[14:15]
	s_waitcnt vmcnt(0) lgkmcnt(0)
	v_cmp_eq_u32_e64 s16, 1, v12
	v_cmp_ne_u32_e32 vcc_lo, 1, v12
                                        ; implicit-def: $vgpr12_vgpr13
	s_and_saveexec_b32 s23, s16
	s_cbranch_execz .LBB4_9268
; %bb.9267:                             ;   in Loop: Header=BB4_9248 Depth=2
	flat_load_dword v12, v[14:15] offset:4 glc dlc
	s_waitcnt vmcnt(0) lgkmcnt(0)
	v_ashrrev_i32_e32 v13, 31, v12
.LBB4_9268:                             ;   in Loop: Header=BB4_9248 Depth=2
	s_or_b32 exec_lo, exec_lo, s23
	s_orn2_b32 s16, vcc_lo, exec_lo
.LBB4_9269:                             ;   in Loop: Header=BB4_9248 Depth=2
	s_or_b32 exec_lo, exec_lo, s22
	s_and_saveexec_b32 s22, s16
; %bb.9270:                             ;   in Loop: Header=BB4_9248 Depth=2
	v_mul_lo_u32 v11, v11, v101
	v_mul_lo_u32 v14, v10, v102
	v_mad_u64_u32 v[12:13], null, v10, v101, 0
	v_add3_u32 v13, v13, v14, v11
; %bb.9271:                             ;   in Loop: Header=BB4_9248 Depth=2
	s_or_b32 exec_lo, exec_lo, s22
	v_cmp_eq_u32_e32 vcc_lo, 0, v16
	v_and_b32_e32 v15, 0x2000, v100
	s_mov_b32 s16, exec_lo
	v_cndmask_b32_e32 v14, 0xd0, v116, vcc_lo
	v_add_co_u32 v10, vcc_lo, v34, v12
	v_add_co_ci_u32_e64 v11, null, v35, v13, vcc_lo
	v_add_nc_u32_e32 v12, v0, v14
	ds_write_b64 v12, v[10:11] offset:584
	v_cmpx_ne_u32_e32 0, v15
	s_cbranch_execz .LBB4_9273
; %bb.9272:                             ;   in Loop: Header=BB4_9248 Depth=2
	ds_read_b64 v[10:11], v0 offset:872
	s_waitcnt lgkmcnt(0)
	v_add_co_u32 v10, vcc_lo, v10, 1
	v_add_co_ci_u32_e64 v11, null, 0, v11, vcc_lo
	ds_write_b64 v0, v[10:11] offset:872
.LBB4_9273:                             ;   in Loop: Header=BB4_9248 Depth=2
	s_or_b32 exec_lo, exec_lo, s16
	v_mov_b32_e32 v65, v9
	v_mov_b32_e32 v64, v8
.LBB4_9274:                             ;   in Loop: Header=BB4_9248 Depth=2
	s_or_b32 exec_lo, exec_lo, s21
	s_xor_b32 s16, s19, -1
	s_and_b32 s16, exec_lo, s16
	s_or_b32 s18, s16, s18
	s_and_saveexec_b32 s16, s6
	s_cbranch_execz .LBB4_9293
; %bb.9275:                             ;   in Loop: Header=BB4_9248 Depth=2
	s_and_saveexec_b32 s19, s29
	s_xor_b32 s19, exec_lo, s19
	s_cbranch_execz .LBB4_9290
; %bb.9276:                             ;   in Loop: Header=BB4_9248 Depth=2
	s_and_saveexec_b32 s21, s11
	s_cbranch_execz .LBB4_9289
; %bb.9277:                             ;   in Loop: Header=BB4_9248 Depth=2
	s_mov_b32 s23, exec_lo
	s_mov_b32 s22, exec_lo
	v_mbcnt_lo_u32_b32 v8, s23, 0
	s_waitcnt vmcnt(0) lgkmcnt(0)
	s_waitcnt_vscnt null, 0x0
	buffer_gl1_inv
	buffer_gl0_inv
	v_cmpx_eq_u32_e32 0, v8
	s_cbranch_execz .LBB4_9279
; %bb.9278:                             ;   in Loop: Header=BB4_9248 Depth=2
	s_bcnt1_i32_b32 s23, s23
	v_mov_b32_e32 v9, v2
	v_mov_b32_e32 v8, s23
	ds_add_u64 v0, v[8:9]
	s_trap 2
.LBB4_9279:                             ;   in Loop: Header=BB4_9248 Depth=2
	s_or_b32 exec_lo, exec_lo, s22
	s_trap 2
	ds_read_b64 v[8:9], v0
	s_waitcnt lgkmcnt(0)
	buffer_gl0_inv
	v_add_co_u32 v38, vcc_lo, v38, v103
	v_add_co_ci_u32_e64 v39, null, 0, v39, vcc_lo
	s_mov_b32 s22, exec_lo
	v_cmpx_lt_u64_e64 v[8:9], v[38:39]
	s_cbranch_execz .LBB4_9288
; %bb.9280:                             ;   in Loop: Header=BB4_9248 Depth=2
	s_mov_b32 s23, 0
	s_mov_b32 s63, 0
                                        ; implicit-def: $sgpr61
                                        ; implicit-def: $sgpr62
	s_inst_prefetch 0x1
	s_branch .LBB4_9282
	.p2align	6
.LBB4_9281:                             ;   in Loop: Header=BB4_9282 Depth=3
	s_or_b32 exec_lo, exec_lo, s73
	s_and_b32 s72, exec_lo, s74
	s_or_b32 s23, s72, s23
	s_andn2_b32 s61, s61, exec_lo
	s_and_b32 s72, s62, exec_lo
	s_or_b32 s61, s61, s72
	s_andn2_b32 exec_lo, exec_lo, s23
	s_cbranch_execz .LBB4_9286
.LBB4_9282:                             ;   Parent Loop BB4_47 Depth=1
                                        ;     Parent Loop BB4_9248 Depth=2
                                        ; =>    This Inner Loop Header: Depth=3
	s_add_i32 s63, s63, 1
	s_cmpk_lg_i32 s63, 0x2710
	s_cselect_b32 s72, -1, 0
	s_and_b32 vcc_lo, exec_lo, s72
	s_cbranch_vccz .LBB4_9284
; %bb.9283:                             ;   in Loop: Header=BB4_9282 Depth=3
	s_mov_b32 s74, -1
	s_or_b32 s62, s62, exec_lo
	s_and_saveexec_b32 s73, s72
	s_cbranch_execz .LBB4_9281
	s_branch .LBB4_9285
	.p2align	6
.LBB4_9284:                             ;   in Loop: Header=BB4_9282 Depth=3
	s_trap 2
	ds_read_b64 v[8:9], v0
	s_andn2_b32 s72, s72, exec_lo
	s_mov_b32 s63, 0
	s_waitcnt lgkmcnt(0)
	flat_load_dword v8, v[8:9] glc dlc
	s_waitcnt vmcnt(0) lgkmcnt(0)
	buffer_gl1_inv
	buffer_gl0_inv
	v_cmp_eq_u32_e32 vcc_lo, 0, v8
	s_and_b32 s73, vcc_lo, exec_lo
	s_or_b32 s72, s72, s73
	s_mov_b32 s74, -1
	s_or_b32 s62, s62, exec_lo
	s_and_saveexec_b32 s73, s72
	s_cbranch_execz .LBB4_9281
.LBB4_9285:                             ;   in Loop: Header=BB4_9282 Depth=3
	s_sleep 1
	s_trap 2
	ds_read_b64 v[8:9], v0
	s_waitcnt lgkmcnt(0)
	buffer_gl0_inv
	s_andn2_b32 s62, s62, exec_lo
	v_cmp_ge_u64_e32 vcc_lo, v[8:9], v[38:39]
	s_orn2_b32 s74, vcc_lo, exec_lo
	s_branch .LBB4_9281
.LBB4_9286:                             ;   in Loop: Header=BB4_9248 Depth=2
	s_inst_prefetch 0x2
	s_or_b32 exec_lo, exec_lo, s23
	s_and_saveexec_b32 s23, s61
	s_xor_b32 s23, exec_lo, s23
	s_cbranch_execz .LBB4_9288
; %bb.9287:                             ;   in Loop: Header=BB4_9248 Depth=2
	ds_write_b32 v0, v115
	s_trap 2
.LBB4_9288:                             ;   in Loop: Header=BB4_9248 Depth=2
	s_or_b32 exec_lo, exec_lo, s22
	;;#ASMSTART
	s_wakeup
	;;#ASMEND
.LBB4_9289:                             ;   in Loop: Header=BB4_9248 Depth=2
	s_or_b32 exec_lo, exec_lo, s21
.LBB4_9290:                             ;   in Loop: Header=BB4_9248 Depth=2
	s_andn2_saveexec_b32 s19, s19
	s_cbranch_execz .LBB4_9292
; %bb.9291:                             ;   in Loop: Header=BB4_9248 Depth=2
	s_waitcnt vmcnt(0) lgkmcnt(0)
	s_waitcnt_vscnt null, 0x0
	buffer_gl1_inv
	buffer_gl0_inv
	s_barrier
.LBB4_9292:                             ;   in Loop: Header=BB4_9248 Depth=2
	s_or_b32 exec_lo, exec_lo, s19
.LBB4_9293:                             ;   in Loop: Header=BB4_9248 Depth=2
	s_or_b32 exec_lo, exec_lo, s16
                                        ; implicit-def: $vgpr8
	s_and_saveexec_b32 s16, s15
	s_xor_b32 s19, exec_lo, s16
	s_cbranch_execz .LBB4_9297
; %bb.9294:                             ;   in Loop: Header=BB4_9248 Depth=2
	s_trap 2
	ds_read_b32 v8, v0
	v_cmp_lt_i32_e32 vcc_lo, 0, v68
	s_waitcnt lgkmcnt(0)
	v_readfirstlane_b32 s16, v8
	v_and_b32_e32 v8, 16, v100
	s_cmp_eq_u32 s16, 0
	v_cmp_ne_u32_e64 s16, 0, v8
	s_cselect_b32 s21, -1, 0
	v_and_b32_e32 v8, 16, v100
	s_and_b32 s21, vcc_lo, s21
	s_and_b32 s21, s16, s21
	s_and_saveexec_b32 s16, s21
	s_cbranch_execz .LBB4_9296
; %bb.9295:                             ;   in Loop: Header=BB4_9248 Depth=2
	v_mov_b32_e32 v8, 1
	s_waitcnt vmcnt(0)
	s_waitcnt_vscnt null, 0x0
	buffer_gl1_inv
	buffer_gl0_inv
.LBB4_9296:                             ;   in Loop: Header=BB4_9248 Depth=2
	s_or_b32 exec_lo, exec_lo, s16
	s_andn2_saveexec_b32 s16, s19
	s_cbranch_execz .LBB4_9316
	s_branch .LBB4_9298
.LBB4_9297:                             ;   in Loop: Header=BB4_9248 Depth=2
	s_andn2_saveexec_b32 s16, s19
	s_cbranch_execz .LBB4_9316
.LBB4_9298:                             ;   in Loop: Header=BB4_9248 Depth=2
	s_and_saveexec_b32 s19, s29
	s_xor_b32 s19, exec_lo, s19
	s_cbranch_execz .LBB4_9313
; %bb.9299:                             ;   in Loop: Header=BB4_9248 Depth=2
	s_and_saveexec_b32 s21, s11
	s_cbranch_execz .LBB4_9312
; %bb.9300:                             ;   in Loop: Header=BB4_9248 Depth=2
	s_mov_b32 s23, exec_lo
	s_mov_b32 s22, exec_lo
	v_mbcnt_lo_u32_b32 v8, s23, 0
	;;#ASMSTART
	s_waitcnt lgkmcnt(0) vmcnt(0)
	;;#ASMEND
	v_cmpx_eq_u32_e32 0, v8
	s_cbranch_execz .LBB4_9302
; %bb.9301:                             ;   in Loop: Header=BB4_9248 Depth=2
	s_bcnt1_i32_b32 s23, s23
	v_mov_b32_e32 v9, v2
	v_mov_b32_e32 v8, s23
	s_waitcnt vmcnt(0) lgkmcnt(0)
	s_waitcnt_vscnt null, 0x0
	ds_add_u64 v0, v[8:9]
	s_trap 2
.LBB4_9302:                             ;   in Loop: Header=BB4_9248 Depth=2
	s_or_b32 exec_lo, exec_lo, s22
	s_trap 2
	ds_read_b64 v[8:9], v0
	s_waitcnt vmcnt(0) lgkmcnt(0)
	buffer_gl0_inv
	v_add_co_u32 v38, vcc_lo, v38, v103
	v_add_co_ci_u32_e64 v39, null, 0, v39, vcc_lo
	s_mov_b32 s22, exec_lo
	v_cmpx_lt_u64_e64 v[8:9], v[38:39]
	s_cbranch_execz .LBB4_9311
; %bb.9303:                             ;   in Loop: Header=BB4_9248 Depth=2
	s_mov_b32 s23, 0
	s_mov_b32 s63, 0
                                        ; implicit-def: $sgpr61
                                        ; implicit-def: $sgpr62
	s_inst_prefetch 0x1
	s_branch .LBB4_9305
	.p2align	6
.LBB4_9304:                             ;   in Loop: Header=BB4_9305 Depth=3
	s_or_b32 exec_lo, exec_lo, s73
	s_and_b32 s72, exec_lo, s74
	s_or_b32 s23, s72, s23
	s_andn2_b32 s61, s61, exec_lo
	s_and_b32 s72, s62, exec_lo
	s_or_b32 s61, s61, s72
	s_andn2_b32 exec_lo, exec_lo, s23
	s_cbranch_execz .LBB4_9309
.LBB4_9305:                             ;   Parent Loop BB4_47 Depth=1
                                        ;     Parent Loop BB4_9248 Depth=2
                                        ; =>    This Inner Loop Header: Depth=3
	s_add_i32 s63, s63, 1
	s_cmpk_lg_i32 s63, 0x2710
	s_cselect_b32 s72, -1, 0
	s_and_b32 vcc_lo, exec_lo, s72
	s_cbranch_vccz .LBB4_9307
; %bb.9306:                             ;   in Loop: Header=BB4_9305 Depth=3
	s_mov_b32 s74, -1
	s_or_b32 s62, s62, exec_lo
	s_and_saveexec_b32 s73, s72
	s_cbranch_execz .LBB4_9304
	s_branch .LBB4_9308
	.p2align	6
.LBB4_9307:                             ;   in Loop: Header=BB4_9305 Depth=3
	s_trap 2
	ds_read_b64 v[8:9], v0
	s_andn2_b32 s72, s72, exec_lo
	s_mov_b32 s63, 0
	s_waitcnt lgkmcnt(0)
	s_waitcnt_vscnt null, 0x0
	flat_load_dword v8, v[8:9] glc dlc
	s_waitcnt vmcnt(0) lgkmcnt(0)
	buffer_gl1_inv
	buffer_gl0_inv
	v_cmp_eq_u32_e32 vcc_lo, 0, v8
	s_and_b32 s73, vcc_lo, exec_lo
	s_or_b32 s72, s72, s73
	s_mov_b32 s74, -1
	s_or_b32 s62, s62, exec_lo
	s_and_saveexec_b32 s73, s72
	s_cbranch_execz .LBB4_9304
.LBB4_9308:                             ;   in Loop: Header=BB4_9305 Depth=3
	s_sleep 1
	s_trap 2
	ds_read_b64 v[8:9], v0
	s_waitcnt lgkmcnt(0)
	buffer_gl0_inv
	s_andn2_b32 s62, s62, exec_lo
	v_cmp_ge_u64_e32 vcc_lo, v[8:9], v[38:39]
	s_orn2_b32 s74, vcc_lo, exec_lo
	s_branch .LBB4_9304
.LBB4_9309:                             ;   in Loop: Header=BB4_9248 Depth=2
	s_inst_prefetch 0x2
	s_or_b32 exec_lo, exec_lo, s23
	s_and_saveexec_b32 s23, s61
	s_xor_b32 s23, exec_lo, s23
	s_cbranch_execz .LBB4_9311
; %bb.9310:                             ;   in Loop: Header=BB4_9248 Depth=2
	ds_write_b32 v0, v115
	s_trap 2
.LBB4_9311:                             ;   in Loop: Header=BB4_9248 Depth=2
	s_or_b32 exec_lo, exec_lo, s22
	;;#ASMSTART
	s_wakeup
	;;#ASMEND
.LBB4_9312:                             ;   in Loop: Header=BB4_9248 Depth=2
	s_or_b32 exec_lo, exec_lo, s21
.LBB4_9313:                             ;   in Loop: Header=BB4_9248 Depth=2
	s_andn2_saveexec_b32 s19, s19
	s_cbranch_execz .LBB4_9315
; %bb.9314:                             ;   in Loop: Header=BB4_9248 Depth=2
	;;#ASMSTART
	s_waitcnt lgkmcnt(0) vmcnt(0)
	;;#ASMEND
	s_barrier
.LBB4_9315:                             ;   in Loop: Header=BB4_9248 Depth=2
	s_or_b32 exec_lo, exec_lo, s19
	v_and_b32_e32 v8, 16, v100
.LBB4_9316:                             ;   in Loop: Header=BB4_9248 Depth=2
	s_or_b32 exec_lo, exec_lo, s16
	v_cmp_ne_u32_e32 vcc_lo, 0, v8
	s_xor_b32 s16, s7, -1
	s_and_b32 s19, vcc_lo, s16
	s_and_saveexec_b32 s16, s19
	s_cbranch_execz .LBB4_9318
; %bb.9317:                             ;   in Loop: Header=BB4_9248 Depth=2
	s_waitcnt vmcnt(0) lgkmcnt(0)
	s_waitcnt_vscnt null, 0x0
	flat_store_dword v[36:37], v115
.LBB4_9318:                             ;   in Loop: Header=BB4_9248 Depth=2
	s_or_b32 exec_lo, exec_lo, s16
	v_and_b32_e32 v8, 48, v100
	s_mov_b32 s16, exec_lo
	v_cmpx_ne_u32_e32 0, v8
	s_cbranch_execz .LBB4_9247
; %bb.9319:                             ;   in Loop: Header=BB4_9248 Depth=2
	v_add_co_u32 v64, vcc_lo, v64, 2
	v_add_co_ci_u32_e64 v65, null, 0, v65, vcc_lo
	s_waitcnt vmcnt(0) lgkmcnt(0)
	s_waitcnt_vscnt null, 0x0
	flat_store_dwordx2 v[32:33], v[64:65]
	s_branch .LBB4_9247
.LBB4_9320:                             ;   in Loop: Header=BB4_47 Depth=1
	s_or_b32 exec_lo, exec_lo, s18
.LBB4_9321:                             ;   in Loop: Header=BB4_47 Depth=1
	s_or_b32 exec_lo, exec_lo, s17
	s_andn2_b32 vcc_lo, exec_lo, s46
	s_cbranch_vccnz .LBB4_9578
; %bb.9322:                             ;   in Loop: Header=BB4_47 Depth=1
	s_mov_b32 s21, 1
.LBB4_9323:                             ;   Parent Loop BB4_47 Depth=1
                                        ; =>  This Loop Header: Depth=2
                                        ;       Child Loop BB4_9326 Depth 3
                                        ;         Child Loop BB4_9334 Depth 4
                                        ;         Child Loop BB4_9362 Depth 4
	;; [unrolled: 1-line block ×5, first 2 shown]
                                        ;           Child Loop BB4_9414 Depth 5
                                        ;         Child Loop BB4_9421 Depth 4
                                        ;         Child Loop BB4_9426 Depth 4
                                        ;           Child Loop BB4_9427 Depth 5
                                        ;         Child Loop BB4_9439 Depth 4
                                        ;         Child Loop BB4_9444 Depth 4
	;; [unrolled: 1-line block ×6, first 2 shown]
                                        ;       Child Loop BB4_9503 Depth 3
                                        ;         Child Loop BB4_9509 Depth 4
                                        ;         Child Loop BB4_9537 Depth 4
	;; [unrolled: 1-line block ×3, first 2 shown]
	s_sub_i32 s16, s42, s21
	v_mov_b32_e32 v21, 0
	s_cmp_ge_i32 s16, s25
	s_mov_b32 s62, 0
	s_cselect_b32 s17, s25, 0
	s_sub_i32 s16, s16, s17
	s_ashr_i32 s17, s16, 31
	v_mul_lo_u32 v3, v55, s16
	v_mad_u64_u32 v[8:9], null, v54, s16, 0
	v_mul_lo_u32 v10, v54, s17
	v_add3_u32 v9, v9, v10, v3
	v_sub_co_u32 v10, vcc_lo, v66, v8
	v_sub_co_ci_u32_e64 v11, null, v67, v9, vcc_lo
	v_cmp_lt_i64_e32 vcc_lo, v[54:55], v[10:11]
	v_cndmask_b32_e32 v11, v10, v54, vcc_lo
	v_max_i32_e32 v3, 0, v11
	v_cmp_lt_i32_e32 vcc_lo, 0, v11
	v_add_nc_u32_e32 v10, 31, v3
	s_and_b32 s16, s57, vcc_lo
	v_lshrrev_b32_e32 v10, 1, v10
	v_and_b32_e32 v12, 0x3ffffff0, v10
	v_mov_b32_e32 v10, 0
	v_max_i32_e32 v12, s45, v12
	s_and_saveexec_b32 s61, s16
	s_cbranch_execz .LBB4_9500
; %bb.9324:                             ;   in Loop: Header=BB4_9323 Depth=2
	v_add_co_u32 v22, vcc_lo, v8, v72
	v_add_co_ci_u32_e64 v23, null, v9, v73, vcc_lo
	v_mov_b32_e32 v21, 0
	s_mov_b32 s72, 1
	s_mov_b32 s63, -1
	s_branch .LBB4_9326
.LBB4_9325:                             ;   in Loop: Header=BB4_9326 Depth=3
	s_or_b32 exec_lo, exec_lo, s16
	v_add_nc_u32_e32 v21, v12, v21
	s_xor_b32 s16, s63, -1
	v_mov_b32_e32 v10, s72
	s_mov_b32 s63, 0
	s_mov_b32 s72, 2
	v_cmp_ge_i32_e32 vcc_lo, v21, v3
	s_or_b32 s16, s16, vcc_lo
	s_and_b32 s16, exec_lo, s16
	s_or_b32 s62, s16, s62
	s_andn2_b32 exec_lo, exec_lo, s62
	s_cbranch_execz .LBB4_9499
.LBB4_9326:                             ;   Parent Loop BB4_47 Depth=1
                                        ;     Parent Loop BB4_9323 Depth=2
                                        ; =>    This Loop Header: Depth=3
                                        ;         Child Loop BB4_9334 Depth 4
                                        ;         Child Loop BB4_9362 Depth 4
	;; [unrolled: 1-line block ×5, first 2 shown]
                                        ;           Child Loop BB4_9414 Depth 5
                                        ;         Child Loop BB4_9421 Depth 4
                                        ;         Child Loop BB4_9426 Depth 4
                                        ;           Child Loop BB4_9427 Depth 5
                                        ;         Child Loop BB4_9439 Depth 4
                                        ;         Child Loop BB4_9444 Depth 4
                                        ;         Child Loop BB4_9450 Depth 4
                                        ;         Child Loop BB4_9455 Depth 4
                                        ;         Child Loop BB4_9465 Depth 4
                                        ;         Child Loop BB4_9484 Depth 4
	s_and_saveexec_b32 s17, s4
	s_cbranch_execz .LBB4_9328
; %bb.9327:                             ;   in Loop: Header=BB4_9326 Depth=3
	s_trap 2
	ds_read_b128 v[8:11], v0
	v_ashrrev_i32_e32 v13, 31, v21
	s_waitcnt lgkmcnt(0)
	v_add_co_u32 v14, vcc_lo, v10, v22
	v_add_co_ci_u32_e64 v15, null, v11, v23, vcc_lo
	v_add_co_u32 v8, vcc_lo, v8, v22
	v_add_co_ci_u32_e64 v9, null, v9, v23, vcc_lo
	;; [unrolled: 2-line block ×3, first 2 shown]
	v_cmp_ne_u64_e32 vcc_lo, 0, v[10:11]
	v_add_co_u32 v8, s16, v8, v21
	v_add_co_ci_u32_e64 v9, null, v9, v13, s16
	v_cndmask_b32_e32 v11, 0, v15, vcc_lo
	v_cndmask_b32_e32 v10, 0, v14, vcc_lo
	ds_write_b64 v0, v[8:9]
	ds_write_b64 v0, v[10:11]
.LBB4_9328:                             ;   in Loop: Header=BB4_9326 Depth=3
	s_or_b32 exec_lo, exec_lo, s17
	v_sub_nc_u32_e32 v8, v3, v21
	v_and_b32_e32 v9, 12, v100
	s_mov_b32 s17, exec_lo
	v_min_i32_e32 v12, v12, v8
	v_cmpx_ne_u32_e32 0, v9
	s_cbranch_execz .LBB4_9354
; %bb.9329:                             ;   in Loop: Header=BB4_9326 Depth=3
	s_waitcnt vmcnt(0) lgkmcnt(1)
	v_and_b32_e32 v17, 8, v100
	s_mov_b32 s18, exec_lo
	v_add_co_u32 v10, vcc_lo, v48, v17
	v_add_co_ci_u32_e64 v11, null, 0, v49, vcc_lo
	v_add_co_u32 v8, vcc_lo, v64, 2
	v_add_co_ci_u32_e64 v9, null, 0, v65, vcc_lo
	v_cmpx_lt_u64_e64 v[10:11], v[8:9]
	s_cbranch_execz .LBB4_9341
; %bb.9330:                             ;   in Loop: Header=BB4_9326 Depth=3
	v_and_b32_e32 v10, 64, v100
	s_mov_b32 s19, 0
	s_mov_b32 s74, 0
                                        ; implicit-def: $sgpr22
                                        ; implicit-def: $sgpr23
                                        ; implicit-def: $sgpr73
	v_cmp_eq_u32_e32 vcc_lo, 0, v10
	s_branch .LBB4_9334
.LBB4_9331:                             ;   in Loop: Header=BB4_9334 Depth=4
	s_waitcnt vmcnt(0) lgkmcnt(0)
	v_add_co_u32 v13, s16, v48, v17
	v_add_co_ci_u32_e64 v14, null, 0, v49, s16
	s_or_b32 s77, s77, exec_lo
	v_cmp_ge_u64_e64 s16, v[13:14], v[8:9]
	s_orn2_b32 s76, s16, exec_lo
.LBB4_9332:                             ;   in Loop: Header=BB4_9334 Depth=4
	s_or_b32 exec_lo, exec_lo, s79
	s_andn2_b32 s16, s73, exec_lo
	s_and_b32 s73, s77, exec_lo
	s_andn2_b32 s23, s23, exec_lo
	s_and_b32 s76, s76, exec_lo
	s_or_b32 s73, s16, s73
	s_or_b32 s23, s23, s76
.LBB4_9333:                             ;   in Loop: Header=BB4_9334 Depth=4
	s_or_b32 exec_lo, exec_lo, s75
	s_and_b32 s16, exec_lo, s23
	s_or_b32 s19, s16, s19
	s_andn2_b32 s16, s22, exec_lo
	s_and_b32 s22, s73, exec_lo
	s_or_b32 s22, s16, s22
	s_andn2_b32 exec_lo, exec_lo, s19
	s_cbranch_execz .LBB4_9338
.LBB4_9334:                             ;   Parent Loop BB4_47 Depth=1
                                        ;     Parent Loop BB4_9323 Depth=2
                                        ;       Parent Loop BB4_9326 Depth=3
                                        ; =>      This Inner Loop Header: Depth=4
	s_sleep 1
	s_waitcnt vmcnt(0) lgkmcnt(0)
	flat_load_dwordx2 v[48:49], v[32:33] glc dlc
	s_or_b32 s73, s73, exec_lo
	s_or_b32 s23, s23, exec_lo
                                        ; implicit-def: $vgpr10
	s_and_saveexec_b32 s75, vcc_lo
	s_cbranch_execz .LBB4_9333
; %bb.9335:                             ;   in Loop: Header=BB4_9334 Depth=4
	s_cmpk_lt_i32 s74, 0x270f
	s_mov_b32 s76, -1
	s_cselect_b32 s78, -1, 0
	s_cmpk_gt_i32 s74, 0x270e
	s_cbranch_scc0 .LBB4_9337
; %bb.9336:                             ;   in Loop: Header=BB4_9334 Depth=4
	s_trap 2
	ds_read_b64 v[10:11], v0
	s_andn2_b32 s74, s78, exec_lo
	s_mov_b32 s77, 0
	s_waitcnt vmcnt(0) lgkmcnt(0)
	s_waitcnt_vscnt null, 0x0
	flat_load_dword v10, v[10:11] glc dlc
	s_waitcnt vmcnt(0) lgkmcnt(0)
	buffer_gl1_inv
	buffer_gl0_inv
	v_cmp_eq_u32_e64 s16, 0, v10
	s_and_b32 s16, s16, exec_lo
	s_or_b32 s78, s74, s16
	s_mov_b32 s74, 0
	s_and_saveexec_b32 s79, s78
	s_cbranch_execz .LBB4_9332
	s_branch .LBB4_9331
.LBB4_9337:                             ;   in Loop: Header=BB4_9334 Depth=4
	s_add_i32 s74, s74, 1
	s_mov_b32 s77, -1
                                        ; implicit-def: $vgpr10
	s_and_saveexec_b32 s79, s78
	s_cbranch_execz .LBB4_9332
	s_branch .LBB4_9331
.LBB4_9338:                             ;   in Loop: Header=BB4_9326 Depth=3
	s_or_b32 exec_lo, exec_lo, s19
	s_xor_b32 s16, s22, -1
	s_and_saveexec_b32 s19, s16
	s_xor_b32 s16, exec_lo, s19
	s_cbranch_execz .LBB4_9340
; %bb.9339:                             ;   in Loop: Header=BB4_9326 Depth=3
	v_or_b32_e32 v100, 64, v100
	s_waitcnt vmcnt(0) lgkmcnt(0)
	s_waitcnt_vscnt null, 0x0
	ds_write_b32 v0, v10
	s_trap 2
.LBB4_9340:                             ;   in Loop: Header=BB4_9326 Depth=3
	s_or_b32 exec_lo, exec_lo, s16
.LBB4_9341:                             ;   in Loop: Header=BB4_9326 Depth=3
	s_or_b32 exec_lo, exec_lo, s18
	v_and_b32_e32 v10, 0x108, v100
	;;#ASMSTART
	s_wakeup
	;;#ASMEND
	v_cmp_ne_u32_e32 vcc_lo, 0x108, v10
                                        ; implicit-def: $vgpr10_vgpr11
	s_and_saveexec_b32 s16, vcc_lo
	s_xor_b32 s16, exec_lo, s16
; %bb.9342:                             ;   in Loop: Header=BB4_9326 Depth=3
	v_and_b32_e32 v10, 7, v64
	v_mov_b32_e32 v11, v2
                                        ; implicit-def: $vgpr64_vgpr65
; %bb.9343:                             ;   in Loop: Header=BB4_9326 Depth=3
	s_andn2_saveexec_b32 s16, s16
	s_cbranch_execz .LBB4_9345
; %bb.9344:                             ;   in Loop: Header=BB4_9326 Depth=3
	v_and_b32_e32 v10, 7, v64
	v_ashrrev_i32_e32 v13, 31, v12
	v_mov_b32_e32 v11, v2
	v_mad_u64_u32 v[14:15], null, v10, 24, v[6:7]
	flat_store_dwordx2 v[14:15], v[12:13] offset:8
.LBB4_9345:                             ;   in Loop: Header=BB4_9326 Depth=3
	s_or_b32 exec_lo, exec_lo, s16
	v_and_b32_e32 v13, 0x100, v100
	s_mov_b32 s16, -1
	v_cmp_ne_u32_e32 vcc_lo, 0, v13
                                        ; implicit-def: $vgpr13_vgpr14
	s_and_saveexec_b32 s18, vcc_lo
	s_cbranch_execz .LBB4_9349
; %bb.9346:                             ;   in Loop: Header=BB4_9326 Depth=3
	v_mad_u64_u32 v[15:16], null, v10, 24, v[6:7]
	v_mov_b32_e32 v13, v16
	v_mad_u64_u32 v[13:14], null, v11, 24, v[13:14]
	v_mov_b32_e32 v16, v13
	flat_load_dword v13, v[15:16]
	s_waitcnt vmcnt(0) lgkmcnt(0)
	v_cmp_eq_u32_e64 s16, 1, v13
	v_cmp_ne_u32_e32 vcc_lo, 1, v13
                                        ; implicit-def: $vgpr13_vgpr14
	s_and_saveexec_b32 s19, s16
	s_cbranch_execz .LBB4_9348
; %bb.9347:                             ;   in Loop: Header=BB4_9326 Depth=3
	flat_load_dword v13, v[15:16] offset:4 glc dlc
	s_waitcnt vmcnt(0) lgkmcnt(0)
	v_ashrrev_i32_e32 v14, 31, v13
.LBB4_9348:                             ;   in Loop: Header=BB4_9326 Depth=3
	s_or_b32 exec_lo, exec_lo, s19
	s_orn2_b32 s16, vcc_lo, exec_lo
.LBB4_9349:                             ;   in Loop: Header=BB4_9326 Depth=3
	s_or_b32 exec_lo, exec_lo, s18
	s_and_saveexec_b32 s18, s16
; %bb.9350:                             ;   in Loop: Header=BB4_9326 Depth=3
	v_mul_lo_u32 v11, v11, v101
	v_mul_lo_u32 v15, v10, v102
	v_mad_u64_u32 v[13:14], null, v10, v101, 0
	v_add3_u32 v14, v14, v15, v11
; %bb.9351:                             ;   in Loop: Header=BB4_9326 Depth=3
	s_or_b32 exec_lo, exec_lo, s18
	v_cmp_eq_u32_e32 vcc_lo, 0, v17
	v_and_b32_e32 v16, 0x2000, v100
	s_mov_b32 s16, exec_lo
	v_cndmask_b32_e32 v15, 0xd0, v42, vcc_lo
	v_add_co_u32 v10, vcc_lo, v34, v13
	v_add_co_ci_u32_e64 v11, null, v35, v14, vcc_lo
	v_add_nc_u32_e32 v13, v0, v15
	ds_write_b64 v13, v[10:11] offset:584
	v_cmpx_ne_u32_e32 0, v16
	s_cbranch_execz .LBB4_9353
; %bb.9352:                             ;   in Loop: Header=BB4_9326 Depth=3
	ds_read_b64 v[10:11], v0 offset:872
	s_waitcnt lgkmcnt(0)
	v_add_co_u32 v10, vcc_lo, v10, 1
	v_add_co_ci_u32_e64 v11, null, 0, v11, vcc_lo
	ds_write_b64 v0, v[10:11] offset:872
.LBB4_9353:                             ;   in Loop: Header=BB4_9326 Depth=3
	s_or_b32 exec_lo, exec_lo, s16
	v_mov_b32_e32 v65, v9
	v_mov_b32_e32 v64, v8
.LBB4_9354:                             ;   in Loop: Header=BB4_9326 Depth=3
	s_or_b32 exec_lo, exec_lo, s17
	s_and_saveexec_b32 s16, s6
	s_cbranch_execz .LBB4_9373
; %bb.9355:                             ;   in Loop: Header=BB4_9326 Depth=3
	s_and_saveexec_b32 s17, s29
	s_xor_b32 s17, exec_lo, s17
	s_cbranch_execz .LBB4_9370
; %bb.9356:                             ;   in Loop: Header=BB4_9326 Depth=3
	s_and_saveexec_b32 s18, s11
	s_cbranch_execz .LBB4_9369
; %bb.9357:                             ;   in Loop: Header=BB4_9326 Depth=3
	s_mov_b32 s22, exec_lo
	s_mov_b32 s19, exec_lo
	v_mbcnt_lo_u32_b32 v8, s22, 0
	s_waitcnt vmcnt(0) lgkmcnt(0)
	s_waitcnt_vscnt null, 0x0
	buffer_gl1_inv
	buffer_gl0_inv
	v_cmpx_eq_u32_e32 0, v8
	s_cbranch_execz .LBB4_9359
; %bb.9358:                             ;   in Loop: Header=BB4_9326 Depth=3
	s_bcnt1_i32_b32 s22, s22
	v_mov_b32_e32 v9, v2
	v_mov_b32_e32 v8, s22
	ds_add_u64 v0, v[8:9]
	s_trap 2
.LBB4_9359:                             ;   in Loop: Header=BB4_9326 Depth=3
	s_or_b32 exec_lo, exec_lo, s19
	s_trap 2
	ds_read_b64 v[8:9], v0
	s_waitcnt lgkmcnt(0)
	buffer_gl0_inv
	v_add_co_u32 v38, vcc_lo, v38, v103
	v_add_co_ci_u32_e64 v39, null, 0, v39, vcc_lo
	s_mov_b32 s19, exec_lo
	v_cmpx_lt_u64_e64 v[8:9], v[38:39]
	s_cbranch_execz .LBB4_9368
; %bb.9360:                             ;   in Loop: Header=BB4_9326 Depth=3
	s_mov_b32 s22, 0
	s_mov_b32 s74, 0
                                        ; implicit-def: $sgpr23
                                        ; implicit-def: $sgpr73
	s_inst_prefetch 0x1
	s_branch .LBB4_9362
	.p2align	6
.LBB4_9361:                             ;   in Loop: Header=BB4_9362 Depth=4
	s_or_b32 exec_lo, exec_lo, s76
	s_and_b32 s75, exec_lo, s77
	s_or_b32 s22, s75, s22
	s_andn2_b32 s23, s23, exec_lo
	s_and_b32 s75, s73, exec_lo
	s_or_b32 s23, s23, s75
	s_andn2_b32 exec_lo, exec_lo, s22
	s_cbranch_execz .LBB4_9366
.LBB4_9362:                             ;   Parent Loop BB4_47 Depth=1
                                        ;     Parent Loop BB4_9323 Depth=2
                                        ;       Parent Loop BB4_9326 Depth=3
                                        ; =>      This Inner Loop Header: Depth=4
	s_add_i32 s74, s74, 1
	s_cmpk_lg_i32 s74, 0x2710
	s_cselect_b32 s75, -1, 0
	s_and_b32 vcc_lo, exec_lo, s75
	s_cbranch_vccz .LBB4_9364
; %bb.9363:                             ;   in Loop: Header=BB4_9362 Depth=4
	s_mov_b32 s77, -1
	s_or_b32 s73, s73, exec_lo
	s_and_saveexec_b32 s76, s75
	s_cbranch_execz .LBB4_9361
	s_branch .LBB4_9365
	.p2align	6
.LBB4_9364:                             ;   in Loop: Header=BB4_9362 Depth=4
	s_trap 2
	ds_read_b64 v[8:9], v0
	s_andn2_b32 s75, s75, exec_lo
	s_mov_b32 s74, 0
	s_waitcnt lgkmcnt(0)
	flat_load_dword v8, v[8:9] glc dlc
	s_waitcnt vmcnt(0) lgkmcnt(0)
	buffer_gl1_inv
	buffer_gl0_inv
	v_cmp_eq_u32_e32 vcc_lo, 0, v8
	s_and_b32 s76, vcc_lo, exec_lo
	s_or_b32 s75, s75, s76
	s_mov_b32 s77, -1
	s_or_b32 s73, s73, exec_lo
	s_and_saveexec_b32 s76, s75
	s_cbranch_execz .LBB4_9361
.LBB4_9365:                             ;   in Loop: Header=BB4_9362 Depth=4
	s_sleep 1
	s_trap 2
	ds_read_b64 v[8:9], v0
	s_waitcnt lgkmcnt(0)
	buffer_gl0_inv
	s_andn2_b32 s73, s73, exec_lo
	v_cmp_ge_u64_e32 vcc_lo, v[8:9], v[38:39]
	s_orn2_b32 s77, vcc_lo, exec_lo
	s_branch .LBB4_9361
.LBB4_9366:                             ;   in Loop: Header=BB4_9326 Depth=3
	s_inst_prefetch 0x2
	s_or_b32 exec_lo, exec_lo, s22
	s_and_saveexec_b32 s22, s23
	s_xor_b32 s22, exec_lo, s22
	s_cbranch_execz .LBB4_9368
; %bb.9367:                             ;   in Loop: Header=BB4_9326 Depth=3
	ds_write_b32 v0, v115
	s_trap 2
.LBB4_9368:                             ;   in Loop: Header=BB4_9326 Depth=3
	s_or_b32 exec_lo, exec_lo, s19
	;;#ASMSTART
	s_wakeup
	;;#ASMEND
.LBB4_9369:                             ;   in Loop: Header=BB4_9326 Depth=3
	s_or_b32 exec_lo, exec_lo, s18
.LBB4_9370:                             ;   in Loop: Header=BB4_9326 Depth=3
	s_andn2_saveexec_b32 s17, s17
	s_cbranch_execz .LBB4_9372
; %bb.9371:                             ;   in Loop: Header=BB4_9326 Depth=3
	s_waitcnt vmcnt(0) lgkmcnt(0)
	s_waitcnt_vscnt null, 0x0
	buffer_gl1_inv
	buffer_gl0_inv
	s_barrier
.LBB4_9372:                             ;   in Loop: Header=BB4_9326 Depth=3
	s_or_b32 exec_lo, exec_lo, s17
.LBB4_9373:                             ;   in Loop: Header=BB4_9326 Depth=3
	s_or_b32 exec_lo, exec_lo, s16
	s_trap 2
	ds_read_b32 v8, v0
	v_and_b32_e32 v9, 0x4000, v100
	s_xor_b32 s16, s5, -1
	v_cmp_ne_u32_e32 vcc_lo, 0, v9
	s_and_b32 s17, s16, vcc_lo
	s_and_saveexec_b32 s16, s17
	s_cbranch_execz .LBB4_9392
; %bb.9374:                             ;   in Loop: Header=BB4_9326 Depth=3
	s_and_saveexec_b32 s17, s29
	s_xor_b32 s17, exec_lo, s17
	s_cbranch_execz .LBB4_9389
; %bb.9375:                             ;   in Loop: Header=BB4_9326 Depth=3
	s_and_saveexec_b32 s18, s11
	s_cbranch_execz .LBB4_9388
; %bb.9376:                             ;   in Loop: Header=BB4_9326 Depth=3
	s_mov_b32 s22, exec_lo
	s_mov_b32 s19, exec_lo
	v_mbcnt_lo_u32_b32 v9, s22, 0
	s_waitcnt vmcnt(0) lgkmcnt(0)
	s_waitcnt_vscnt null, 0x0
	buffer_gl1_inv
	buffer_gl0_inv
	v_cmpx_eq_u32_e32 0, v9
	s_cbranch_execz .LBB4_9378
; %bb.9377:                             ;   in Loop: Header=BB4_9326 Depth=3
	s_bcnt1_i32_b32 s22, s22
	v_mov_b32_e32 v10, v2
	v_mov_b32_e32 v9, s22
	ds_add_u64 v0, v[9:10]
	s_trap 2
.LBB4_9378:                             ;   in Loop: Header=BB4_9326 Depth=3
	s_or_b32 exec_lo, exec_lo, s19
	s_trap 2
	ds_read_b64 v[9:10], v0
	s_waitcnt lgkmcnt(0)
	buffer_gl0_inv
	v_add_co_u32 v38, vcc_lo, v38, v103
	v_add_co_ci_u32_e64 v39, null, 0, v39, vcc_lo
	s_mov_b32 s19, exec_lo
	v_cmpx_lt_u64_e64 v[9:10], v[38:39]
	s_cbranch_execz .LBB4_9387
; %bb.9379:                             ;   in Loop: Header=BB4_9326 Depth=3
	s_mov_b32 s22, 0
	s_mov_b32 s74, 0
                                        ; implicit-def: $sgpr23
                                        ; implicit-def: $sgpr73
	s_inst_prefetch 0x1
	s_branch .LBB4_9381
	.p2align	6
.LBB4_9380:                             ;   in Loop: Header=BB4_9381 Depth=4
	s_or_b32 exec_lo, exec_lo, s76
	s_and_b32 s75, exec_lo, s77
	s_or_b32 s22, s75, s22
	s_andn2_b32 s23, s23, exec_lo
	s_and_b32 s75, s73, exec_lo
	s_or_b32 s23, s23, s75
	s_andn2_b32 exec_lo, exec_lo, s22
	s_cbranch_execz .LBB4_9385
.LBB4_9381:                             ;   Parent Loop BB4_47 Depth=1
                                        ;     Parent Loop BB4_9323 Depth=2
                                        ;       Parent Loop BB4_9326 Depth=3
                                        ; =>      This Inner Loop Header: Depth=4
	s_add_i32 s74, s74, 1
	s_cmpk_lg_i32 s74, 0x2710
	s_cselect_b32 s75, -1, 0
	s_and_b32 vcc_lo, exec_lo, s75
	s_cbranch_vccz .LBB4_9383
; %bb.9382:                             ;   in Loop: Header=BB4_9381 Depth=4
	s_mov_b32 s77, -1
	s_or_b32 s73, s73, exec_lo
	s_and_saveexec_b32 s76, s75
	s_cbranch_execz .LBB4_9380
	s_branch .LBB4_9384
	.p2align	6
.LBB4_9383:                             ;   in Loop: Header=BB4_9381 Depth=4
	s_trap 2
	ds_read_b64 v[9:10], v0
	s_andn2_b32 s75, s75, exec_lo
	s_mov_b32 s74, 0
	s_waitcnt lgkmcnt(0)
	flat_load_dword v9, v[9:10] glc dlc
	s_waitcnt vmcnt(0) lgkmcnt(0)
	buffer_gl1_inv
	buffer_gl0_inv
	v_cmp_eq_u32_e32 vcc_lo, 0, v9
	s_and_b32 s76, vcc_lo, exec_lo
	s_or_b32 s75, s75, s76
	s_mov_b32 s77, -1
	s_or_b32 s73, s73, exec_lo
	s_and_saveexec_b32 s76, s75
	s_cbranch_execz .LBB4_9380
.LBB4_9384:                             ;   in Loop: Header=BB4_9381 Depth=4
	s_sleep 1
	s_trap 2
	ds_read_b64 v[9:10], v0
	s_waitcnt lgkmcnt(0)
	buffer_gl0_inv
	s_andn2_b32 s73, s73, exec_lo
	v_cmp_ge_u64_e32 vcc_lo, v[9:10], v[38:39]
	s_orn2_b32 s77, vcc_lo, exec_lo
	s_branch .LBB4_9380
.LBB4_9385:                             ;   in Loop: Header=BB4_9326 Depth=3
	s_inst_prefetch 0x2
	s_or_b32 exec_lo, exec_lo, s22
	s_and_saveexec_b32 s22, s23
	s_xor_b32 s22, exec_lo, s22
	s_cbranch_execz .LBB4_9387
; %bb.9386:                             ;   in Loop: Header=BB4_9326 Depth=3
	ds_write_b32 v0, v115
	s_trap 2
.LBB4_9387:                             ;   in Loop: Header=BB4_9326 Depth=3
	s_or_b32 exec_lo, exec_lo, s19
	;;#ASMSTART
	s_wakeup
	;;#ASMEND
.LBB4_9388:                             ;   in Loop: Header=BB4_9326 Depth=3
	s_or_b32 exec_lo, exec_lo, s18
.LBB4_9389:                             ;   in Loop: Header=BB4_9326 Depth=3
	s_andn2_saveexec_b32 s17, s17
	s_cbranch_execz .LBB4_9391
; %bb.9390:                             ;   in Loop: Header=BB4_9326 Depth=3
	s_waitcnt vmcnt(0) lgkmcnt(0)
	s_waitcnt_vscnt null, 0x0
	buffer_gl1_inv
	buffer_gl0_inv
	s_barrier
.LBB4_9391:                             ;   in Loop: Header=BB4_9326 Depth=3
	s_or_b32 exec_lo, exec_lo, s17
.LBB4_9392:                             ;   in Loop: Header=BB4_9326 Depth=3
	s_or_b32 exec_lo, exec_lo, s16
	s_trap 2
	ds_read_b64 v[13:14], v0
	s_waitcnt lgkmcnt(0)
	v_cmp_eq_u64_e32 vcc_lo, 0, v[13:14]
	s_cbranch_vccnz .LBB4_9401
; %bb.9393:                             ;   in Loop: Header=BB4_9326 Depth=3
	s_trap 2
	ds_read_b64 v[15:16], v0
	s_waitcnt lgkmcnt(0)
	v_cmp_eq_u64_e32 vcc_lo, 0, v[15:16]
	s_cbranch_vccnz .LBB4_9401
; %bb.9394:                             ;   in Loop: Header=BB4_9326 Depth=3
	s_trap 2
	s_waitcnt vmcnt(0)
	ds_read_b64 v[17:18], v0
	v_cmp_eq_u32_e64 s16, 0, v8
	v_cndmask_b32_e64 v68, 0, v12, s16
	s_mov_b32 s16, -1
	s_waitcnt lgkmcnt(0)
	v_cmp_ne_u64_e32 vcc_lo, 0, v[17:18]
	s_cbranch_vccz .LBB4_9430
; %bb.9395:                             ;   in Loop: Header=BB4_9326 Depth=3
	s_and_saveexec_b32 s17, s13
	s_cbranch_execz .LBB4_9397
; %bb.9396:                             ;   in Loop: Header=BB4_9326 Depth=3
	ds_read_b32 v8, v0 offset:720
	s_waitcnt lgkmcnt(0)
	v_and_b32_e32 v8, 15, v8
	v_cmp_eq_u32_e32 vcc_lo, 0, v8
	s_orn2_b32 s16, vcc_lo, exec_lo
.LBB4_9397:                             ;   in Loop: Header=BB4_9326 Depth=3
	s_or_b32 exec_lo, exec_lo, s17
	s_and_saveexec_b32 s17, s14
	s_cbranch_execz .LBB4_9399
; %bb.9398:                             ;   in Loop: Header=BB4_9326 Depth=3
	ds_read_b32 v8, v0 offset:784
	s_waitcnt lgkmcnt(0)
	v_and_b32_e32 v8, 15, v8
	v_cmp_eq_u32_e32 vcc_lo, 0, v8
	s_and_b32 s18, s16, vcc_lo
	s_andn2_b32 s16, s16, exec_lo
	s_and_b32 s18, s18, exec_lo
	s_or_b32 s16, s16, s18
.LBB4_9399:                             ;   in Loop: Header=BB4_9326 Depth=3
	s_or_b32 exec_lo, exec_lo, s17
	s_xor_b32 s16, s16, -1
	v_mov_b32_e32 v19, 0
	v_cndmask_b32_e64 v8, 0, 1, s16
	v_mov_b32_e32 v20, v68
	v_mov_b32_e32 v69, v0
	s_mov_b32 s16, -1
	v_cmp_ne_u32_e32 vcc_lo, 0, v8
	s_cbranch_vccz .LBB4_9406
; %bb.9400:                             ;   in Loop: Header=BB4_9326 Depth=3
	s_and_saveexec_b32 s22, s16
	s_cbranch_execnz .LBB4_9419
	s_branch .LBB4_9429
.LBB4_9401:                             ;   in Loop: Header=BB4_9326 Depth=3
	s_mov_b32 s16, 0
	s_and_saveexec_b32 s17, s6
	s_cbranch_execnz .LBB4_9458
.LBB4_9402:                             ;   in Loop: Header=BB4_9326 Depth=3
	s_or_b32 exec_lo, exec_lo, s17
                                        ; implicit-def: $vgpr8
	s_and_saveexec_b32 s17, s15
	s_xor_b32 s17, exec_lo, s17
	s_cbranch_execz .LBB4_9476
.LBB4_9403:                             ;   in Loop: Header=BB4_9326 Depth=3
	v_and_b32_e32 v8, 16, v100
	v_cmp_ne_u32_e32 vcc_lo, 0, v8
	v_and_b32_e32 v8, 16, v100
	s_and_b32 s18, vcc_lo, s16
	s_and_saveexec_b32 s16, s18
	s_cbranch_execz .LBB4_9405
; %bb.9404:                             ;   in Loop: Header=BB4_9326 Depth=3
	v_mov_b32_e32 v8, 1
	s_waitcnt vmcnt(0) lgkmcnt(0)
	s_waitcnt_vscnt null, 0x0
	buffer_gl1_inv
	buffer_gl0_inv
.LBB4_9405:                             ;   in Loop: Header=BB4_9326 Depth=3
	s_or_b32 exec_lo, exec_lo, s16
	s_andn2_saveexec_b32 s16, s17
	s_cbranch_execz .LBB4_9495
	s_branch .LBB4_9477
.LBB4_9406:                             ;   in Loop: Header=BB4_9326 Depth=3
	v_ashrrev_i32_e32 v8, 31, v68
	s_mov_b32 s17, exec_lo
	v_lshrrev_b32_e32 v8, 22, v8
	v_add_nc_u32_e32 v8, v68, v8
	v_ashrrev_i32_e32 v69, 10, v8
	v_sub_nc_u32_e32 v71, v69, v113
	v_cmpx_lt_i32_e32 0, v71
	s_cbranch_execz .LBB4_9410
; %bb.9407:                             ;   in Loop: Header=BB4_9326 Depth=3
	v_add_co_u32 v8, vcc_lo, v13, v47
	v_add_co_ci_u32_e64 v9, null, 0, v14, vcc_lo
	v_add_co_u32 v10, vcc_lo, v15, v47
	v_add_co_ci_u32_e64 v11, null, 0, v16, vcc_lo
	;; [unrolled: 2-line block ×3, first 2 shown]
	s_mov_b32 s18, 0
	.p2align	6
.LBB4_9408:                             ;   Parent Loop BB4_47 Depth=1
                                        ;     Parent Loop BB4_9323 Depth=2
                                        ;       Parent Loop BB4_9326 Depth=3
                                        ; =>      This Inner Loop Header: Depth=4
	s_clause 0x1
	global_load_dwordx4 v[80:83], v[8:9], off slc
	global_load_dwordx4 v[84:87], v[8:9], off offset:512 slc
	v_sub_nc_u32_e32 v71, v71, v103
	v_add_co_u32 v8, vcc_lo, v8, v45
	v_add_co_ci_u32_e64 v9, null, 0, v9, vcc_lo
	v_cmp_gt_i32_e32 vcc_lo, 1, v71
	s_waitcnt vmcnt(1)
	global_store_dwordx4 v[10:11], v[80:83], off glc slc
	s_waitcnt vmcnt(0)
	global_store_dwordx4 v[10:11], v[84:87], off offset:512 glc slc
	global_store_dwordx4 v[19:20], v[80:83], off glc slc
	global_store_dwordx4 v[19:20], v[84:87], off offset:512 glc slc
	v_add_co_u32 v10, s16, v10, v45
	v_add_co_ci_u32_e64 v11, null, 0, v11, s16
	v_add_co_u32 v19, s16, v19, v45
	v_add_co_ci_u32_e64 v20, null, 0, v20, s16
	s_or_b32 s18, vcc_lo, s18
	s_andn2_b32 exec_lo, exec_lo, s18
	s_cbranch_execnz .LBB4_9408
; %bb.9409:                             ;   in Loop: Header=BB4_9326 Depth=3
	s_or_b32 exec_lo, exec_lo, s18
.LBB4_9410:                             ;   in Loop: Header=BB4_9326 Depth=3
	s_or_b32 exec_lo, exec_lo, s17
	v_lshlrev_b32_e32 v70, 10, v69
	v_mov_b32_e32 v19, 0
	s_mov_b32 s16, 0
	s_mov_b32 s19, exec_lo
                                        ; implicit-def: $vgpr20
                                        ; implicit-def: $vgpr69
	v_cmpx_ne_u32_e64 v68, v70
	s_cbranch_execz .LBB4_9418
; %bb.9411:                             ;   in Loop: Header=BB4_9326 Depth=3
	v_lshlrev_b32_e32 v8, 5, v71
	v_sub_nc_u32_e32 v10, v68, v70
	s_mov_b32 s73, exec_lo
	v_sub_nc_u32_e32 v8, v112, v8
	v_ashrrev_i32_e32 v11, 31, v10
	v_ashrrev_i32_e32 v9, 31, v8
	v_lshrrev_b32_e32 v11, 23, v11
	v_lshrrev_b32_e32 v9, 27, v9
	v_add_nc_u32_e32 v11, v10, v11
	v_add_nc_u32_e32 v9, v8, v9
	v_and_b32_e32 v71, 0xfffffe00, v11
	v_ashrrev_i32_e32 v11, 9, v11
	v_and_b32_e32 v19, 0xffffffe0, v9
	v_sub_nc_u32_e32 v80, v10, v71
	v_ashrrev_i32_e32 v9, 5, v9
	v_sub_nc_u32_e32 v69, v8, v19
	v_cmp_lt_i32_e64 s16, 15, v80
	v_lshlrev_b32_e32 v8, 4, v69
	v_add_co_ci_u32_e64 v11, null, 0, v11, s16
	v_lshl_add_u32 v8, v9, 9, v8
	v_sub_nc_u32_e32 v81, v11, v9
	v_sub_nc_u32_e32 v82, v10, v8
	v_cmpx_lt_i32_e32 15, v82
	s_cbranch_execz .LBB4_9417
; %bb.9412:                             ;   in Loop: Header=BB4_9326 Depth=3
	v_add_nc_u32_e32 v8, v8, v70
	s_mov_b32 s74, 0
	v_ashrrev_i32_e32 v9, 31, v8
	v_add_co_u32 v19, vcc_lo, v8, v13
	v_add_co_ci_u32_e64 v20, null, v9, v14, vcc_lo
	v_add_co_u32 v83, vcc_lo, v8, v15
	v_add_co_ci_u32_e64 v84, null, v9, v16, vcc_lo
	;; [unrolled: 2-line block ×3, first 2 shown]
	s_inst_prefetch 0x1
	.p2align	6
.LBB4_9413:                             ;   Parent Loop BB4_47 Depth=1
                                        ;     Parent Loop BB4_9323 Depth=2
                                        ;       Parent Loop BB4_9326 Depth=3
                                        ; =>      This Loop Header: Depth=4
                                        ;           Child Loop BB4_9414 Depth 5
	global_load_dwordx4 v[8:11], v[19:20], off slc
	s_mov_b64 s[22:23], 0
	s_mov_b32 s75, -1
	.p2align	6
.LBB4_9414:                             ;   Parent Loop BB4_47 Depth=1
                                        ;     Parent Loop BB4_9323 Depth=2
                                        ;       Parent Loop BB4_9326 Depth=3
                                        ;         Parent Loop BB4_9413 Depth=4
                                        ; =>        This Inner Loop Header: Depth=5
	s_cmp_eq_u32 s22, 1
	s_cselect_b32 vcc_lo, -1, 0
	s_cmp_eq_u32 s22, 0
	v_cndmask_b32_e32 v96, v83, v85, vcc_lo
	v_cndmask_b32_e32 v97, v84, v86, vcc_lo
	s_mov_b64 s[22:23], 1
	v_add_co_u32 v87, s17, 0x200, v96
	v_add_co_ci_u32_e64 v98, null, 0, v97, s17
	s_cselect_b32 s17, -1, 0
	v_cndmask_b32_e32 v85, v85, v87, vcc_lo
	v_cndmask_b32_e64 v83, v83, v87, s17
	v_cndmask_b32_e32 v86, v86, v98, vcc_lo
	v_cndmask_b32_e64 v84, v84, v98, s17
	s_and_b32 s18, exec_lo, s75
	s_mov_b32 s75, 0
	s_mov_b32 vcc_lo, s18
	s_waitcnt vmcnt(0)
	global_store_dwordx4 v[96:97], v[8:11], off glc slc
	s_cbranch_vccnz .LBB4_9414
; %bb.9415:                             ;   in Loop: Header=BB4_9413 Depth=4
	v_sub_nc_u32_e32 v82, v82, v44
	v_add_co_u32 v83, vcc_lo, v83, v56
	v_add_co_ci_u32_e64 v84, null, v84, v59, vcc_lo
	v_add_co_u32 v85, vcc_lo, v85, v56
	v_add_co_ci_u32_e64 v86, null, v86, v59, vcc_lo
	v_cmp_gt_i32_e32 vcc_lo, 16, v82
	v_add_co_u32 v19, s17, v62, v19
	v_add_co_ci_u32_e64 v20, null, v63, v20, s17
	v_sub_nc_u32_e32 v81, v81, v103
	s_or_b32 s74, vcc_lo, s74
	s_andn2_b32 exec_lo, exec_lo, s74
	s_cbranch_execnz .LBB4_9413
; %bb.9416:                             ;   in Loop: Header=BB4_9326 Depth=3
	s_inst_prefetch 0x2
	s_or_b32 exec_lo, exec_lo, s74
.LBB4_9417:                             ;   in Loop: Header=BB4_9326 Depth=3
	s_or_b32 exec_lo, exec_lo, s73
	v_and_b32_e32 v8, 15, v68
	v_cmp_lt_i32_e32 vcc_lo, 0, v81
	v_sub_nc_u32_e32 v9, v80, v8
	v_cndmask_b32_e32 v10, 0, v103, vcc_lo
	v_cndmask_b32_e64 v20, v80, v8, s16
	v_cndmask_b32_e64 v8, 0, v9, s16
	v_sub_nc_u32_e32 v9, v10, v81
	v_cmp_ne_u32_e32 vcc_lo, 0, v20
	v_add3_u32 v19, v71, v70, v8
	v_lshl_add_u32 v69, v9, 5, v69
	s_and_b32 s16, vcc_lo, exec_lo
.LBB4_9418:                             ;   in Loop: Header=BB4_9326 Depth=3
	s_or_b32 exec_lo, exec_lo, s19
	s_and_saveexec_b32 s22, s16
	s_cbranch_execz .LBB4_9429
.LBB4_9419:                             ;   in Loop: Header=BB4_9326 Depth=3
	v_ashrrev_i32_e32 v8, 31, v69
	v_ashrrev_i32_e32 v9, 31, v20
	s_mov_b32 s17, exec_lo
	v_lshrrev_b32_e32 v8, 27, v8
	v_lshrrev_b32_e32 v9, 23, v9
	v_add_nc_u32_e32 v8, v69, v8
	v_add_nc_u32_e32 v9, v20, v9
	v_ashrrev_i32_e32 v70, 5, v8
	v_ashrrev_i32_e32 v80, 9, v9
	v_sub_nc_u32_e32 v71, v80, v70
	v_cmpx_lt_i32_e32 0, v71
	s_cbranch_execz .LBB4_9423
; %bb.9420:                             ;   in Loop: Header=BB4_9326 Depth=3
	v_and_b32_e32 v8, 0xffffffe0, v8
	v_lshlrev_b32_e32 v9, 9, v70
	v_add_co_u32 v83, vcc_lo, 0x1e0, v13
	v_add_co_ci_u32_e64 v84, null, 0, v14, vcc_lo
	v_sub_nc_u32_e32 v8, v69, v8
	s_mov_b32 s18, 0
	v_add3_u32 v81, v19, v8, v9
	v_ashrrev_i32_e32 v82, 31, v81
	v_add_co_u32 v8, vcc_lo, v81, v15
	v_add_co_ci_u32_e64 v9, null, v82, v16, vcc_lo
	v_add_co_u32 v10, vcc_lo, v81, v17
	v_add_co_ci_u32_e64 v11, null, v82, v18, vcc_lo
	;; [unrolled: 2-line block ×3, first 2 shown]
.LBB4_9421:                             ;   Parent Loop BB4_47 Depth=1
                                        ;     Parent Loop BB4_9323 Depth=2
                                        ;       Parent Loop BB4_9326 Depth=3
                                        ; =>      This Inner Loop Header: Depth=4
	v_add_co_u32 v81, vcc_lo, 0xfffffe20, v17
	v_add_co_ci_u32_e64 v82, null, -1, v18, vcc_lo
	v_add_co_u32 v83, vcc_lo, 0xfffffe40, v17
	v_add_co_ci_u32_e64 v84, null, -1, v18, vcc_lo
	;; [unrolled: 2-line block ×15, first 2 shown]
	flat_load_ubyte v95, v[17:18] slc
	flat_load_ubyte v81, v[81:82] slc
	;; [unrolled: 1-line block ×16, first 2 shown]
	v_sub_nc_u32_e32 v71, v71, v103
	v_add_co_u32 v17, vcc_lo, v17, v44
	v_add_co_ci_u32_e64 v18, null, 0, v18, vcc_lo
	v_cmp_gt_i32_e32 vcc_lo, 1, v71
	s_waitcnt vmcnt(15) lgkmcnt(15)
	flat_store_byte v[8:9], v95 offset:480 glc slc
	s_waitcnt vmcnt(14) lgkmcnt(15)
	flat_store_byte v[8:9], v81 glc slc
	s_waitcnt vmcnt(13) lgkmcnt(15)
	flat_store_byte v[8:9], v82 offset:32 glc slc
	s_waitcnt vmcnt(12) lgkmcnt(15)
	flat_store_byte v[8:9], v83 offset:64 glc slc
	s_waitcnt vmcnt(11) lgkmcnt(15)
	flat_store_byte v[8:9], v84 offset:96 glc slc
	s_waitcnt vmcnt(10) lgkmcnt(15)
	flat_store_byte v[8:9], v85 offset:128 glc slc
	s_waitcnt vmcnt(9) lgkmcnt(15)
	flat_store_byte v[8:9], v86 offset:160 glc slc
	s_waitcnt vmcnt(8) lgkmcnt(15)
	flat_store_byte v[8:9], v96 offset:192 glc slc
	s_waitcnt vmcnt(7) lgkmcnt(15)
	flat_store_byte v[8:9], v97 offset:224 glc slc
	s_waitcnt vmcnt(6) lgkmcnt(15)
	flat_store_byte v[8:9], v87 offset:256 glc slc
	s_waitcnt vmcnt(5) lgkmcnt(15)
	flat_store_byte v[8:9], v98 offset:288 glc slc
	s_waitcnt vmcnt(4) lgkmcnt(15)
	flat_store_byte v[8:9], v99 offset:320 glc slc
	s_waitcnt vmcnt(3) lgkmcnt(15)
	flat_store_byte v[8:9], v74 offset:352 glc slc
	s_waitcnt vmcnt(2) lgkmcnt(15)
	flat_store_byte v[8:9], v75 offset:384 glc slc
	s_waitcnt vmcnt(1) lgkmcnt(15)
	flat_store_byte v[8:9], v76 offset:416 glc slc
	s_waitcnt vmcnt(0) lgkmcnt(15)
	flat_store_byte v[8:9], v77 offset:448 glc slc
	flat_store_byte v[10:11], v81 glc slc
	flat_store_byte v[10:11], v82 offset:32 glc slc
	flat_store_byte v[10:11], v83 offset:64 glc slc
	;; [unrolled: 1-line block ×15, first 2 shown]
	v_add_co_u32 v8, s16, v8, v44
	v_add_co_ci_u32_e64 v9, null, 0, v9, s16
	v_add_co_u32 v10, s16, v10, v44
	v_add_co_ci_u32_e64 v11, null, 0, v11, s16
	s_or_b32 s18, vcc_lo, s18
	s_andn2_b32 exec_lo, exec_lo, s18
	s_cbranch_execnz .LBB4_9421
; %bb.9422:                             ;   in Loop: Header=BB4_9326 Depth=3
	s_or_b32 exec_lo, exec_lo, s18
.LBB4_9423:                             ;   in Loop: Header=BB4_9326 Depth=3
	s_or_b32 exec_lo, exec_lo, s17
	v_lshlrev_b32_e32 v8, 9, v80
	v_cmp_ne_u32_e32 vcc_lo, v20, v8
	s_and_b32 exec_lo, exec_lo, vcc_lo
	s_cbranch_execz .LBB4_9429
; %bb.9424:                             ;   in Loop: Header=BB4_9326 Depth=3
	v_lshlrev_b32_e32 v9, 5, v70
	v_lshlrev_b32_e32 v10, 5, v71
	v_sub_nc_u32_e32 v9, v69, v9
	v_sub_nc_u32_e32 v9, v9, v10
	v_add_nc_u32_e32 v8, v8, v9
	v_sub_nc_u32_e32 v10, v20, v8
	v_cmp_lt_i32_e32 vcc_lo, 0, v10
	s_and_b32 exec_lo, exec_lo, vcc_lo
	s_cbranch_execz .LBB4_9429
; %bb.9425:                             ;   in Loop: Header=BB4_9326 Depth=3
	s_trap 2
	ds_read_b64 v[17:18], v0
	ds_read_b128 v[80:83], v0
	v_add_nc_u32_e32 v19, v8, v19
	s_mov_b32 s23, 0
	v_ashrrev_i32_e32 v20, 31, v19
	s_waitcnt lgkmcnt(1)
	v_add_co_u32 v8, vcc_lo, v17, v19
	v_add_co_ci_u32_e64 v9, null, v18, v20, vcc_lo
	s_waitcnt lgkmcnt(0)
	v_add_co_u32 v11, vcc_lo, v80, v19
	v_add_co_ci_u32_e64 v17, null, v81, v20, vcc_lo
	v_add_co_u32 v18, vcc_lo, v82, v19
	v_add_co_ci_u32_e64 v19, null, v83, v20, vcc_lo
	s_inst_prefetch 0x1
	.p2align	6
.LBB4_9426:                             ;   Parent Loop BB4_47 Depth=1
                                        ;     Parent Loop BB4_9323 Depth=2
                                        ;       Parent Loop BB4_9326 Depth=3
                                        ; =>      This Loop Header: Depth=4
                                        ;           Child Loop BB4_9427 Depth 5
	flat_load_ubyte v20, v[8:9] slc
	s_mov_b64 s[18:19], 0
	s_mov_b32 s73, -1
	.p2align	6
.LBB4_9427:                             ;   Parent Loop BB4_47 Depth=1
                                        ;     Parent Loop BB4_9323 Depth=2
                                        ;       Parent Loop BB4_9326 Depth=3
                                        ;         Parent Loop BB4_9426 Depth=4
                                        ; =>        This Inner Loop Header: Depth=5
	s_cmp_eq_u32 s18, 1
	s_cselect_b32 vcc_lo, -1, 0
	s_cmp_eq_u32 s18, 0
	v_cndmask_b32_e32 v69, v11, v18, vcc_lo
	v_cndmask_b32_e32 v70, v17, v19, vcc_lo
	s_mov_b64 s[18:19], 1
	v_add_co_u32 v71, s16, v69, 32
	v_add_co_ci_u32_e64 v80, null, 0, v70, s16
	s_cselect_b32 s16, -1, 0
	v_cndmask_b32_e32 v18, v18, v71, vcc_lo
	v_cndmask_b32_e64 v11, v11, v71, s16
	v_cndmask_b32_e32 v19, v19, v80, vcc_lo
	v_cndmask_b32_e64 v17, v17, v80, s16
	s_and_b32 s17, exec_lo, s73
	s_mov_b32 s73, 0
	s_mov_b32 vcc_lo, s17
	s_waitcnt vmcnt(0) lgkmcnt(0)
	flat_store_byte v[69:70], v20 glc slc
	s_cbranch_vccnz .LBB4_9427
; %bb.9428:                             ;   in Loop: Header=BB4_9426 Depth=4
	v_sub_nc_u32_e32 v10, v10, v114
	v_add_co_u32 v11, vcc_lo, v11, v46
	v_add_co_ci_u32_e64 v17, null, v17, v57, vcc_lo
	v_add_co_u32 v18, vcc_lo, v18, v46
	v_add_co_ci_u32_e64 v19, null, v19, v57, vcc_lo
	v_cmp_gt_i32_e32 vcc_lo, 1, v10
	v_add_co_u32 v8, s16, v60, v8
	v_add_co_ci_u32_e64 v9, null, v61, v9, s16
	s_or_b32 s23, vcc_lo, s23
	s_andn2_b32 exec_lo, exec_lo, s23
	s_cbranch_execnz .LBB4_9426
.LBB4_9429:                             ;   in Loop: Header=BB4_9326 Depth=3
	s_inst_prefetch 0x2
	s_or_b32 exec_lo, exec_lo, s22
	s_mov_b32 s16, 0
.LBB4_9430:                             ;   in Loop: Header=BB4_9326 Depth=3
	s_and_b32 vcc_lo, exec_lo, s16
	s_cbranch_vccz .LBB4_9457
; %bb.9431:                             ;   in Loop: Header=BB4_9326 Depth=3
	s_mov_b32 s16, -1
	s_and_saveexec_b32 s17, s13
	s_cbranch_execz .LBB4_9433
; %bb.9432:                             ;   in Loop: Header=BB4_9326 Depth=3
	ds_read_b32 v8, v0 offset:720
	s_waitcnt lgkmcnt(0)
	v_and_b32_e32 v8, 15, v8
	v_cmp_eq_u32_e32 vcc_lo, 0, v8
	s_orn2_b32 s16, vcc_lo, exec_lo
.LBB4_9433:                             ;   in Loop: Header=BB4_9326 Depth=3
	s_or_b32 exec_lo, exec_lo, s17
	s_and_saveexec_b32 s17, s12
	s_cbranch_execz .LBB4_9435
; %bb.9434:                             ;   in Loop: Header=BB4_9326 Depth=3
	ds_read_b32 v8, v0 offset:784
	s_waitcnt lgkmcnt(0)
	v_and_b32_e32 v8, 15, v8
	v_cmp_eq_u32_e32 vcc_lo, 0, v8
	s_and_b32 s18, s16, vcc_lo
	s_andn2_b32 s16, s16, exec_lo
	s_and_b32 s18, s18, exec_lo
	s_or_b32 s16, s16, s18
.LBB4_9435:                             ;   in Loop: Header=BB4_9326 Depth=3
	s_or_b32 exec_lo, exec_lo, s17
	s_xor_b32 s16, s16, -1
	v_mov_b32_e32 v10, 0
	v_cndmask_b32_e64 v8, 0, 1, s16
	v_mov_b32_e32 v9, v0
	s_mov_b32 s16, -1
	v_cmp_ne_u32_e32 vcc_lo, 0, v8
	v_mov_b32_e32 v8, v68
	s_cbranch_vccz .LBB4_9437
; %bb.9436:                             ;   in Loop: Header=BB4_9326 Depth=3
	s_and_saveexec_b32 s17, s16
	s_cbranch_execnz .LBB4_9448
	s_branch .LBB4_9456
.LBB4_9437:                             ;   in Loop: Header=BB4_9326 Depth=3
	v_ashrrev_i32_e32 v8, 31, v68
	s_mov_b32 s17, exec_lo
	v_lshrrev_b32_e32 v8, 21, v8
	v_add_nc_u32_e32 v8, v68, v8
	v_ashrrev_i32_e32 v18, 11, v8
	v_sub_nc_u32_e32 v17, v18, v113
	v_cmpx_lt_i32_e32 0, v17
	s_cbranch_execz .LBB4_9441
; %bb.9438:                             ;   in Loop: Header=BB4_9326 Depth=3
	v_mov_b32_e32 v8, v15
	v_mov_b32_e32 v10, v13
	;; [unrolled: 1-line block ×4, first 2 shown]
	s_mov_b32 s18, 0
	s_inst_prefetch 0x1
	.p2align	6
.LBB4_9439:                             ;   Parent Loop BB4_47 Depth=1
                                        ;     Parent Loop BB4_9323 Depth=2
                                        ;       Parent Loop BB4_9326 Depth=3
                                        ; =>      This Inner Loop Header: Depth=4
	v_add_co_u32 v19, vcc_lo, v58, v10
	v_add_co_ci_u32_e64 v20, null, 0, v11, vcc_lo
	v_sub_nc_u32_e32 v17, v17, v103
	s_clause 0x3
	global_load_dwordx4 v[80:83], v[19:20], off slc
	global_load_dwordx4 v[84:87], v[19:20], off offset:512 slc
	global_load_dwordx4 v[96:99], v[19:20], off offset:1024 slc
	global_load_dwordx4 v[74:77], v[19:20], off offset:1536 slc
	v_add_co_u32 v19, vcc_lo, v58, v8
	v_add_co_ci_u32_e64 v20, null, 0, v9, vcc_lo
	v_add_co_u32 v10, vcc_lo, v10, v43
	v_add_co_ci_u32_e64 v11, null, 0, v11, vcc_lo
	v_add_co_u32 v8, vcc_lo, v8, v43
	v_cmp_gt_i32_e64 s16, 1, v17
	v_add_co_ci_u32_e64 v9, null, 0, v9, vcc_lo
	s_waitcnt vmcnt(3)
	global_store_dwordx4 v[19:20], v[80:83], off glc slc
	s_waitcnt vmcnt(2)
	global_store_dwordx4 v[19:20], v[84:87], off offset:512 glc slc
	s_waitcnt vmcnt(1)
	global_store_dwordx4 v[19:20], v[96:99], off offset:1024 glc slc
	;; [unrolled: 2-line block ×3, first 2 shown]
	s_or_b32 s18, s16, s18
	s_andn2_b32 exec_lo, exec_lo, s18
	s_cbranch_execnz .LBB4_9439
; %bb.9440:                             ;   in Loop: Header=BB4_9326 Depth=3
	s_inst_prefetch 0x2
	s_or_b32 exec_lo, exec_lo, s18
.LBB4_9441:                             ;   in Loop: Header=BB4_9326 Depth=3
	s_or_b32 exec_lo, exec_lo, s17
	v_lshlrev_b32_e32 v11, 11, v18
	v_mov_b32_e32 v10, 0
	s_mov_b32 s16, 0
	s_mov_b32 s18, exec_lo
                                        ; implicit-def: $vgpr8
                                        ; implicit-def: $vgpr9
	v_cmpx_ne_u32_e64 v68, v11
	s_cbranch_execz .LBB4_9447
; %bb.9442:                             ;   in Loop: Header=BB4_9326 Depth=3
	v_lshlrev_b32_e32 v8, 5, v17
	v_sub_nc_u32_e32 v17, v68, v11
	s_mov_b32 s19, exec_lo
	v_sub_nc_u32_e32 v8, v112, v8
	v_ashrrev_i32_e32 v10, 31, v17
	v_ashrrev_i32_e32 v9, 31, v8
	v_lshrrev_b32_e32 v9, 27, v9
	v_add_nc_u32_e32 v18, v8, v9
	v_lshrrev_b32_e32 v9, 23, v10
	v_and_b32_e32 v10, 0xffffffe0, v18
	v_add_nc_u32_e32 v19, v17, v9
	v_ashrrev_i32_e32 v20, 5, v18
	v_sub_nc_u32_e32 v9, v8, v10
	v_and_b32_e32 v10, 0xfffffe00, v19
	v_ashrrev_i32_e32 v69, 9, v19
	v_lshlrev_b32_e32 v18, 4, v9
	v_sub_nc_u32_e32 v8, v17, v10
	v_lshl_add_u32 v19, v20, 9, v18
	v_cmp_lt_i32_e32 vcc_lo, 15, v8
	v_sub_nc_u32_e32 v18, v17, v19
	v_add_co_ci_u32_e64 v69, null, 0, v69, vcc_lo
	v_sub_nc_u32_e32 v17, v69, v20
	v_cmpx_lt_i32_e32 15, v18
	s_cbranch_execz .LBB4_9446
; %bb.9443:                             ;   in Loop: Header=BB4_9326 Depth=3
	v_add_nc_u32_e32 v19, v19, v11
	s_mov_b32 s22, 0
	v_ashrrev_i32_e32 v20, 31, v19
	.p2align	6
.LBB4_9444:                             ;   Parent Loop BB4_47 Depth=1
                                        ;     Parent Loop BB4_9323 Depth=2
                                        ;       Parent Loop BB4_9326 Depth=3
                                        ; =>      This Inner Loop Header: Depth=4
	v_add_co_u32 v69, s16, v13, v19
	v_add_co_ci_u32_e64 v70, null, v14, v20, s16
	v_sub_nc_u32_e32 v18, v18, v44
	v_sub_nc_u32_e32 v17, v17, v103
	global_load_dwordx4 v[80:83], v[69:70], off slc
	v_add_co_u32 v69, s16, v15, v19
	v_add_co_ci_u32_e64 v70, null, v16, v20, s16
	v_cmp_gt_i32_e64 s16, 16, v18
	v_add_co_u32 v19, s17, v19, v44
	v_add_co_ci_u32_e64 v20, null, 0, v20, s17
	s_or_b32 s22, s16, s22
	s_waitcnt vmcnt(0)
	global_store_dwordx4 v[69:70], v[80:83], off glc slc
	s_andn2_b32 exec_lo, exec_lo, s22
	s_cbranch_execnz .LBB4_9444
; %bb.9445:                             ;   in Loop: Header=BB4_9326 Depth=3
	s_or_b32 exec_lo, exec_lo, s22
.LBB4_9446:                             ;   in Loop: Header=BB4_9326 Depth=3
	s_or_b32 exec_lo, exec_lo, s19
	v_and_b32_e32 v18, 15, v68
	v_cmp_lt_i32_e64 s16, 0, v17
	v_sub_nc_u32_e32 v19, v8, v18
	v_cndmask_b32_e64 v20, 0, v103, s16
	v_cndmask_b32_e32 v8, v8, v18, vcc_lo
	v_cndmask_b32_e32 v18, 0, v19, vcc_lo
	v_sub_nc_u32_e32 v17, v20, v17
	v_cmp_ne_u32_e32 vcc_lo, 0, v8
	v_add3_u32 v10, v10, v11, v18
	v_lshl_add_u32 v9, v17, 5, v9
	s_and_b32 s16, vcc_lo, exec_lo
.LBB4_9447:                             ;   in Loop: Header=BB4_9326 Depth=3
	s_or_b32 exec_lo, exec_lo, s18
	s_and_saveexec_b32 s17, s16
	s_cbranch_execz .LBB4_9456
.LBB4_9448:                             ;   in Loop: Header=BB4_9326 Depth=3
	v_ashrrev_i32_e32 v11, 31, v9
	v_ashrrev_i32_e32 v17, 31, v8
	s_mov_b32 s16, exec_lo
	v_lshrrev_b32_e32 v11, 27, v11
	v_lshrrev_b32_e32 v17, 23, v17
	v_add_nc_u32_e32 v19, v9, v11
	v_add_nc_u32_e32 v17, v8, v17
	v_ashrrev_i32_e32 v11, 5, v19
	v_ashrrev_i32_e32 v18, 9, v17
	v_sub_nc_u32_e32 v17, v18, v11
	v_cmpx_lt_i32_e32 0, v17
	s_cbranch_execz .LBB4_9452
; %bb.9449:                             ;   in Loop: Header=BB4_9326 Depth=3
	v_and_b32_e32 v19, 0xffffffe0, v19
	v_lshlrev_b32_e32 v20, 9, v11
	s_mov_b32 s18, 0
	v_sub_nc_u32_e32 v19, v9, v19
	v_add3_u32 v19, v10, v19, v20
	v_ashrrev_i32_e32 v20, 31, v19
.LBB4_9450:                             ;   Parent Loop BB4_47 Depth=1
                                        ;     Parent Loop BB4_9323 Depth=2
                                        ;       Parent Loop BB4_9326 Depth=3
                                        ; =>      This Inner Loop Header: Depth=4
	v_add_co_u32 v69, vcc_lo, v19, v13
	v_add_co_ci_u32_e64 v70, null, v20, v14, vcc_lo
	v_sub_nc_u32_e32 v17, v17, v103
	s_clause 0xf
	flat_load_ubyte v71, v[69:70] slc
	flat_load_ubyte v80, v[69:70] offset:32 slc
	flat_load_ubyte v81, v[69:70] offset:64 slc
	;; [unrolled: 1-line block ×15, first 2 shown]
	v_add_co_u32 v69, vcc_lo, v19, v15
	v_add_co_ci_u32_e64 v70, null, v20, v16, vcc_lo
	v_add_co_u32 v13, vcc_lo, v13, v44
	v_add_co_ci_u32_e64 v14, null, 0, v14, vcc_lo
	;; [unrolled: 2-line block ×3, first 2 shown]
	v_cmp_gt_i32_e32 vcc_lo, 1, v17
	s_waitcnt vmcnt(15) lgkmcnt(15)
	flat_store_byte v[69:70], v71 glc slc
	s_waitcnt vmcnt(14) lgkmcnt(15)
	flat_store_byte v[69:70], v80 offset:32 glc slc
	s_waitcnt vmcnt(13) lgkmcnt(15)
	flat_store_byte v[69:70], v81 offset:64 glc slc
	;; [unrolled: 2-line block ×15, first 2 shown]
	s_or_b32 s18, vcc_lo, s18
	s_andn2_b32 exec_lo, exec_lo, s18
	s_cbranch_execnz .LBB4_9450
; %bb.9451:                             ;   in Loop: Header=BB4_9326 Depth=3
	s_or_b32 exec_lo, exec_lo, s18
.LBB4_9452:                             ;   in Loop: Header=BB4_9326 Depth=3
	s_or_b32 exec_lo, exec_lo, s16
	v_lshlrev_b32_e32 v13, 9, v18
	v_cmp_ne_u32_e32 vcc_lo, v8, v13
	s_and_b32 exec_lo, exec_lo, vcc_lo
	s_cbranch_execz .LBB4_9456
; %bb.9453:                             ;   in Loop: Header=BB4_9326 Depth=3
	v_lshlrev_b32_e32 v11, 5, v11
	v_sub_nc_u32_e32 v9, v9, v11
	v_lshlrev_b32_e32 v11, 5, v17
	v_sub_nc_u32_e32 v9, v9, v11
	v_add_nc_u32_e32 v13, v13, v9
	v_sub_nc_u32_e32 v11, v8, v13
	v_cmp_lt_i32_e32 vcc_lo, 0, v11
	s_and_b32 exec_lo, exec_lo, vcc_lo
	s_cbranch_execz .LBB4_9456
; %bb.9454:                             ;   in Loop: Header=BB4_9326 Depth=3
	s_trap 2
	ds_read_b64 v[8:9], v0
	v_add_nc_u32_e32 v10, v13, v10
	s_mov_b32 s18, 0
	v_ashrrev_i32_e32 v13, 31, v10
	.p2align	6
.LBB4_9455:                             ;   Parent Loop BB4_47 Depth=1
                                        ;     Parent Loop BB4_9323 Depth=2
                                        ;       Parent Loop BB4_9326 Depth=3
                                        ; =>      This Inner Loop Header: Depth=4
	s_waitcnt lgkmcnt(0)
	v_add_co_u32 v14, vcc_lo, v8, v10
	v_add_co_ci_u32_e64 v15, null, v9, v13, vcc_lo
	v_sub_nc_u32_e32 v11, v11, v114
	v_add_co_u32 v10, s16, v10, v114
	flat_load_ubyte v16, v[14:15] slc
	v_add_co_ci_u32_e64 v13, null, 0, v13, s16
	v_cmp_gt_i32_e32 vcc_lo, 1, v11
	s_or_b32 s18, vcc_lo, s18
	s_waitcnt vmcnt(0) lgkmcnt(0)
	flat_store_byte v[14:15], v16 glc slc
	s_andn2_b32 exec_lo, exec_lo, s18
	s_cbranch_execnz .LBB4_9455
.LBB4_9456:                             ;   in Loop: Header=BB4_9326 Depth=3
	s_or_b32 exec_lo, exec_lo, s17
.LBB4_9457:                             ;   in Loop: Header=BB4_9326 Depth=3
	v_cmp_lt_i32_e64 s16, 0, v68
	s_and_saveexec_b32 s17, s6
	s_cbranch_execz .LBB4_9402
.LBB4_9458:                             ;   in Loop: Header=BB4_9326 Depth=3
	s_and_saveexec_b32 s18, s29
	s_xor_b32 s18, exec_lo, s18
	s_cbranch_execz .LBB4_9473
; %bb.9459:                             ;   in Loop: Header=BB4_9326 Depth=3
	s_and_saveexec_b32 s19, s11
	s_cbranch_execz .LBB4_9472
; %bb.9460:                             ;   in Loop: Header=BB4_9326 Depth=3
	s_mov_b32 s23, exec_lo
	s_mov_b32 s22, exec_lo
	v_mbcnt_lo_u32_b32 v8, s23, 0
	s_waitcnt vmcnt(0) lgkmcnt(0)
	s_waitcnt_vscnt null, 0x0
	buffer_gl1_inv
	buffer_gl0_inv
	v_cmpx_eq_u32_e32 0, v8
	s_cbranch_execz .LBB4_9462
; %bb.9461:                             ;   in Loop: Header=BB4_9326 Depth=3
	s_bcnt1_i32_b32 s23, s23
	v_mov_b32_e32 v9, v2
	v_mov_b32_e32 v8, s23
	ds_add_u64 v0, v[8:9]
	s_trap 2
.LBB4_9462:                             ;   in Loop: Header=BB4_9326 Depth=3
	s_or_b32 exec_lo, exec_lo, s22
	s_trap 2
	ds_read_b64 v[8:9], v0
	s_waitcnt lgkmcnt(0)
	buffer_gl0_inv
	v_add_co_u32 v38, vcc_lo, v38, v103
	v_add_co_ci_u32_e64 v39, null, 0, v39, vcc_lo
	s_mov_b32 s22, exec_lo
	v_cmpx_lt_u64_e64 v[8:9], v[38:39]
	s_cbranch_execz .LBB4_9471
; %bb.9463:                             ;   in Loop: Header=BB4_9326 Depth=3
	s_mov_b32 s23, 0
	s_mov_b32 s75, 0
                                        ; implicit-def: $sgpr73
                                        ; implicit-def: $sgpr74
	s_inst_prefetch 0x1
	s_branch .LBB4_9465
	.p2align	6
.LBB4_9464:                             ;   in Loop: Header=BB4_9465 Depth=4
	s_or_b32 exec_lo, exec_lo, s77
	s_and_b32 s76, exec_lo, s78
	s_or_b32 s23, s76, s23
	s_andn2_b32 s73, s73, exec_lo
	s_and_b32 s76, s74, exec_lo
	s_or_b32 s73, s73, s76
	s_andn2_b32 exec_lo, exec_lo, s23
	s_cbranch_execz .LBB4_9469
.LBB4_9465:                             ;   Parent Loop BB4_47 Depth=1
                                        ;     Parent Loop BB4_9323 Depth=2
                                        ;       Parent Loop BB4_9326 Depth=3
                                        ; =>      This Inner Loop Header: Depth=4
	s_add_i32 s75, s75, 1
	s_cmpk_lg_i32 s75, 0x2710
	s_cselect_b32 s76, -1, 0
	s_and_b32 vcc_lo, exec_lo, s76
	s_cbranch_vccz .LBB4_9467
; %bb.9466:                             ;   in Loop: Header=BB4_9465 Depth=4
	s_mov_b32 s78, -1
	s_or_b32 s74, s74, exec_lo
	s_and_saveexec_b32 s77, s76
	s_cbranch_execz .LBB4_9464
	s_branch .LBB4_9468
	.p2align	6
.LBB4_9467:                             ;   in Loop: Header=BB4_9465 Depth=4
	s_trap 2
	ds_read_b64 v[8:9], v0
	s_andn2_b32 s76, s76, exec_lo
	s_mov_b32 s75, 0
	s_waitcnt lgkmcnt(0)
	flat_load_dword v8, v[8:9] glc dlc
	s_waitcnt vmcnt(0) lgkmcnt(0)
	buffer_gl1_inv
	buffer_gl0_inv
	v_cmp_eq_u32_e32 vcc_lo, 0, v8
	s_and_b32 s77, vcc_lo, exec_lo
	s_or_b32 s76, s76, s77
	s_mov_b32 s78, -1
	s_or_b32 s74, s74, exec_lo
	s_and_saveexec_b32 s77, s76
	s_cbranch_execz .LBB4_9464
.LBB4_9468:                             ;   in Loop: Header=BB4_9465 Depth=4
	s_sleep 1
	s_trap 2
	ds_read_b64 v[8:9], v0
	s_waitcnt lgkmcnt(0)
	buffer_gl0_inv
	s_andn2_b32 s74, s74, exec_lo
	v_cmp_ge_u64_e32 vcc_lo, v[8:9], v[38:39]
	s_orn2_b32 s78, vcc_lo, exec_lo
	s_branch .LBB4_9464
.LBB4_9469:                             ;   in Loop: Header=BB4_9326 Depth=3
	s_inst_prefetch 0x2
	s_or_b32 exec_lo, exec_lo, s23
	s_and_saveexec_b32 s23, s73
	s_xor_b32 s23, exec_lo, s23
	s_cbranch_execz .LBB4_9471
; %bb.9470:                             ;   in Loop: Header=BB4_9326 Depth=3
	ds_write_b32 v0, v115
	s_trap 2
.LBB4_9471:                             ;   in Loop: Header=BB4_9326 Depth=3
	s_or_b32 exec_lo, exec_lo, s22
	;;#ASMSTART
	s_wakeup
	;;#ASMEND
.LBB4_9472:                             ;   in Loop: Header=BB4_9326 Depth=3
	s_or_b32 exec_lo, exec_lo, s19
.LBB4_9473:                             ;   in Loop: Header=BB4_9326 Depth=3
	s_andn2_saveexec_b32 s18, s18
	s_cbranch_execz .LBB4_9475
; %bb.9474:                             ;   in Loop: Header=BB4_9326 Depth=3
	s_waitcnt vmcnt(0) lgkmcnt(0)
	s_waitcnt_vscnt null, 0x0
	buffer_gl1_inv
	buffer_gl0_inv
	s_barrier
.LBB4_9475:                             ;   in Loop: Header=BB4_9326 Depth=3
	s_or_b32 exec_lo, exec_lo, s18
	s_or_b32 exec_lo, exec_lo, s17
                                        ; implicit-def: $vgpr8
	s_and_saveexec_b32 s17, s15
	s_xor_b32 s17, exec_lo, s17
	s_cbranch_execnz .LBB4_9403
.LBB4_9476:                             ;   in Loop: Header=BB4_9326 Depth=3
	s_andn2_saveexec_b32 s16, s17
	s_cbranch_execz .LBB4_9495
.LBB4_9477:                             ;   in Loop: Header=BB4_9326 Depth=3
	s_and_saveexec_b32 s17, s29
	s_xor_b32 s17, exec_lo, s17
	s_cbranch_execz .LBB4_9492
; %bb.9478:                             ;   in Loop: Header=BB4_9326 Depth=3
	s_and_saveexec_b32 s18, s11
	s_cbranch_execz .LBB4_9491
; %bb.9479:                             ;   in Loop: Header=BB4_9326 Depth=3
	s_mov_b32 s22, exec_lo
	s_mov_b32 s19, exec_lo
	v_mbcnt_lo_u32_b32 v8, s22, 0
	;;#ASMSTART
	s_waitcnt lgkmcnt(0) vmcnt(0)
	;;#ASMEND
	v_cmpx_eq_u32_e32 0, v8
	s_cbranch_execz .LBB4_9481
; %bb.9480:                             ;   in Loop: Header=BB4_9326 Depth=3
	s_bcnt1_i32_b32 s22, s22
	v_mov_b32_e32 v9, v2
	v_mov_b32_e32 v8, s22
	s_waitcnt vmcnt(0) lgkmcnt(0)
	s_waitcnt_vscnt null, 0x0
	ds_add_u64 v0, v[8:9]
	s_trap 2
.LBB4_9481:                             ;   in Loop: Header=BB4_9326 Depth=3
	s_or_b32 exec_lo, exec_lo, s19
	s_trap 2
	ds_read_b64 v[8:9], v0
	s_waitcnt vmcnt(0) lgkmcnt(0)
	buffer_gl0_inv
	v_add_co_u32 v38, vcc_lo, v38, v103
	v_add_co_ci_u32_e64 v39, null, 0, v39, vcc_lo
	s_mov_b32 s19, exec_lo
	v_cmpx_lt_u64_e64 v[8:9], v[38:39]
	s_cbranch_execz .LBB4_9490
; %bb.9482:                             ;   in Loop: Header=BB4_9326 Depth=3
	s_mov_b32 s22, 0
	s_mov_b32 s74, 0
                                        ; implicit-def: $sgpr23
                                        ; implicit-def: $sgpr73
	s_inst_prefetch 0x1
	s_branch .LBB4_9484
	.p2align	6
.LBB4_9483:                             ;   in Loop: Header=BB4_9484 Depth=4
	s_or_b32 exec_lo, exec_lo, s76
	s_and_b32 s75, exec_lo, s77
	s_or_b32 s22, s75, s22
	s_andn2_b32 s23, s23, exec_lo
	s_and_b32 s75, s73, exec_lo
	s_or_b32 s23, s23, s75
	s_andn2_b32 exec_lo, exec_lo, s22
	s_cbranch_execz .LBB4_9488
.LBB4_9484:                             ;   Parent Loop BB4_47 Depth=1
                                        ;     Parent Loop BB4_9323 Depth=2
                                        ;       Parent Loop BB4_9326 Depth=3
                                        ; =>      This Inner Loop Header: Depth=4
	s_add_i32 s74, s74, 1
	s_cmpk_lg_i32 s74, 0x2710
	s_cselect_b32 s75, -1, 0
	s_and_b32 vcc_lo, exec_lo, s75
	s_cbranch_vccz .LBB4_9486
; %bb.9485:                             ;   in Loop: Header=BB4_9484 Depth=4
	s_mov_b32 s77, -1
	s_or_b32 s73, s73, exec_lo
	s_and_saveexec_b32 s76, s75
	s_cbranch_execz .LBB4_9483
	s_branch .LBB4_9487
	.p2align	6
.LBB4_9486:                             ;   in Loop: Header=BB4_9484 Depth=4
	s_trap 2
	ds_read_b64 v[8:9], v0
	s_andn2_b32 s75, s75, exec_lo
	s_mov_b32 s74, 0
	s_waitcnt lgkmcnt(0)
	s_waitcnt_vscnt null, 0x0
	flat_load_dword v8, v[8:9] glc dlc
	s_waitcnt vmcnt(0) lgkmcnt(0)
	buffer_gl1_inv
	buffer_gl0_inv
	v_cmp_eq_u32_e32 vcc_lo, 0, v8
	s_and_b32 s76, vcc_lo, exec_lo
	s_or_b32 s75, s75, s76
	s_mov_b32 s77, -1
	s_or_b32 s73, s73, exec_lo
	s_and_saveexec_b32 s76, s75
	s_cbranch_execz .LBB4_9483
.LBB4_9487:                             ;   in Loop: Header=BB4_9484 Depth=4
	s_sleep 1
	s_trap 2
	ds_read_b64 v[8:9], v0
	s_waitcnt lgkmcnt(0)
	buffer_gl0_inv
	s_andn2_b32 s73, s73, exec_lo
	v_cmp_ge_u64_e32 vcc_lo, v[8:9], v[38:39]
	s_orn2_b32 s77, vcc_lo, exec_lo
	s_branch .LBB4_9483
.LBB4_9488:                             ;   in Loop: Header=BB4_9326 Depth=3
	s_inst_prefetch 0x2
	s_or_b32 exec_lo, exec_lo, s22
	s_and_saveexec_b32 s22, s23
	s_xor_b32 s22, exec_lo, s22
	s_cbranch_execz .LBB4_9490
; %bb.9489:                             ;   in Loop: Header=BB4_9326 Depth=3
	ds_write_b32 v0, v115
	s_trap 2
.LBB4_9490:                             ;   in Loop: Header=BB4_9326 Depth=3
	s_or_b32 exec_lo, exec_lo, s19
	;;#ASMSTART
	s_wakeup
	;;#ASMEND
.LBB4_9491:                             ;   in Loop: Header=BB4_9326 Depth=3
	s_or_b32 exec_lo, exec_lo, s18
.LBB4_9492:                             ;   in Loop: Header=BB4_9326 Depth=3
	s_andn2_saveexec_b32 s17, s17
	s_cbranch_execz .LBB4_9494
; %bb.9493:                             ;   in Loop: Header=BB4_9326 Depth=3
	;;#ASMSTART
	s_waitcnt lgkmcnt(0) vmcnt(0)
	;;#ASMEND
	s_barrier
.LBB4_9494:                             ;   in Loop: Header=BB4_9326 Depth=3
	s_or_b32 exec_lo, exec_lo, s17
	v_and_b32_e32 v8, 16, v100
.LBB4_9495:                             ;   in Loop: Header=BB4_9326 Depth=3
	s_or_b32 exec_lo, exec_lo, s16
	v_cmp_ne_u32_e32 vcc_lo, 0, v8
	s_xor_b32 s16, s7, -1
	s_and_b32 s17, vcc_lo, s16
	s_and_saveexec_b32 s16, s17
	s_cbranch_execz .LBB4_9497
; %bb.9496:                             ;   in Loop: Header=BB4_9326 Depth=3
	s_waitcnt vmcnt(0) lgkmcnt(0)
	s_waitcnt_vscnt null, 0x0
	flat_store_dword v[36:37], v115
.LBB4_9497:                             ;   in Loop: Header=BB4_9326 Depth=3
	s_or_b32 exec_lo, exec_lo, s16
	v_and_b32_e32 v8, 48, v100
	s_mov_b32 s16, exec_lo
	v_cmpx_ne_u32_e32 0, v8
	s_cbranch_execz .LBB4_9325
; %bb.9498:                             ;   in Loop: Header=BB4_9326 Depth=3
	v_add_co_u32 v64, vcc_lo, v64, 2
	v_add_co_ci_u32_e64 v65, null, 0, v65, vcc_lo
	s_waitcnt vmcnt(0) lgkmcnt(0)
	s_waitcnt_vscnt null, 0x0
	flat_store_dwordx2 v[32:33], v[64:65]
	s_branch .LBB4_9325
.LBB4_9499:                             ;   in Loop: Header=BB4_9323 Depth=2
	s_or_b32 exec_lo, exec_lo, s62
.LBB4_9500:                             ;   in Loop: Header=BB4_9323 Depth=2
	s_or_b32 exec_lo, exec_lo, s61
	s_mov_b32 s17, exec_lo
	v_cmpx_gt_i32_e32 2, v10
	s_cbranch_execz .LBB4_9576
; %bb.9501:                             ;   in Loop: Header=BB4_9323 Depth=2
	v_cmp_eq_u32_e64 s19, 0, v10
	s_mov_b32 s18, 0
	s_branch .LBB4_9503
.LBB4_9502:                             ;   in Loop: Header=BB4_9503 Depth=3
	s_or_b32 exec_lo, exec_lo, s16
	v_add_nc_u32_e32 v21, v12, v21
	s_mov_b32 s19, 0
	s_andn2_b32 exec_lo, exec_lo, s18
	s_cbranch_execz .LBB4_9575
.LBB4_9503:                             ;   Parent Loop BB4_47 Depth=1
                                        ;     Parent Loop BB4_9323 Depth=2
                                        ; =>    This Loop Header: Depth=3
                                        ;         Child Loop BB4_9509 Depth 4
                                        ;         Child Loop BB4_9537 Depth 4
	;; [unrolled: 1-line block ×3, first 2 shown]
	v_sub_nc_u32_e32 v8, v3, v21
	v_and_b32_e32 v9, 12, v100
	s_mov_b32 s22, exec_lo
	v_min_i32_e32 v12, v12, v8
	v_cmpx_ne_u32_e32 0, v9
	s_cbranch_execz .LBB4_9529
; %bb.9504:                             ;   in Loop: Header=BB4_9503 Depth=3
	s_waitcnt vmcnt(0) lgkmcnt(1)
	v_and_b32_e32 v17, 8, v100
	s_mov_b32 s23, exec_lo
	v_add_co_u32 v10, vcc_lo, v48, v17
	v_add_co_ci_u32_e64 v11, null, 0, v49, vcc_lo
	v_add_co_u32 v8, vcc_lo, v64, 2
	v_add_co_ci_u32_e64 v9, null, 0, v65, vcc_lo
	v_cmpx_lt_u64_e64 v[10:11], v[8:9]
	s_cbranch_execz .LBB4_9516
; %bb.9505:                             ;   in Loop: Header=BB4_9503 Depth=3
	v_and_b32_e32 v10, 64, v100
	s_mov_b32 s61, 0
	s_mov_b32 s73, 0
                                        ; implicit-def: $sgpr62
                                        ; implicit-def: $sgpr63
                                        ; implicit-def: $sgpr72
	v_cmp_eq_u32_e32 vcc_lo, 0, v10
	s_branch .LBB4_9509
.LBB4_9506:                             ;   in Loop: Header=BB4_9509 Depth=4
	s_waitcnt vmcnt(0) lgkmcnt(0)
	v_add_co_u32 v13, s16, v48, v17
	v_add_co_ci_u32_e64 v14, null, 0, v49, s16
	s_or_b32 s76, s76, exec_lo
	v_cmp_ge_u64_e64 s16, v[13:14], v[8:9]
	s_orn2_b32 s75, s16, exec_lo
.LBB4_9507:                             ;   in Loop: Header=BB4_9509 Depth=4
	s_or_b32 exec_lo, exec_lo, s78
	s_andn2_b32 s16, s72, exec_lo
	s_and_b32 s72, s76, exec_lo
	s_andn2_b32 s63, s63, exec_lo
	s_and_b32 s75, s75, exec_lo
	s_or_b32 s72, s16, s72
	s_or_b32 s63, s63, s75
.LBB4_9508:                             ;   in Loop: Header=BB4_9509 Depth=4
	s_or_b32 exec_lo, exec_lo, s74
	s_and_b32 s16, exec_lo, s63
	s_or_b32 s61, s16, s61
	s_andn2_b32 s16, s62, exec_lo
	s_and_b32 s62, s72, exec_lo
	s_or_b32 s62, s16, s62
	s_andn2_b32 exec_lo, exec_lo, s61
	s_cbranch_execz .LBB4_9513
.LBB4_9509:                             ;   Parent Loop BB4_47 Depth=1
                                        ;     Parent Loop BB4_9323 Depth=2
                                        ;       Parent Loop BB4_9503 Depth=3
                                        ; =>      This Inner Loop Header: Depth=4
	s_sleep 1
	s_waitcnt vmcnt(0) lgkmcnt(0)
	flat_load_dwordx2 v[48:49], v[32:33] glc dlc
	s_or_b32 s72, s72, exec_lo
	s_or_b32 s63, s63, exec_lo
                                        ; implicit-def: $vgpr10
	s_and_saveexec_b32 s74, vcc_lo
	s_cbranch_execz .LBB4_9508
; %bb.9510:                             ;   in Loop: Header=BB4_9509 Depth=4
	s_cmpk_lt_i32 s73, 0x270f
	s_mov_b32 s75, -1
	s_cselect_b32 s77, -1, 0
	s_cmpk_gt_i32 s73, 0x270e
	s_cbranch_scc0 .LBB4_9512
; %bb.9511:                             ;   in Loop: Header=BB4_9509 Depth=4
	s_trap 2
	ds_read_b64 v[10:11], v0
	s_andn2_b32 s73, s77, exec_lo
	s_mov_b32 s76, 0
	s_waitcnt vmcnt(0) lgkmcnt(0)
	s_waitcnt_vscnt null, 0x0
	flat_load_dword v10, v[10:11] glc dlc
	s_waitcnt vmcnt(0) lgkmcnt(0)
	buffer_gl1_inv
	buffer_gl0_inv
	v_cmp_eq_u32_e64 s16, 0, v10
	s_and_b32 s16, s16, exec_lo
	s_or_b32 s77, s73, s16
	s_mov_b32 s73, 0
	s_and_saveexec_b32 s78, s77
	s_cbranch_execz .LBB4_9507
	s_branch .LBB4_9506
.LBB4_9512:                             ;   in Loop: Header=BB4_9509 Depth=4
	s_add_i32 s73, s73, 1
	s_mov_b32 s76, -1
                                        ; implicit-def: $vgpr10
	s_and_saveexec_b32 s78, s77
	s_cbranch_execz .LBB4_9507
	s_branch .LBB4_9506
.LBB4_9513:                             ;   in Loop: Header=BB4_9503 Depth=3
	s_or_b32 exec_lo, exec_lo, s61
	s_xor_b32 s16, s62, -1
	s_and_saveexec_b32 s61, s16
	s_xor_b32 s16, exec_lo, s61
	s_cbranch_execz .LBB4_9515
; %bb.9514:                             ;   in Loop: Header=BB4_9503 Depth=3
	v_or_b32_e32 v100, 64, v100
	s_waitcnt vmcnt(0) lgkmcnt(0)
	s_waitcnt_vscnt null, 0x0
	ds_write_b32 v0, v10
	s_trap 2
.LBB4_9515:                             ;   in Loop: Header=BB4_9503 Depth=3
	s_or_b32 exec_lo, exec_lo, s16
.LBB4_9516:                             ;   in Loop: Header=BB4_9503 Depth=3
	s_or_b32 exec_lo, exec_lo, s23
	v_and_b32_e32 v10, 0x108, v100
	;;#ASMSTART
	s_wakeup
	;;#ASMEND
	v_cmp_ne_u32_e32 vcc_lo, 0x108, v10
                                        ; implicit-def: $vgpr10_vgpr11
	s_and_saveexec_b32 s16, vcc_lo
	s_xor_b32 s16, exec_lo, s16
; %bb.9517:                             ;   in Loop: Header=BB4_9503 Depth=3
	v_and_b32_e32 v10, 7, v64
	v_mov_b32_e32 v11, v2
                                        ; implicit-def: $vgpr64_vgpr65
; %bb.9518:                             ;   in Loop: Header=BB4_9503 Depth=3
	s_andn2_saveexec_b32 s16, s16
	s_cbranch_execz .LBB4_9520
; %bb.9519:                             ;   in Loop: Header=BB4_9503 Depth=3
	v_and_b32_e32 v10, 7, v64
	v_ashrrev_i32_e32 v13, 31, v12
	v_mov_b32_e32 v11, v2
	v_mad_u64_u32 v[14:15], null, v10, 24, v[6:7]
	flat_store_dwordx2 v[14:15], v[12:13] offset:8
.LBB4_9520:                             ;   in Loop: Header=BB4_9503 Depth=3
	s_or_b32 exec_lo, exec_lo, s16
	v_and_b32_e32 v13, 0x100, v100
	s_mov_b32 s16, -1
	v_cmp_ne_u32_e32 vcc_lo, 0, v13
                                        ; implicit-def: $vgpr13_vgpr14
	s_and_saveexec_b32 s23, vcc_lo
	s_cbranch_execz .LBB4_9524
; %bb.9521:                             ;   in Loop: Header=BB4_9503 Depth=3
	v_mad_u64_u32 v[15:16], null, v10, 24, v[6:7]
	v_mov_b32_e32 v13, v16
	v_mad_u64_u32 v[13:14], null, v11, 24, v[13:14]
	v_mov_b32_e32 v16, v13
	flat_load_dword v13, v[15:16]
	s_waitcnt vmcnt(0) lgkmcnt(0)
	v_cmp_eq_u32_e64 s16, 1, v13
	v_cmp_ne_u32_e32 vcc_lo, 1, v13
                                        ; implicit-def: $vgpr13_vgpr14
	s_and_saveexec_b32 s61, s16
	s_cbranch_execz .LBB4_9523
; %bb.9522:                             ;   in Loop: Header=BB4_9503 Depth=3
	flat_load_dword v13, v[15:16] offset:4 glc dlc
	s_waitcnt vmcnt(0) lgkmcnt(0)
	v_ashrrev_i32_e32 v14, 31, v13
.LBB4_9523:                             ;   in Loop: Header=BB4_9503 Depth=3
	s_or_b32 exec_lo, exec_lo, s61
	s_orn2_b32 s16, vcc_lo, exec_lo
.LBB4_9524:                             ;   in Loop: Header=BB4_9503 Depth=3
	s_or_b32 exec_lo, exec_lo, s23
	s_and_saveexec_b32 s23, s16
; %bb.9525:                             ;   in Loop: Header=BB4_9503 Depth=3
	v_mul_lo_u32 v11, v11, v101
	v_mul_lo_u32 v15, v10, v102
	v_mad_u64_u32 v[13:14], null, v10, v101, 0
	v_add3_u32 v14, v14, v15, v11
; %bb.9526:                             ;   in Loop: Header=BB4_9503 Depth=3
	s_or_b32 exec_lo, exec_lo, s23
	v_cmp_eq_u32_e32 vcc_lo, 0, v17
	v_and_b32_e32 v16, 0x2000, v100
	s_mov_b32 s16, exec_lo
	v_cndmask_b32_e32 v15, 0xd0, v42, vcc_lo
	v_add_co_u32 v10, vcc_lo, v34, v13
	v_add_co_ci_u32_e64 v11, null, v35, v14, vcc_lo
	v_add_nc_u32_e32 v13, v0, v15
	ds_write_b64 v13, v[10:11] offset:584
	v_cmpx_ne_u32_e32 0, v16
	s_cbranch_execz .LBB4_9528
; %bb.9527:                             ;   in Loop: Header=BB4_9503 Depth=3
	ds_read_b64 v[10:11], v0 offset:872
	s_waitcnt lgkmcnt(0)
	v_add_co_u32 v10, vcc_lo, v10, 1
	v_add_co_ci_u32_e64 v11, null, 0, v11, vcc_lo
	ds_write_b64 v0, v[10:11] offset:872
.LBB4_9528:                             ;   in Loop: Header=BB4_9503 Depth=3
	s_or_b32 exec_lo, exec_lo, s16
	v_mov_b32_e32 v65, v9
	v_mov_b32_e32 v64, v8
.LBB4_9529:                             ;   in Loop: Header=BB4_9503 Depth=3
	s_or_b32 exec_lo, exec_lo, s22
	s_xor_b32 s16, s19, -1
	s_and_b32 s16, exec_lo, s16
	s_or_b32 s18, s16, s18
	s_and_saveexec_b32 s16, s6
	s_cbranch_execz .LBB4_9548
; %bb.9530:                             ;   in Loop: Header=BB4_9503 Depth=3
	s_and_saveexec_b32 s19, s29
	s_xor_b32 s19, exec_lo, s19
	s_cbranch_execz .LBB4_9545
; %bb.9531:                             ;   in Loop: Header=BB4_9503 Depth=3
	s_and_saveexec_b32 s22, s11
	s_cbranch_execz .LBB4_9544
; %bb.9532:                             ;   in Loop: Header=BB4_9503 Depth=3
	s_mov_b32 s61, exec_lo
	s_mov_b32 s23, exec_lo
	v_mbcnt_lo_u32_b32 v8, s61, 0
	s_waitcnt vmcnt(0) lgkmcnt(0)
	s_waitcnt_vscnt null, 0x0
	buffer_gl1_inv
	buffer_gl0_inv
	v_cmpx_eq_u32_e32 0, v8
	s_cbranch_execz .LBB4_9534
; %bb.9533:                             ;   in Loop: Header=BB4_9503 Depth=3
	s_bcnt1_i32_b32 s61, s61
	v_mov_b32_e32 v9, v2
	v_mov_b32_e32 v8, s61
	ds_add_u64 v0, v[8:9]
	s_trap 2
.LBB4_9534:                             ;   in Loop: Header=BB4_9503 Depth=3
	s_or_b32 exec_lo, exec_lo, s23
	s_trap 2
	ds_read_b64 v[8:9], v0
	s_waitcnt lgkmcnt(0)
	buffer_gl0_inv
	v_add_co_u32 v38, vcc_lo, v38, v103
	v_add_co_ci_u32_e64 v39, null, 0, v39, vcc_lo
	s_mov_b32 s23, exec_lo
	v_cmpx_lt_u64_e64 v[8:9], v[38:39]
	s_cbranch_execz .LBB4_9543
; %bb.9535:                             ;   in Loop: Header=BB4_9503 Depth=3
	s_mov_b32 s61, 0
	s_mov_b32 s72, 0
                                        ; implicit-def: $sgpr62
                                        ; implicit-def: $sgpr63
	s_inst_prefetch 0x1
	s_branch .LBB4_9537
	.p2align	6
.LBB4_9536:                             ;   in Loop: Header=BB4_9537 Depth=4
	s_or_b32 exec_lo, exec_lo, s74
	s_and_b32 s73, exec_lo, s75
	s_or_b32 s61, s73, s61
	s_andn2_b32 s62, s62, exec_lo
	s_and_b32 s73, s63, exec_lo
	s_or_b32 s62, s62, s73
	s_andn2_b32 exec_lo, exec_lo, s61
	s_cbranch_execz .LBB4_9541
.LBB4_9537:                             ;   Parent Loop BB4_47 Depth=1
                                        ;     Parent Loop BB4_9323 Depth=2
                                        ;       Parent Loop BB4_9503 Depth=3
                                        ; =>      This Inner Loop Header: Depth=4
	s_add_i32 s72, s72, 1
	s_cmpk_lg_i32 s72, 0x2710
	s_cselect_b32 s73, -1, 0
	s_and_b32 vcc_lo, exec_lo, s73
	s_cbranch_vccz .LBB4_9539
; %bb.9538:                             ;   in Loop: Header=BB4_9537 Depth=4
	s_mov_b32 s75, -1
	s_or_b32 s63, s63, exec_lo
	s_and_saveexec_b32 s74, s73
	s_cbranch_execz .LBB4_9536
	s_branch .LBB4_9540
	.p2align	6
.LBB4_9539:                             ;   in Loop: Header=BB4_9537 Depth=4
	s_trap 2
	ds_read_b64 v[8:9], v0
	s_andn2_b32 s73, s73, exec_lo
	s_mov_b32 s72, 0
	s_waitcnt lgkmcnt(0)
	flat_load_dword v8, v[8:9] glc dlc
	s_waitcnt vmcnt(0) lgkmcnt(0)
	buffer_gl1_inv
	buffer_gl0_inv
	v_cmp_eq_u32_e32 vcc_lo, 0, v8
	s_and_b32 s74, vcc_lo, exec_lo
	s_or_b32 s73, s73, s74
	s_mov_b32 s75, -1
	s_or_b32 s63, s63, exec_lo
	s_and_saveexec_b32 s74, s73
	s_cbranch_execz .LBB4_9536
.LBB4_9540:                             ;   in Loop: Header=BB4_9537 Depth=4
	s_sleep 1
	s_trap 2
	ds_read_b64 v[8:9], v0
	s_waitcnt lgkmcnt(0)
	buffer_gl0_inv
	s_andn2_b32 s63, s63, exec_lo
	v_cmp_ge_u64_e32 vcc_lo, v[8:9], v[38:39]
	s_orn2_b32 s75, vcc_lo, exec_lo
	s_branch .LBB4_9536
.LBB4_9541:                             ;   in Loop: Header=BB4_9503 Depth=3
	s_inst_prefetch 0x2
	s_or_b32 exec_lo, exec_lo, s61
	s_and_saveexec_b32 s61, s62
	s_xor_b32 s61, exec_lo, s61
	s_cbranch_execz .LBB4_9543
; %bb.9542:                             ;   in Loop: Header=BB4_9503 Depth=3
	ds_write_b32 v0, v115
	s_trap 2
.LBB4_9543:                             ;   in Loop: Header=BB4_9503 Depth=3
	s_or_b32 exec_lo, exec_lo, s23
	;;#ASMSTART
	s_wakeup
	;;#ASMEND
.LBB4_9544:                             ;   in Loop: Header=BB4_9503 Depth=3
	s_or_b32 exec_lo, exec_lo, s22
.LBB4_9545:                             ;   in Loop: Header=BB4_9503 Depth=3
	s_andn2_saveexec_b32 s19, s19
	s_cbranch_execz .LBB4_9547
; %bb.9546:                             ;   in Loop: Header=BB4_9503 Depth=3
	s_waitcnt vmcnt(0) lgkmcnt(0)
	s_waitcnt_vscnt null, 0x0
	buffer_gl1_inv
	buffer_gl0_inv
	s_barrier
.LBB4_9547:                             ;   in Loop: Header=BB4_9503 Depth=3
	s_or_b32 exec_lo, exec_lo, s19
.LBB4_9548:                             ;   in Loop: Header=BB4_9503 Depth=3
	s_or_b32 exec_lo, exec_lo, s16
                                        ; implicit-def: $vgpr8
	s_and_saveexec_b32 s16, s15
	s_xor_b32 s19, exec_lo, s16
	s_cbranch_execz .LBB4_9552
; %bb.9549:                             ;   in Loop: Header=BB4_9503 Depth=3
	s_trap 2
	ds_read_b32 v8, v0
	v_cmp_lt_i32_e32 vcc_lo, 0, v12
	s_waitcnt lgkmcnt(0)
	v_readfirstlane_b32 s16, v8
	v_and_b32_e32 v8, 16, v100
	s_cmp_eq_u32 s16, 0
	v_cmp_ne_u32_e64 s16, 0, v8
	s_cselect_b32 s22, -1, 0
	v_and_b32_e32 v8, 16, v100
	s_and_b32 s22, vcc_lo, s22
	s_and_b32 s22, s16, s22
	s_and_saveexec_b32 s16, s22
	s_cbranch_execz .LBB4_9551
; %bb.9550:                             ;   in Loop: Header=BB4_9503 Depth=3
	v_mov_b32_e32 v8, 1
	s_waitcnt vmcnt(0)
	s_waitcnt_vscnt null, 0x0
	buffer_gl1_inv
	buffer_gl0_inv
.LBB4_9551:                             ;   in Loop: Header=BB4_9503 Depth=3
	s_or_b32 exec_lo, exec_lo, s16
	s_andn2_saveexec_b32 s16, s19
	s_cbranch_execz .LBB4_9571
	s_branch .LBB4_9553
.LBB4_9552:                             ;   in Loop: Header=BB4_9503 Depth=3
	s_andn2_saveexec_b32 s16, s19
	s_cbranch_execz .LBB4_9571
.LBB4_9553:                             ;   in Loop: Header=BB4_9503 Depth=3
	s_and_saveexec_b32 s19, s29
	s_xor_b32 s19, exec_lo, s19
	s_cbranch_execz .LBB4_9568
; %bb.9554:                             ;   in Loop: Header=BB4_9503 Depth=3
	s_and_saveexec_b32 s22, s11
	s_cbranch_execz .LBB4_9567
; %bb.9555:                             ;   in Loop: Header=BB4_9503 Depth=3
	s_mov_b32 s61, exec_lo
	s_mov_b32 s23, exec_lo
	v_mbcnt_lo_u32_b32 v8, s61, 0
	;;#ASMSTART
	s_waitcnt lgkmcnt(0) vmcnt(0)
	;;#ASMEND
	v_cmpx_eq_u32_e32 0, v8
	s_cbranch_execz .LBB4_9557
; %bb.9556:                             ;   in Loop: Header=BB4_9503 Depth=3
	s_bcnt1_i32_b32 s61, s61
	v_mov_b32_e32 v9, v2
	v_mov_b32_e32 v8, s61
	s_waitcnt vmcnt(0) lgkmcnt(0)
	s_waitcnt_vscnt null, 0x0
	ds_add_u64 v0, v[8:9]
	s_trap 2
.LBB4_9557:                             ;   in Loop: Header=BB4_9503 Depth=3
	s_or_b32 exec_lo, exec_lo, s23
	s_trap 2
	ds_read_b64 v[8:9], v0
	s_waitcnt vmcnt(0) lgkmcnt(0)
	buffer_gl0_inv
	v_add_co_u32 v38, vcc_lo, v38, v103
	v_add_co_ci_u32_e64 v39, null, 0, v39, vcc_lo
	s_mov_b32 s23, exec_lo
	v_cmpx_lt_u64_e64 v[8:9], v[38:39]
	s_cbranch_execz .LBB4_9566
; %bb.9558:                             ;   in Loop: Header=BB4_9503 Depth=3
	s_mov_b32 s61, 0
	s_mov_b32 s72, 0
                                        ; implicit-def: $sgpr62
                                        ; implicit-def: $sgpr63
	s_inst_prefetch 0x1
	s_branch .LBB4_9560
	.p2align	6
.LBB4_9559:                             ;   in Loop: Header=BB4_9560 Depth=4
	s_or_b32 exec_lo, exec_lo, s74
	s_and_b32 s73, exec_lo, s75
	s_or_b32 s61, s73, s61
	s_andn2_b32 s62, s62, exec_lo
	s_and_b32 s73, s63, exec_lo
	s_or_b32 s62, s62, s73
	s_andn2_b32 exec_lo, exec_lo, s61
	s_cbranch_execz .LBB4_9564
.LBB4_9560:                             ;   Parent Loop BB4_47 Depth=1
                                        ;     Parent Loop BB4_9323 Depth=2
                                        ;       Parent Loop BB4_9503 Depth=3
                                        ; =>      This Inner Loop Header: Depth=4
	s_add_i32 s72, s72, 1
	s_cmpk_lg_i32 s72, 0x2710
	s_cselect_b32 s73, -1, 0
	s_and_b32 vcc_lo, exec_lo, s73
	s_cbranch_vccz .LBB4_9562
; %bb.9561:                             ;   in Loop: Header=BB4_9560 Depth=4
	s_mov_b32 s75, -1
	s_or_b32 s63, s63, exec_lo
	s_and_saveexec_b32 s74, s73
	s_cbranch_execz .LBB4_9559
	s_branch .LBB4_9563
	.p2align	6
.LBB4_9562:                             ;   in Loop: Header=BB4_9560 Depth=4
	s_trap 2
	ds_read_b64 v[8:9], v0
	s_andn2_b32 s73, s73, exec_lo
	s_mov_b32 s72, 0
	s_waitcnt lgkmcnt(0)
	s_waitcnt_vscnt null, 0x0
	flat_load_dword v8, v[8:9] glc dlc
	s_waitcnt vmcnt(0) lgkmcnt(0)
	buffer_gl1_inv
	buffer_gl0_inv
	v_cmp_eq_u32_e32 vcc_lo, 0, v8
	s_and_b32 s74, vcc_lo, exec_lo
	s_or_b32 s73, s73, s74
	s_mov_b32 s75, -1
	s_or_b32 s63, s63, exec_lo
	s_and_saveexec_b32 s74, s73
	s_cbranch_execz .LBB4_9559
.LBB4_9563:                             ;   in Loop: Header=BB4_9560 Depth=4
	s_sleep 1
	s_trap 2
	ds_read_b64 v[8:9], v0
	s_waitcnt lgkmcnt(0)
	buffer_gl0_inv
	s_andn2_b32 s63, s63, exec_lo
	v_cmp_ge_u64_e32 vcc_lo, v[8:9], v[38:39]
	s_orn2_b32 s75, vcc_lo, exec_lo
	s_branch .LBB4_9559
.LBB4_9564:                             ;   in Loop: Header=BB4_9503 Depth=3
	s_inst_prefetch 0x2
	s_or_b32 exec_lo, exec_lo, s61
	s_and_saveexec_b32 s61, s62
	s_xor_b32 s61, exec_lo, s61
	s_cbranch_execz .LBB4_9566
; %bb.9565:                             ;   in Loop: Header=BB4_9503 Depth=3
	ds_write_b32 v0, v115
	s_trap 2
.LBB4_9566:                             ;   in Loop: Header=BB4_9503 Depth=3
	s_or_b32 exec_lo, exec_lo, s23
	;;#ASMSTART
	s_wakeup
	;;#ASMEND
.LBB4_9567:                             ;   in Loop: Header=BB4_9503 Depth=3
	s_or_b32 exec_lo, exec_lo, s22
.LBB4_9568:                             ;   in Loop: Header=BB4_9503 Depth=3
	s_andn2_saveexec_b32 s19, s19
	s_cbranch_execz .LBB4_9570
; %bb.9569:                             ;   in Loop: Header=BB4_9503 Depth=3
	;;#ASMSTART
	s_waitcnt lgkmcnt(0) vmcnt(0)
	;;#ASMEND
	s_barrier
.LBB4_9570:                             ;   in Loop: Header=BB4_9503 Depth=3
	s_or_b32 exec_lo, exec_lo, s19
	v_and_b32_e32 v8, 16, v100
.LBB4_9571:                             ;   in Loop: Header=BB4_9503 Depth=3
	s_or_b32 exec_lo, exec_lo, s16
	v_cmp_ne_u32_e32 vcc_lo, 0, v8
	s_xor_b32 s16, s7, -1
	s_and_b32 s19, vcc_lo, s16
	s_and_saveexec_b32 s16, s19
	s_cbranch_execz .LBB4_9573
; %bb.9572:                             ;   in Loop: Header=BB4_9503 Depth=3
	s_waitcnt vmcnt(0) lgkmcnt(0)
	s_waitcnt_vscnt null, 0x0
	flat_store_dword v[36:37], v115
.LBB4_9573:                             ;   in Loop: Header=BB4_9503 Depth=3
	s_or_b32 exec_lo, exec_lo, s16
	v_and_b32_e32 v8, 48, v100
	s_mov_b32 s16, exec_lo
	v_cmpx_ne_u32_e32 0, v8
	s_cbranch_execz .LBB4_9502
; %bb.9574:                             ;   in Loop: Header=BB4_9503 Depth=3
	v_add_co_u32 v64, vcc_lo, v64, 2
	v_add_co_ci_u32_e64 v65, null, 0, v65, vcc_lo
	s_waitcnt vmcnt(0) lgkmcnt(0)
	s_waitcnt_vscnt null, 0x0
	flat_store_dwordx2 v[32:33], v[64:65]
	s_branch .LBB4_9502
.LBB4_9575:                             ;   in Loop: Header=BB4_9323 Depth=2
	s_or_b32 exec_lo, exec_lo, s18
.LBB4_9576:                             ;   in Loop: Header=BB4_9323 Depth=2
	s_or_b32 exec_lo, exec_lo, s17
	s_add_i32 s16, s21, 1
	s_cmp_eq_u32 s21, s56
	s_cbranch_scc1 .LBB4_9578
; %bb.9577:                             ;   in Loop: Header=BB4_9323 Depth=2
	s_mov_b32 s21, s16
	s_branch .LBB4_9323
.LBB4_9578:                             ;   in Loop: Header=BB4_47 Depth=1
	v_mul_lo_u32 v3, v55, s58
	v_mul_lo_u32 v10, v54, s59
	v_mad_u64_u32 v[8:9], null, v54, s58, 0
	s_waitcnt vmcnt(0) lgkmcnt(1)
	v_mov_b32_e32 v17, 0
	v_add3_u32 v9, v9, v10, v3
	v_sub_co_u32 v10, vcc_lo, v66, v8
	v_sub_co_ci_u32_e64 v11, null, v67, v9, vcc_lo
	v_cmp_lt_i64_e32 vcc_lo, v[54:55], v[10:11]
	v_cndmask_b32_e32 v11, v10, v54, vcc_lo
	v_max_i32_e32 v3, 0, v11
	v_cmp_lt_i32_e32 vcc_lo, 0, v11
	v_add_nc_u32_e32 v10, 31, v3
	s_and_b32 s16, s57, vcc_lo
	v_lshrrev_b32_e32 v10, 1, v10
	v_and_b32_e32 v12, 0x3ffffff0, v10
	v_mov_b32_e32 v10, 0
	v_max_i32_e32 v16, s45, v12
	s_and_saveexec_b32 s18, s16
	s_cbranch_execz .LBB4_9716
; %bb.9579:                             ;   in Loop: Header=BB4_47 Depth=1
	v_add_co_u32 v18, vcc_lo, v8, v72
	v_add_co_ci_u32_e64 v19, null, v9, v73, vcc_lo
	v_mov_b32_e32 v17, 0
	s_mov_b32 s22, 1
	s_mov_b32 s21, -1
	s_mov_b32 s19, 0
	s_branch .LBB4_9581
.LBB4_9580:                             ;   in Loop: Header=BB4_9581 Depth=2
	s_or_b32 exec_lo, exec_lo, s16
	v_add_nc_u32_e32 v17, v16, v17
	s_xor_b32 s16, s21, -1
	v_mov_b32_e32 v10, s22
	s_mov_b32 s21, 0
	s_mov_b32 s22, 2
	v_cmp_ge_i32_e32 vcc_lo, v17, v3
	s_or_b32 s16, s16, vcc_lo
	s_and_b32 s16, exec_lo, s16
	s_or_b32 s19, s16, s19
	s_andn2_b32 exec_lo, exec_lo, s19
	s_cbranch_execz .LBB4_9715
.LBB4_9581:                             ;   Parent Loop BB4_47 Depth=1
                                        ; =>  This Loop Header: Depth=2
                                        ;       Child Loop BB4_9589 Depth 3
                                        ;       Child Loop BB4_9613 Depth 3
	;; [unrolled: 1-line block ×9, first 2 shown]
	s_and_saveexec_b32 s17, s4
	s_cbranch_execz .LBB4_9583
; %bb.9582:                             ;   in Loop: Header=BB4_9581 Depth=2
	s_trap 2
	ds_read_b128 v[8:11], v0
	v_ashrrev_i32_e32 v12, 31, v17
	s_waitcnt lgkmcnt(0)
	v_add_co_u32 v13, vcc_lo, v10, v18
	v_add_co_ci_u32_e64 v14, null, v11, v19, vcc_lo
	v_add_co_u32 v8, vcc_lo, v8, v18
	v_add_co_ci_u32_e64 v9, null, v9, v19, vcc_lo
	;; [unrolled: 2-line block ×3, first 2 shown]
	v_cmp_ne_u64_e32 vcc_lo, 0, v[10:11]
	v_add_co_u32 v8, s16, v8, v17
	v_add_co_ci_u32_e64 v9, null, v9, v12, s16
	v_cndmask_b32_e32 v11, 0, v14, vcc_lo
	v_cndmask_b32_e32 v10, 0, v13, vcc_lo
	ds_write_b64 v0, v[8:9]
	ds_write_b64 v0, v[10:11]
.LBB4_9583:                             ;   in Loop: Header=BB4_9581 Depth=2
	s_or_b32 exec_lo, exec_lo, s17
	v_and_b32_e32 v8, 4, v100
	s_mov_b32 s17, exec_lo
	v_cmpx_ne_u32_e32 0, v8
	s_cbranch_execz .LBB4_9605
; %bb.9584:                             ;   in Loop: Header=BB4_9581 Depth=2
	v_add_co_u32 v8, vcc_lo, v64, 2
	v_add_co_ci_u32_e64 v9, null, 0, v65, vcc_lo
	s_mov_b32 s23, exec_lo
	s_waitcnt vmcnt(0)
	v_cmpx_lt_u64_e64 v[48:49], v[8:9]
	s_cbranch_execz .LBB4_9596
; %bb.9585:                             ;   in Loop: Header=BB4_9581 Depth=2
	v_and_b32_e32 v10, 64, v100
	s_mov_b32 s61, 0
	s_mov_b32 s73, 0
                                        ; implicit-def: $sgpr62
                                        ; implicit-def: $sgpr63
                                        ; implicit-def: $sgpr72
	v_cmp_eq_u32_e32 vcc_lo, 0, v10
	s_branch .LBB4_9589
.LBB4_9586:                             ;   in Loop: Header=BB4_9589 Depth=3
	s_waitcnt vmcnt(0) lgkmcnt(0)
	v_cmp_ge_u64_e64 s16, v[48:49], v[8:9]
	s_or_b32 s76, s76, exec_lo
	s_orn2_b32 s75, s16, exec_lo
.LBB4_9587:                             ;   in Loop: Header=BB4_9589 Depth=3
	s_or_b32 exec_lo, exec_lo, s78
	s_andn2_b32 s16, s72, exec_lo
	s_and_b32 s72, s76, exec_lo
	s_andn2_b32 s63, s63, exec_lo
	s_and_b32 s75, s75, exec_lo
	s_or_b32 s72, s16, s72
	s_or_b32 s63, s63, s75
.LBB4_9588:                             ;   in Loop: Header=BB4_9589 Depth=3
	s_or_b32 exec_lo, exec_lo, s74
	s_and_b32 s16, exec_lo, s63
	s_or_b32 s61, s16, s61
	s_andn2_b32 s16, s62, exec_lo
	s_and_b32 s62, s72, exec_lo
	s_or_b32 s62, s16, s62
	s_andn2_b32 exec_lo, exec_lo, s61
	s_cbranch_execz .LBB4_9593
.LBB4_9589:                             ;   Parent Loop BB4_47 Depth=1
                                        ;     Parent Loop BB4_9581 Depth=2
                                        ; =>    This Inner Loop Header: Depth=3
	s_sleep 1
	s_waitcnt vmcnt(0) lgkmcnt(0)
	flat_load_dwordx2 v[48:49], v[32:33] glc dlc
	s_or_b32 s72, s72, exec_lo
	s_or_b32 s63, s63, exec_lo
                                        ; implicit-def: $vgpr10
	s_and_saveexec_b32 s74, vcc_lo
	s_cbranch_execz .LBB4_9588
; %bb.9590:                             ;   in Loop: Header=BB4_9589 Depth=3
	s_cmpk_lt_i32 s73, 0x270f
	s_mov_b32 s75, -1
	s_cselect_b32 s77, -1, 0
	s_cmpk_gt_i32 s73, 0x270e
	s_cbranch_scc0 .LBB4_9592
; %bb.9591:                             ;   in Loop: Header=BB4_9589 Depth=3
	s_trap 2
	ds_read_b64 v[10:11], v0
	s_andn2_b32 s73, s77, exec_lo
	s_mov_b32 s76, 0
	s_waitcnt vmcnt(0) lgkmcnt(0)
	s_waitcnt_vscnt null, 0x0
	flat_load_dword v10, v[10:11] glc dlc
	s_waitcnt vmcnt(0) lgkmcnt(0)
	buffer_gl1_inv
	buffer_gl0_inv
	v_cmp_eq_u32_e64 s16, 0, v10
	s_and_b32 s16, s16, exec_lo
	s_or_b32 s77, s73, s16
	s_mov_b32 s73, 0
	s_and_saveexec_b32 s78, s77
	s_cbranch_execz .LBB4_9587
	s_branch .LBB4_9586
.LBB4_9592:                             ;   in Loop: Header=BB4_9589 Depth=3
	s_add_i32 s73, s73, 1
	s_mov_b32 s76, -1
                                        ; implicit-def: $vgpr10
	s_and_saveexec_b32 s78, s77
	s_cbranch_execz .LBB4_9587
	s_branch .LBB4_9586
.LBB4_9593:                             ;   in Loop: Header=BB4_9581 Depth=2
	s_or_b32 exec_lo, exec_lo, s61
	s_xor_b32 s16, s62, -1
	s_and_saveexec_b32 s61, s16
	s_xor_b32 s16, exec_lo, s61
	s_cbranch_execz .LBB4_9595
; %bb.9594:                             ;   in Loop: Header=BB4_9581 Depth=2
	v_or_b32_e32 v100, 64, v100
	s_waitcnt vmcnt(0) lgkmcnt(0)
	s_waitcnt_vscnt null, 0x0
	ds_write_b32 v0, v10
	s_trap 2
.LBB4_9595:                             ;   in Loop: Header=BB4_9581 Depth=2
	s_or_b32 exec_lo, exec_lo, s16
.LBB4_9596:                             ;   in Loop: Header=BB4_9581 Depth=2
	s_or_b32 exec_lo, exec_lo, s23
	v_and_b32_e32 v10, 0x100, v100
	v_and_b32_e32 v14, 7, v64
	s_mov_b32 s16, -1
	;;#ASMSTART
	s_wakeup
	;;#ASMEND
	v_cmp_ne_u32_e32 vcc_lo, 0, v10
                                        ; implicit-def: $vgpr10_vgpr11
	s_and_saveexec_b32 s23, vcc_lo
	s_cbranch_execz .LBB4_9600
; %bb.9597:                             ;   in Loop: Header=BB4_9581 Depth=2
	v_mad_u64_u32 v[12:13], null, v14, 24, v[6:7]
	flat_load_dword v10, v[12:13]
	s_waitcnt vmcnt(0) lgkmcnt(0)
	v_cmp_eq_u32_e64 s16, 1, v10
	v_cmp_ne_u32_e32 vcc_lo, 1, v10
                                        ; implicit-def: $vgpr10_vgpr11
	s_and_saveexec_b32 s61, s16
	s_cbranch_execz .LBB4_9599
; %bb.9598:                             ;   in Loop: Header=BB4_9581 Depth=2
	flat_load_dword v10, v[12:13] offset:4 glc dlc
	s_waitcnt vmcnt(0) lgkmcnt(0)
	v_ashrrev_i32_e32 v11, 31, v10
.LBB4_9599:                             ;   in Loop: Header=BB4_9581 Depth=2
	s_or_b32 exec_lo, exec_lo, s61
	s_orn2_b32 s16, vcc_lo, exec_lo
.LBB4_9600:                             ;   in Loop: Header=BB4_9581 Depth=2
	s_or_b32 exec_lo, exec_lo, s23
	s_and_saveexec_b32 s23, s16
; %bb.9601:                             ;   in Loop: Header=BB4_9581 Depth=2
	v_mad_i64_i32 v[10:11], null, v14, v101, 0
; %bb.9602:                             ;   in Loop: Header=BB4_9581 Depth=2
	s_or_b32 exec_lo, exec_lo, s23
	v_add_co_u32 v10, vcc_lo, v34, v10
	v_and_b32_e32 v12, 0x2000, v100
	v_add_co_ci_u32_e64 v11, null, v35, v11, vcc_lo
	s_mov_b32 s16, exec_lo
	ds_write_b64 v0, v[10:11] offset:720
	v_cmpx_ne_u32_e32 0, v12
	s_cbranch_execz .LBB4_9604
; %bb.9603:                             ;   in Loop: Header=BB4_9581 Depth=2
	ds_read_b64 v[10:11], v0 offset:872
	s_waitcnt lgkmcnt(0)
	v_add_co_u32 v10, vcc_lo, v10, 1
	v_add_co_ci_u32_e64 v11, null, 0, v11, vcc_lo
	ds_write_b64 v0, v[10:11] offset:872
.LBB4_9604:                             ;   in Loop: Header=BB4_9581 Depth=2
	s_or_b32 exec_lo, exec_lo, s16
	v_mov_b32_e32 v65, v9
	v_mov_b32_e32 v64, v8
.LBB4_9605:                             ;   in Loop: Header=BB4_9581 Depth=2
	s_or_b32 exec_lo, exec_lo, s17
	s_and_saveexec_b32 s16, s6
	s_cbranch_execz .LBB4_9624
; %bb.9606:                             ;   in Loop: Header=BB4_9581 Depth=2
	s_and_saveexec_b32 s17, s29
	s_xor_b32 s17, exec_lo, s17
	s_cbranch_execz .LBB4_9621
; %bb.9607:                             ;   in Loop: Header=BB4_9581 Depth=2
	s_and_saveexec_b32 s23, s11
	s_cbranch_execz .LBB4_9620
; %bb.9608:                             ;   in Loop: Header=BB4_9581 Depth=2
	s_mov_b32 s62, exec_lo
	s_mov_b32 s61, exec_lo
	v_mbcnt_lo_u32_b32 v8, s62, 0
	s_waitcnt vmcnt(0) lgkmcnt(0)
	s_waitcnt_vscnt null, 0x0
	buffer_gl1_inv
	buffer_gl0_inv
	v_cmpx_eq_u32_e32 0, v8
	s_cbranch_execz .LBB4_9610
; %bb.9609:                             ;   in Loop: Header=BB4_9581 Depth=2
	s_bcnt1_i32_b32 s62, s62
	v_mov_b32_e32 v9, v2
	v_mov_b32_e32 v8, s62
	ds_add_u64 v0, v[8:9]
	s_trap 2
.LBB4_9610:                             ;   in Loop: Header=BB4_9581 Depth=2
	s_or_b32 exec_lo, exec_lo, s61
	s_trap 2
	ds_read_b64 v[8:9], v0
	s_waitcnt lgkmcnt(0)
	buffer_gl0_inv
	v_add_co_u32 v38, vcc_lo, v38, v103
	v_add_co_ci_u32_e64 v39, null, 0, v39, vcc_lo
	s_mov_b32 s61, exec_lo
	v_cmpx_lt_u64_e64 v[8:9], v[38:39]
	s_cbranch_execz .LBB4_9619
; %bb.9611:                             ;   in Loop: Header=BB4_9581 Depth=2
	s_mov_b32 s62, 0
	s_mov_b32 s73, 0
                                        ; implicit-def: $sgpr63
                                        ; implicit-def: $sgpr72
	s_inst_prefetch 0x1
	s_branch .LBB4_9613
	.p2align	6
.LBB4_9612:                             ;   in Loop: Header=BB4_9613 Depth=3
	s_or_b32 exec_lo, exec_lo, s75
	s_and_b32 s74, exec_lo, s76
	s_or_b32 s62, s74, s62
	s_andn2_b32 s63, s63, exec_lo
	s_and_b32 s74, s72, exec_lo
	s_or_b32 s63, s63, s74
	s_andn2_b32 exec_lo, exec_lo, s62
	s_cbranch_execz .LBB4_9617
.LBB4_9613:                             ;   Parent Loop BB4_47 Depth=1
                                        ;     Parent Loop BB4_9581 Depth=2
                                        ; =>    This Inner Loop Header: Depth=3
	s_add_i32 s73, s73, 1
	s_cmpk_lg_i32 s73, 0x2710
	s_cselect_b32 s74, -1, 0
	s_and_b32 vcc_lo, exec_lo, s74
	s_cbranch_vccz .LBB4_9615
; %bb.9614:                             ;   in Loop: Header=BB4_9613 Depth=3
	s_mov_b32 s76, -1
	s_or_b32 s72, s72, exec_lo
	s_and_saveexec_b32 s75, s74
	s_cbranch_execz .LBB4_9612
	s_branch .LBB4_9616
	.p2align	6
.LBB4_9615:                             ;   in Loop: Header=BB4_9613 Depth=3
	s_trap 2
	ds_read_b64 v[8:9], v0
	s_andn2_b32 s74, s74, exec_lo
	s_mov_b32 s73, 0
	s_waitcnt lgkmcnt(0)
	flat_load_dword v8, v[8:9] glc dlc
	s_waitcnt vmcnt(0) lgkmcnt(0)
	buffer_gl1_inv
	buffer_gl0_inv
	v_cmp_eq_u32_e32 vcc_lo, 0, v8
	s_and_b32 s75, vcc_lo, exec_lo
	s_or_b32 s74, s74, s75
	s_mov_b32 s76, -1
	s_or_b32 s72, s72, exec_lo
	s_and_saveexec_b32 s75, s74
	s_cbranch_execz .LBB4_9612
.LBB4_9616:                             ;   in Loop: Header=BB4_9613 Depth=3
	s_sleep 1
	s_trap 2
	ds_read_b64 v[8:9], v0
	s_waitcnt lgkmcnt(0)
	buffer_gl0_inv
	s_andn2_b32 s72, s72, exec_lo
	v_cmp_ge_u64_e32 vcc_lo, v[8:9], v[38:39]
	s_orn2_b32 s76, vcc_lo, exec_lo
	s_branch .LBB4_9612
.LBB4_9617:                             ;   in Loop: Header=BB4_9581 Depth=2
	s_inst_prefetch 0x2
	s_or_b32 exec_lo, exec_lo, s62
	s_and_saveexec_b32 s62, s63
	s_xor_b32 s62, exec_lo, s62
	s_cbranch_execz .LBB4_9619
; %bb.9618:                             ;   in Loop: Header=BB4_9581 Depth=2
	ds_write_b32 v0, v115
	s_trap 2
.LBB4_9619:                             ;   in Loop: Header=BB4_9581 Depth=2
	s_or_b32 exec_lo, exec_lo, s61
	;;#ASMSTART
	s_wakeup
	;;#ASMEND
.LBB4_9620:                             ;   in Loop: Header=BB4_9581 Depth=2
	s_or_b32 exec_lo, exec_lo, s23
.LBB4_9621:                             ;   in Loop: Header=BB4_9581 Depth=2
	s_andn2_saveexec_b32 s17, s17
	s_cbranch_execz .LBB4_9623
; %bb.9622:                             ;   in Loop: Header=BB4_9581 Depth=2
	s_waitcnt vmcnt(0) lgkmcnt(0)
	s_waitcnt_vscnt null, 0x0
	buffer_gl1_inv
	buffer_gl0_inv
	s_barrier
.LBB4_9623:                             ;   in Loop: Header=BB4_9581 Depth=2
	s_or_b32 exec_lo, exec_lo, s17
.LBB4_9624:                             ;   in Loop: Header=BB4_9581 Depth=2
	s_or_b32 exec_lo, exec_lo, s16
	s_trap 2
	ds_read_b32 v12, v0
	v_and_b32_e32 v8, 0x4000, v100
	s_xor_b32 s16, s5, -1
	v_cmp_ne_u32_e32 vcc_lo, 0, v8
	s_and_b32 s17, s16, vcc_lo
	s_and_saveexec_b32 s16, s17
	s_cbranch_execz .LBB4_9643
; %bb.9625:                             ;   in Loop: Header=BB4_9581 Depth=2
	s_and_saveexec_b32 s17, s29
	s_xor_b32 s17, exec_lo, s17
	s_cbranch_execz .LBB4_9640
; %bb.9626:                             ;   in Loop: Header=BB4_9581 Depth=2
	s_and_saveexec_b32 s23, s11
	s_cbranch_execz .LBB4_9639
; %bb.9627:                             ;   in Loop: Header=BB4_9581 Depth=2
	s_mov_b32 s62, exec_lo
	s_mov_b32 s61, exec_lo
	v_mbcnt_lo_u32_b32 v8, s62, 0
	s_waitcnt vmcnt(0) lgkmcnt(0)
	s_waitcnt_vscnt null, 0x0
	buffer_gl1_inv
	buffer_gl0_inv
	v_cmpx_eq_u32_e32 0, v8
	s_cbranch_execz .LBB4_9629
; %bb.9628:                             ;   in Loop: Header=BB4_9581 Depth=2
	s_bcnt1_i32_b32 s62, s62
	v_mov_b32_e32 v9, v2
	v_mov_b32_e32 v8, s62
	ds_add_u64 v0, v[8:9]
	s_trap 2
.LBB4_9629:                             ;   in Loop: Header=BB4_9581 Depth=2
	s_or_b32 exec_lo, exec_lo, s61
	s_trap 2
	ds_read_b64 v[8:9], v0
	s_waitcnt lgkmcnt(0)
	buffer_gl0_inv
	v_add_co_u32 v38, vcc_lo, v38, v103
	v_add_co_ci_u32_e64 v39, null, 0, v39, vcc_lo
	s_mov_b32 s61, exec_lo
	v_cmpx_lt_u64_e64 v[8:9], v[38:39]
	s_cbranch_execz .LBB4_9638
; %bb.9630:                             ;   in Loop: Header=BB4_9581 Depth=2
	s_mov_b32 s62, 0
	s_mov_b32 s73, 0
                                        ; implicit-def: $sgpr63
                                        ; implicit-def: $sgpr72
	s_inst_prefetch 0x1
	s_branch .LBB4_9632
	.p2align	6
.LBB4_9631:                             ;   in Loop: Header=BB4_9632 Depth=3
	s_or_b32 exec_lo, exec_lo, s75
	s_and_b32 s74, exec_lo, s76
	s_or_b32 s62, s74, s62
	s_andn2_b32 s63, s63, exec_lo
	s_and_b32 s74, s72, exec_lo
	s_or_b32 s63, s63, s74
	s_andn2_b32 exec_lo, exec_lo, s62
	s_cbranch_execz .LBB4_9636
.LBB4_9632:                             ;   Parent Loop BB4_47 Depth=1
                                        ;     Parent Loop BB4_9581 Depth=2
                                        ; =>    This Inner Loop Header: Depth=3
	s_add_i32 s73, s73, 1
	s_cmpk_lg_i32 s73, 0x2710
	s_cselect_b32 s74, -1, 0
	s_and_b32 vcc_lo, exec_lo, s74
	s_cbranch_vccz .LBB4_9634
; %bb.9633:                             ;   in Loop: Header=BB4_9632 Depth=3
	s_mov_b32 s76, -1
	s_or_b32 s72, s72, exec_lo
	s_and_saveexec_b32 s75, s74
	s_cbranch_execz .LBB4_9631
	s_branch .LBB4_9635
	.p2align	6
.LBB4_9634:                             ;   in Loop: Header=BB4_9632 Depth=3
	s_trap 2
	ds_read_b64 v[8:9], v0
	s_andn2_b32 s74, s74, exec_lo
	s_mov_b32 s73, 0
	s_waitcnt lgkmcnt(0)
	flat_load_dword v8, v[8:9] glc dlc
	s_waitcnt vmcnt(0) lgkmcnt(0)
	buffer_gl1_inv
	buffer_gl0_inv
	v_cmp_eq_u32_e32 vcc_lo, 0, v8
	s_and_b32 s75, vcc_lo, exec_lo
	s_or_b32 s74, s74, s75
	s_mov_b32 s76, -1
	s_or_b32 s72, s72, exec_lo
	s_and_saveexec_b32 s75, s74
	s_cbranch_execz .LBB4_9631
.LBB4_9635:                             ;   in Loop: Header=BB4_9632 Depth=3
	s_sleep 1
	s_trap 2
	ds_read_b64 v[8:9], v0
	s_waitcnt lgkmcnt(0)
	buffer_gl0_inv
	s_andn2_b32 s72, s72, exec_lo
	v_cmp_ge_u64_e32 vcc_lo, v[8:9], v[38:39]
	s_orn2_b32 s76, vcc_lo, exec_lo
	s_branch .LBB4_9631
.LBB4_9636:                             ;   in Loop: Header=BB4_9581 Depth=2
	s_inst_prefetch 0x2
	s_or_b32 exec_lo, exec_lo, s62
	s_and_saveexec_b32 s62, s63
	s_xor_b32 s62, exec_lo, s62
	s_cbranch_execz .LBB4_9638
; %bb.9637:                             ;   in Loop: Header=BB4_9581 Depth=2
	ds_write_b32 v0, v115
	s_trap 2
.LBB4_9638:                             ;   in Loop: Header=BB4_9581 Depth=2
	s_or_b32 exec_lo, exec_lo, s61
	;;#ASMSTART
	s_wakeup
	;;#ASMEND
.LBB4_9639:                             ;   in Loop: Header=BB4_9581 Depth=2
	s_or_b32 exec_lo, exec_lo, s23
.LBB4_9640:                             ;   in Loop: Header=BB4_9581 Depth=2
	s_andn2_saveexec_b32 s17, s17
	s_cbranch_execz .LBB4_9642
; %bb.9641:                             ;   in Loop: Header=BB4_9581 Depth=2
	s_waitcnt vmcnt(0) lgkmcnt(0)
	s_waitcnt_vscnt null, 0x0
	buffer_gl1_inv
	buffer_gl0_inv
	s_barrier
.LBB4_9642:                             ;   in Loop: Header=BB4_9581 Depth=2
	s_or_b32 exec_lo, exec_lo, s17
.LBB4_9643:                             ;   in Loop: Header=BB4_9581 Depth=2
	s_or_b32 exec_lo, exec_lo, s16
	s_trap 2
	ds_read_b64 v[8:9], v0
	v_sub_nc_u32_e32 v10, v3, v17
	v_min_i32_e32 v16, v16, v10
	s_waitcnt lgkmcnt(0)
	v_cmp_eq_u64_e32 vcc_lo, 0, v[8:9]
	s_cbranch_vccnz .LBB4_9651
; %bb.9644:                             ;   in Loop: Header=BB4_9581 Depth=2
	s_trap 2
	ds_read_b64 v[10:11], v0
	s_waitcnt lgkmcnt(0)
	v_cmp_eq_u64_e32 vcc_lo, 0, v[10:11]
	s_cbranch_vccnz .LBB4_9651
; %bb.9645:                             ;   in Loop: Header=BB4_9581 Depth=2
	s_mov_b32 s16, -1
	s_and_saveexec_b32 s17, s13
	s_cbranch_execz .LBB4_9647
; %bb.9646:                             ;   in Loop: Header=BB4_9581 Depth=2
	ds_read_b32 v13, v0 offset:720
	s_waitcnt lgkmcnt(0)
	v_and_b32_e32 v13, 15, v13
	v_cmp_eq_u32_e32 vcc_lo, 0, v13
	s_orn2_b32 s16, vcc_lo, exec_lo
.LBB4_9647:                             ;   in Loop: Header=BB4_9581 Depth=2
	s_or_b32 exec_lo, exec_lo, s17
	s_and_saveexec_b32 s17, s12
	s_cbranch_execz .LBB4_9649
; %bb.9648:                             ;   in Loop: Header=BB4_9581 Depth=2
	ds_read_b32 v13, v0 offset:784
	s_waitcnt lgkmcnt(0)
	v_and_b32_e32 v13, 15, v13
	v_cmp_eq_u32_e32 vcc_lo, 0, v13
	s_and_b32 s23, s16, vcc_lo
	s_andn2_b32 s16, s16, exec_lo
	s_and_b32 s23, s23, exec_lo
	s_or_b32 s16, s16, s23
.LBB4_9649:                             ;   in Loop: Header=BB4_9581 Depth=2
	s_or_b32 exec_lo, exec_lo, s17
	v_cmp_eq_u32_e32 vcc_lo, 0, v12
	s_xor_b32 s16, s16, -1
	v_mov_b32_e32 v12, 0
	v_cndmask_b32_e64 v13, 0, 1, s16
	v_mov_b32_e32 v14, v0
	v_cndmask_b32_e32 v20, 0, v16, vcc_lo
	s_mov_b32 s16, -1
	v_cmp_ne_u32_e32 vcc_lo, 0, v13
	v_mov_b32_e32 v13, v20
	s_cbranch_vccz .LBB4_9656
; %bb.9650:                             ;   in Loop: Header=BB4_9581 Depth=2
	s_and_saveexec_b32 s17, s16
	s_cbranch_execnz .LBB4_9667
	s_branch .LBB4_9675
.LBB4_9651:                             ;   in Loop: Header=BB4_9581 Depth=2
	s_mov_b32 s16, 0
	s_and_saveexec_b32 s17, s6
	s_cbranch_execnz .LBB4_9676
.LBB4_9652:                             ;   in Loop: Header=BB4_9581 Depth=2
	s_or_b32 exec_lo, exec_lo, s17
	s_and_saveexec_b32 s17, s15
	s_xor_b32 s17, exec_lo, s17
	s_cbranch_execz .LBB4_9694
.LBB4_9653:                             ;   in Loop: Header=BB4_9581 Depth=2
	v_and_b32_e32 v8, 16, v100
	v_cmp_ne_u32_e32 vcc_lo, 0, v8
	s_and_b32 s23, vcc_lo, s16
	s_and_saveexec_b32 s16, s23
	s_cbranch_execz .LBB4_9655
; %bb.9654:                             ;   in Loop: Header=BB4_9581 Depth=2
	s_waitcnt vmcnt(0) lgkmcnt(0)
	s_waitcnt_vscnt null, 0x0
	buffer_gl1_inv
	buffer_gl0_inv
.LBB4_9655:                             ;   in Loop: Header=BB4_9581 Depth=2
	s_or_b32 exec_lo, exec_lo, s16
	s_andn2_saveexec_b32 s16, s17
	s_cbranch_execz .LBB4_9713
	s_branch .LBB4_9695
.LBB4_9656:                             ;   in Loop: Header=BB4_9581 Depth=2
	v_ashrrev_i32_e32 v12, 31, v20
	s_mov_b32 s17, exec_lo
	v_lshrrev_b32_e32 v12, 21, v12
	v_add_nc_u32_e32 v12, v20, v12
	v_ashrrev_i32_e32 v22, 11, v12
	v_sub_nc_u32_e32 v21, v22, v113
	v_cmpx_lt_i32_e32 0, v21
	s_cbranch_execz .LBB4_9660
; %bb.9657:                             ;   in Loop: Header=BB4_9581 Depth=2
	v_mov_b32_e32 v13, v11
	v_mov_b32_e32 v15, v9
	;; [unrolled: 1-line block ×4, first 2 shown]
	s_mov_b32 s23, 0
	s_inst_prefetch 0x1
	.p2align	6
.LBB4_9658:                             ;   Parent Loop BB4_47 Depth=1
                                        ;     Parent Loop BB4_9581 Depth=2
                                        ; =>    This Inner Loop Header: Depth=3
	v_add_co_u32 v70, vcc_lo, v58, v14
	v_add_co_ci_u32_e64 v71, null, 0, v15, vcc_lo
	v_sub_nc_u32_e32 v21, v21, v103
	s_clause 0x3
	global_load_dwordx4 v[66:69], v[70:71], off slc
	global_load_dwordx4 v[80:83], v[70:71], off offset:512 slc
	global_load_dwordx4 v[84:87], v[70:71], off offset:1024 slc
	;; [unrolled: 1-line block ×3, first 2 shown]
	v_add_co_u32 v70, vcc_lo, v58, v12
	v_add_co_ci_u32_e64 v71, null, 0, v13, vcc_lo
	v_add_co_u32 v14, vcc_lo, v14, v43
	v_add_co_ci_u32_e64 v15, null, 0, v15, vcc_lo
	v_add_co_u32 v12, vcc_lo, v12, v43
	v_cmp_gt_i32_e64 s16, 1, v21
	v_add_co_ci_u32_e64 v13, null, 0, v13, vcc_lo
	s_waitcnt vmcnt(3)
	global_store_dwordx4 v[70:71], v[66:69], off glc slc
	s_waitcnt vmcnt(2)
	global_store_dwordx4 v[70:71], v[80:83], off offset:512 glc slc
	s_waitcnt vmcnt(1)
	global_store_dwordx4 v[70:71], v[84:87], off offset:1024 glc slc
	s_waitcnt vmcnt(0)
	global_store_dwordx4 v[70:71], v[96:99], off offset:1536 glc slc
	s_or_b32 s23, s16, s23
	s_andn2_b32 exec_lo, exec_lo, s23
	s_cbranch_execnz .LBB4_9658
; %bb.9659:                             ;   in Loop: Header=BB4_9581 Depth=2
	s_inst_prefetch 0x2
	s_or_b32 exec_lo, exec_lo, s23
.LBB4_9660:                             ;   in Loop: Header=BB4_9581 Depth=2
	s_or_b32 exec_lo, exec_lo, s17
	v_lshlrev_b32_e32 v15, 11, v22
	v_mov_b32_e32 v12, 0
	s_mov_b32 s16, 0
	s_mov_b32 s23, exec_lo
                                        ; implicit-def: $vgpr13
                                        ; implicit-def: $vgpr14
	v_cmpx_ne_u32_e64 v20, v15
	s_cbranch_execz .LBB4_9666
; %bb.9661:                             ;   in Loop: Header=BB4_9581 Depth=2
	v_lshlrev_b32_e32 v12, 5, v21
	v_sub_nc_u32_e32 v21, v20, v15
	s_mov_b32 s61, exec_lo
	v_sub_nc_u32_e32 v12, v112, v12
	v_ashrrev_i32_e32 v14, 31, v21
	v_ashrrev_i32_e32 v13, 31, v12
	v_lshrrev_b32_e32 v14, 23, v14
	v_lshrrev_b32_e32 v13, 27, v13
	v_add_nc_u32_e32 v23, v21, v14
	v_add_nc_u32_e32 v13, v12, v13
	v_ashrrev_i32_e32 v67, 9, v23
	v_and_b32_e32 v22, 0xffffffe0, v13
	v_ashrrev_i32_e32 v66, 5, v13
	v_sub_nc_u32_e32 v14, v12, v22
	v_and_b32_e32 v12, 0xfffffe00, v23
	v_lshlrev_b32_e32 v22, 4, v14
	v_sub_nc_u32_e32 v13, v21, v12
	v_lshl_add_u32 v23, v66, 9, v22
	v_cmp_lt_i32_e32 vcc_lo, 15, v13
	v_sub_nc_u32_e32 v22, v21, v23
	v_add_co_ci_u32_e64 v67, null, 0, v67, vcc_lo
	v_sub_nc_u32_e32 v21, v67, v66
	v_cmpx_lt_i32_e32 15, v22
	s_cbranch_execz .LBB4_9665
; %bb.9662:                             ;   in Loop: Header=BB4_9581 Depth=2
	v_add_nc_u32_e32 v23, v23, v15
	s_mov_b32 s62, 0
	v_ashrrev_i32_e32 v66, 31, v23
	.p2align	6
.LBB4_9663:                             ;   Parent Loop BB4_47 Depth=1
                                        ;     Parent Loop BB4_9581 Depth=2
                                        ; =>    This Inner Loop Header: Depth=3
	v_add_co_u32 v67, s16, v8, v23
	v_add_co_ci_u32_e64 v68, null, v9, v66, s16
	v_sub_nc_u32_e32 v22, v22, v44
	v_add_co_u32 v80, s16, v10, v23
	global_load_dwordx4 v[67:70], v[67:68], off slc
	v_add_co_ci_u32_e64 v81, null, v11, v66, s16
	v_cmp_gt_i32_e64 s16, 16, v22
	v_add_co_u32 v23, s17, v23, v44
	v_sub_nc_u32_e32 v21, v21, v103
	v_add_co_ci_u32_e64 v66, null, 0, v66, s17
	s_or_b32 s62, s16, s62
	s_waitcnt vmcnt(0)
	global_store_dwordx4 v[80:81], v[67:70], off glc slc
	s_andn2_b32 exec_lo, exec_lo, s62
	s_cbranch_execnz .LBB4_9663
; %bb.9664:                             ;   in Loop: Header=BB4_9581 Depth=2
	s_or_b32 exec_lo, exec_lo, s62
.LBB4_9665:                             ;   in Loop: Header=BB4_9581 Depth=2
	s_or_b32 exec_lo, exec_lo, s61
	v_and_b32_e32 v22, 15, v20
	v_cmp_lt_i32_e64 s16, 0, v21
	v_sub_nc_u32_e32 v23, v13, v22
	v_cndmask_b32_e64 v66, 0, v103, s16
	v_cndmask_b32_e32 v13, v13, v22, vcc_lo
	v_cndmask_b32_e32 v22, 0, v23, vcc_lo
	v_sub_nc_u32_e32 v21, v66, v21
	v_cmp_ne_u32_e32 vcc_lo, 0, v13
	v_add3_u32 v12, v12, v15, v22
	v_lshl_add_u32 v14, v21, 5, v14
	s_and_b32 s16, vcc_lo, exec_lo
.LBB4_9666:                             ;   in Loop: Header=BB4_9581 Depth=2
	s_or_b32 exec_lo, exec_lo, s23
	s_and_saveexec_b32 s17, s16
	s_cbranch_execz .LBB4_9675
.LBB4_9667:                             ;   in Loop: Header=BB4_9581 Depth=2
	v_ashrrev_i32_e32 v15, 31, v14
	v_ashrrev_i32_e32 v21, 31, v13
	s_mov_b32 s16, exec_lo
	v_lshrrev_b32_e32 v15, 27, v15
	v_lshrrev_b32_e32 v21, 23, v21
	v_add_nc_u32_e32 v23, v14, v15
	v_add_nc_u32_e32 v21, v13, v21
	v_ashrrev_i32_e32 v15, 5, v23
	v_ashrrev_i32_e32 v22, 9, v21
	v_sub_nc_u32_e32 v21, v22, v15
	v_cmpx_lt_i32_e32 0, v21
	s_cbranch_execz .LBB4_9671
; %bb.9668:                             ;   in Loop: Header=BB4_9581 Depth=2
	v_and_b32_e32 v23, 0xffffffe0, v23
	v_lshlrev_b32_e32 v66, 9, v15
	s_mov_b32 s23, 0
	v_sub_nc_u32_e32 v23, v14, v23
	v_add3_u32 v23, v12, v23, v66
	v_ashrrev_i32_e32 v66, 31, v23
.LBB4_9669:                             ;   Parent Loop BB4_47 Depth=1
                                        ;     Parent Loop BB4_9581 Depth=2
                                        ; =>    This Inner Loop Header: Depth=3
	v_add_co_u32 v67, vcc_lo, v23, v8
	v_add_co_ci_u32_e64 v68, null, v66, v9, vcc_lo
	v_sub_nc_u32_e32 v21, v21, v103
	s_clause 0xf
	flat_load_ubyte v69, v[67:68] slc
	flat_load_ubyte v70, v[67:68] offset:32 slc
	flat_load_ubyte v71, v[67:68] offset:64 slc
	;; [unrolled: 1-line block ×15, first 2 shown]
	v_add_co_u32 v67, vcc_lo, v23, v10
	v_add_co_ci_u32_e64 v68, null, v66, v11, vcc_lo
	v_add_co_u32 v8, vcc_lo, v8, v44
	v_add_co_ci_u32_e64 v9, null, 0, v9, vcc_lo
	;; [unrolled: 2-line block ×3, first 2 shown]
	v_cmp_gt_i32_e32 vcc_lo, 1, v21
	s_waitcnt vmcnt(15) lgkmcnt(15)
	flat_store_byte v[67:68], v69 glc slc
	s_waitcnt vmcnt(14) lgkmcnt(15)
	flat_store_byte v[67:68], v70 offset:32 glc slc
	s_waitcnt vmcnt(13) lgkmcnt(15)
	flat_store_byte v[67:68], v71 offset:64 glc slc
	;; [unrolled: 2-line block ×15, first 2 shown]
	s_or_b32 s23, vcc_lo, s23
	s_andn2_b32 exec_lo, exec_lo, s23
	s_cbranch_execnz .LBB4_9669
; %bb.9670:                             ;   in Loop: Header=BB4_9581 Depth=2
	s_or_b32 exec_lo, exec_lo, s23
.LBB4_9671:                             ;   in Loop: Header=BB4_9581 Depth=2
	s_or_b32 exec_lo, exec_lo, s16
	v_lshlrev_b32_e32 v8, 9, v22
	v_cmp_ne_u32_e32 vcc_lo, v13, v8
	s_and_b32 exec_lo, exec_lo, vcc_lo
	s_cbranch_execz .LBB4_9675
; %bb.9672:                             ;   in Loop: Header=BB4_9581 Depth=2
	v_lshlrev_b32_e32 v9, 5, v15
	v_lshlrev_b32_e32 v10, 5, v21
	v_sub_nc_u32_e32 v9, v14, v9
	v_sub_nc_u32_e32 v9, v9, v10
	v_add_nc_u32_e32 v11, v8, v9
	v_sub_nc_u32_e32 v10, v13, v11
	v_cmp_lt_i32_e32 vcc_lo, 0, v10
	s_and_b32 exec_lo, exec_lo, vcc_lo
	s_cbranch_execz .LBB4_9675
; %bb.9673:                             ;   in Loop: Header=BB4_9581 Depth=2
	s_trap 2
	ds_read_b64 v[8:9], v0
	v_add_nc_u32_e32 v11, v11, v12
	s_mov_b32 s23, 0
	v_ashrrev_i32_e32 v12, 31, v11
	.p2align	6
.LBB4_9674:                             ;   Parent Loop BB4_47 Depth=1
                                        ;     Parent Loop BB4_9581 Depth=2
                                        ; =>    This Inner Loop Header: Depth=3
	s_waitcnt lgkmcnt(0)
	v_add_co_u32 v13, vcc_lo, v8, v11
	v_add_co_ci_u32_e64 v14, null, v9, v12, vcc_lo
	v_sub_nc_u32_e32 v10, v10, v114
	v_add_co_u32 v11, s16, v11, v114
	flat_load_ubyte v15, v[13:14] slc
	v_add_co_ci_u32_e64 v12, null, 0, v12, s16
	v_cmp_gt_i32_e32 vcc_lo, 1, v10
	s_or_b32 s23, vcc_lo, s23
	s_waitcnt vmcnt(0) lgkmcnt(0)
	flat_store_byte v[13:14], v15 glc slc
	s_andn2_b32 exec_lo, exec_lo, s23
	s_cbranch_execnz .LBB4_9674
.LBB4_9675:                             ;   in Loop: Header=BB4_9581 Depth=2
	s_or_b32 exec_lo, exec_lo, s17
	v_cmp_lt_i32_e64 s16, 0, v20
	s_and_saveexec_b32 s17, s6
	s_cbranch_execz .LBB4_9652
.LBB4_9676:                             ;   in Loop: Header=BB4_9581 Depth=2
	s_and_saveexec_b32 s23, s29
	s_xor_b32 s23, exec_lo, s23
	s_cbranch_execz .LBB4_9691
; %bb.9677:                             ;   in Loop: Header=BB4_9581 Depth=2
	s_and_saveexec_b32 s61, s11
	s_cbranch_execz .LBB4_9690
; %bb.9678:                             ;   in Loop: Header=BB4_9581 Depth=2
	s_mov_b32 s63, exec_lo
	s_mov_b32 s62, exec_lo
	v_mbcnt_lo_u32_b32 v8, s63, 0
	s_waitcnt vmcnt(0) lgkmcnt(0)
	s_waitcnt_vscnt null, 0x0
	buffer_gl1_inv
	buffer_gl0_inv
	v_cmpx_eq_u32_e32 0, v8
	s_cbranch_execz .LBB4_9680
; %bb.9679:                             ;   in Loop: Header=BB4_9581 Depth=2
	s_bcnt1_i32_b32 s63, s63
	v_mov_b32_e32 v9, v2
	v_mov_b32_e32 v8, s63
	ds_add_u64 v0, v[8:9]
	s_trap 2
.LBB4_9680:                             ;   in Loop: Header=BB4_9581 Depth=2
	s_or_b32 exec_lo, exec_lo, s62
	s_trap 2
	ds_read_b64 v[8:9], v0
	s_waitcnt lgkmcnt(0)
	buffer_gl0_inv
	v_add_co_u32 v38, vcc_lo, v38, v103
	v_add_co_ci_u32_e64 v39, null, 0, v39, vcc_lo
	s_mov_b32 s62, exec_lo
	v_cmpx_lt_u64_e64 v[8:9], v[38:39]
	s_cbranch_execz .LBB4_9689
; %bb.9681:                             ;   in Loop: Header=BB4_9581 Depth=2
	s_mov_b32 s63, 0
	s_mov_b32 s74, 0
                                        ; implicit-def: $sgpr72
                                        ; implicit-def: $sgpr73
	s_inst_prefetch 0x1
	s_branch .LBB4_9683
	.p2align	6
.LBB4_9682:                             ;   in Loop: Header=BB4_9683 Depth=3
	s_or_b32 exec_lo, exec_lo, s76
	s_and_b32 s75, exec_lo, s77
	s_or_b32 s63, s75, s63
	s_andn2_b32 s72, s72, exec_lo
	s_and_b32 s75, s73, exec_lo
	s_or_b32 s72, s72, s75
	s_andn2_b32 exec_lo, exec_lo, s63
	s_cbranch_execz .LBB4_9687
.LBB4_9683:                             ;   Parent Loop BB4_47 Depth=1
                                        ;     Parent Loop BB4_9581 Depth=2
                                        ; =>    This Inner Loop Header: Depth=3
	s_add_i32 s74, s74, 1
	s_cmpk_lg_i32 s74, 0x2710
	s_cselect_b32 s75, -1, 0
	s_and_b32 vcc_lo, exec_lo, s75
	s_cbranch_vccz .LBB4_9685
; %bb.9684:                             ;   in Loop: Header=BB4_9683 Depth=3
	s_mov_b32 s77, -1
	s_or_b32 s73, s73, exec_lo
	s_and_saveexec_b32 s76, s75
	s_cbranch_execz .LBB4_9682
	s_branch .LBB4_9686
	.p2align	6
.LBB4_9685:                             ;   in Loop: Header=BB4_9683 Depth=3
	s_trap 2
	ds_read_b64 v[8:9], v0
	s_andn2_b32 s75, s75, exec_lo
	s_mov_b32 s74, 0
	s_waitcnt lgkmcnt(0)
	flat_load_dword v8, v[8:9] glc dlc
	s_waitcnt vmcnt(0) lgkmcnt(0)
	buffer_gl1_inv
	buffer_gl0_inv
	v_cmp_eq_u32_e32 vcc_lo, 0, v8
	s_and_b32 s76, vcc_lo, exec_lo
	s_or_b32 s75, s75, s76
	s_mov_b32 s77, -1
	s_or_b32 s73, s73, exec_lo
	s_and_saveexec_b32 s76, s75
	s_cbranch_execz .LBB4_9682
.LBB4_9686:                             ;   in Loop: Header=BB4_9683 Depth=3
	s_sleep 1
	s_trap 2
	ds_read_b64 v[8:9], v0
	s_waitcnt lgkmcnt(0)
	buffer_gl0_inv
	s_andn2_b32 s73, s73, exec_lo
	v_cmp_ge_u64_e32 vcc_lo, v[8:9], v[38:39]
	s_orn2_b32 s77, vcc_lo, exec_lo
	s_branch .LBB4_9682
.LBB4_9687:                             ;   in Loop: Header=BB4_9581 Depth=2
	s_inst_prefetch 0x2
	s_or_b32 exec_lo, exec_lo, s63
	s_and_saveexec_b32 s63, s72
	s_xor_b32 s63, exec_lo, s63
	s_cbranch_execz .LBB4_9689
; %bb.9688:                             ;   in Loop: Header=BB4_9581 Depth=2
	ds_write_b32 v0, v115
	s_trap 2
.LBB4_9689:                             ;   in Loop: Header=BB4_9581 Depth=2
	s_or_b32 exec_lo, exec_lo, s62
	;;#ASMSTART
	s_wakeup
	;;#ASMEND
.LBB4_9690:                             ;   in Loop: Header=BB4_9581 Depth=2
	s_or_b32 exec_lo, exec_lo, s61
.LBB4_9691:                             ;   in Loop: Header=BB4_9581 Depth=2
	s_andn2_saveexec_b32 s23, s23
	s_cbranch_execz .LBB4_9693
; %bb.9692:                             ;   in Loop: Header=BB4_9581 Depth=2
	s_waitcnt vmcnt(0) lgkmcnt(0)
	s_waitcnt_vscnt null, 0x0
	buffer_gl1_inv
	buffer_gl0_inv
	s_barrier
.LBB4_9693:                             ;   in Loop: Header=BB4_9581 Depth=2
	s_or_b32 exec_lo, exec_lo, s23
	s_or_b32 exec_lo, exec_lo, s17
	s_and_saveexec_b32 s17, s15
	s_xor_b32 s17, exec_lo, s17
	s_cbranch_execnz .LBB4_9653
.LBB4_9694:                             ;   in Loop: Header=BB4_9581 Depth=2
	s_andn2_saveexec_b32 s16, s17
	s_cbranch_execz .LBB4_9713
.LBB4_9695:                             ;   in Loop: Header=BB4_9581 Depth=2
	s_and_saveexec_b32 s17, s29
	s_xor_b32 s17, exec_lo, s17
	s_cbranch_execz .LBB4_9710
; %bb.9696:                             ;   in Loop: Header=BB4_9581 Depth=2
	s_and_saveexec_b32 s23, s11
	s_cbranch_execz .LBB4_9709
; %bb.9697:                             ;   in Loop: Header=BB4_9581 Depth=2
	s_mov_b32 s62, exec_lo
	s_mov_b32 s61, exec_lo
	v_mbcnt_lo_u32_b32 v8, s62, 0
	;;#ASMSTART
	s_waitcnt lgkmcnt(0) vmcnt(0)
	;;#ASMEND
	v_cmpx_eq_u32_e32 0, v8
	s_cbranch_execz .LBB4_9699
; %bb.9698:                             ;   in Loop: Header=BB4_9581 Depth=2
	s_bcnt1_i32_b32 s62, s62
	v_mov_b32_e32 v9, v2
	v_mov_b32_e32 v8, s62
	s_waitcnt vmcnt(0) lgkmcnt(0)
	s_waitcnt_vscnt null, 0x0
	ds_add_u64 v0, v[8:9]
	s_trap 2
.LBB4_9699:                             ;   in Loop: Header=BB4_9581 Depth=2
	s_or_b32 exec_lo, exec_lo, s61
	s_trap 2
	ds_read_b64 v[8:9], v0
	s_waitcnt vmcnt(0) lgkmcnt(0)
	buffer_gl0_inv
	v_add_co_u32 v38, vcc_lo, v38, v103
	v_add_co_ci_u32_e64 v39, null, 0, v39, vcc_lo
	s_mov_b32 s61, exec_lo
	v_cmpx_lt_u64_e64 v[8:9], v[38:39]
	s_cbranch_execz .LBB4_9708
; %bb.9700:                             ;   in Loop: Header=BB4_9581 Depth=2
	s_mov_b32 s62, 0
	s_mov_b32 s73, 0
                                        ; implicit-def: $sgpr63
                                        ; implicit-def: $sgpr72
	s_inst_prefetch 0x1
	s_branch .LBB4_9702
	.p2align	6
.LBB4_9701:                             ;   in Loop: Header=BB4_9702 Depth=3
	s_or_b32 exec_lo, exec_lo, s75
	s_and_b32 s74, exec_lo, s76
	s_or_b32 s62, s74, s62
	s_andn2_b32 s63, s63, exec_lo
	s_and_b32 s74, s72, exec_lo
	s_or_b32 s63, s63, s74
	s_andn2_b32 exec_lo, exec_lo, s62
	s_cbranch_execz .LBB4_9706
.LBB4_9702:                             ;   Parent Loop BB4_47 Depth=1
                                        ;     Parent Loop BB4_9581 Depth=2
                                        ; =>    This Inner Loop Header: Depth=3
	s_add_i32 s73, s73, 1
	s_cmpk_lg_i32 s73, 0x2710
	s_cselect_b32 s74, -1, 0
	s_and_b32 vcc_lo, exec_lo, s74
	s_cbranch_vccz .LBB4_9704
; %bb.9703:                             ;   in Loop: Header=BB4_9702 Depth=3
	s_mov_b32 s76, -1
	s_or_b32 s72, s72, exec_lo
	s_and_saveexec_b32 s75, s74
	s_cbranch_execz .LBB4_9701
	s_branch .LBB4_9705
	.p2align	6
.LBB4_9704:                             ;   in Loop: Header=BB4_9702 Depth=3
	s_trap 2
	ds_read_b64 v[8:9], v0
	s_andn2_b32 s74, s74, exec_lo
	s_mov_b32 s73, 0
	s_waitcnt lgkmcnt(0)
	s_waitcnt_vscnt null, 0x0
	flat_load_dword v8, v[8:9] glc dlc
	s_waitcnt vmcnt(0) lgkmcnt(0)
	buffer_gl1_inv
	buffer_gl0_inv
	v_cmp_eq_u32_e32 vcc_lo, 0, v8
	s_and_b32 s75, vcc_lo, exec_lo
	s_or_b32 s74, s74, s75
	s_mov_b32 s76, -1
	s_or_b32 s72, s72, exec_lo
	s_and_saveexec_b32 s75, s74
	s_cbranch_execz .LBB4_9701
.LBB4_9705:                             ;   in Loop: Header=BB4_9702 Depth=3
	s_sleep 1
	s_trap 2
	ds_read_b64 v[8:9], v0
	s_waitcnt lgkmcnt(0)
	buffer_gl0_inv
	s_andn2_b32 s72, s72, exec_lo
	v_cmp_ge_u64_e32 vcc_lo, v[8:9], v[38:39]
	s_orn2_b32 s76, vcc_lo, exec_lo
	s_branch .LBB4_9701
.LBB4_9706:                             ;   in Loop: Header=BB4_9581 Depth=2
	s_inst_prefetch 0x2
	s_or_b32 exec_lo, exec_lo, s62
	s_and_saveexec_b32 s62, s63
	s_xor_b32 s62, exec_lo, s62
	s_cbranch_execz .LBB4_9708
; %bb.9707:                             ;   in Loop: Header=BB4_9581 Depth=2
	ds_write_b32 v0, v115
	s_trap 2
.LBB4_9708:                             ;   in Loop: Header=BB4_9581 Depth=2
	s_or_b32 exec_lo, exec_lo, s61
	;;#ASMSTART
	s_wakeup
	;;#ASMEND
.LBB4_9709:                             ;   in Loop: Header=BB4_9581 Depth=2
	s_or_b32 exec_lo, exec_lo, s23
.LBB4_9710:                             ;   in Loop: Header=BB4_9581 Depth=2
	s_andn2_saveexec_b32 s17, s17
	s_cbranch_execz .LBB4_9712
; %bb.9711:                             ;   in Loop: Header=BB4_9581 Depth=2
	;;#ASMSTART
	s_waitcnt lgkmcnt(0) vmcnt(0)
	;;#ASMEND
	s_barrier
.LBB4_9712:                             ;   in Loop: Header=BB4_9581 Depth=2
	s_or_b32 exec_lo, exec_lo, s17
.LBB4_9713:                             ;   in Loop: Header=BB4_9581 Depth=2
	s_or_b32 exec_lo, exec_lo, s16
	v_and_b32_e32 v8, 32, v100
	s_mov_b32 s16, exec_lo
	v_cmpx_ne_u32_e32 0, v8
	s_cbranch_execz .LBB4_9580
; %bb.9714:                             ;   in Loop: Header=BB4_9581 Depth=2
	v_add_co_u32 v64, vcc_lo, v64, 2
	v_add_co_ci_u32_e64 v65, null, 0, v65, vcc_lo
	s_waitcnt vmcnt(0) lgkmcnt(0)
	s_waitcnt_vscnt null, 0x0
	flat_store_dwordx2 v[32:33], v[64:65]
	s_branch .LBB4_9580
.LBB4_9715:                             ;   in Loop: Header=BB4_47 Depth=1
	s_or_b32 exec_lo, exec_lo, s19
.LBB4_9716:                             ;   in Loop: Header=BB4_47 Depth=1
	s_or_b32 exec_lo, exec_lo, s18
	s_mov_b32 s17, exec_lo
	v_cmpx_gt_i32_e32 2, v10
	s_cbranch_execnz .LBB4_9717
; %bb.9849:                             ;   in Loop: Header=BB4_47 Depth=1
	s_getpc_b64 s[34:35]
.Lpost_getpc18:
	s_add_u32 s34, s34, (.LBB4_46-.Lpost_getpc18)&4294967295
	s_addc_u32 s35, s35, (.LBB4_46-.Lpost_getpc18)>>32
	s_setpc_b64 s[34:35]
.LBB4_9717:                             ;   in Loop: Header=BB4_47 Depth=1
	v_cmp_eq_u32_e64 s19, 0, v10
	s_mov_b32 s18, 0
	s_branch .LBB4_9719
.LBB4_9718:                             ;   in Loop: Header=BB4_9719 Depth=2
	s_or_b32 exec_lo, exec_lo, s16
	v_add_nc_u32_e32 v17, v16, v17
	s_mov_b32 s19, 0
	s_andn2_b32 exec_lo, exec_lo, s18
	s_cbranch_execnz .LBB4_9719
; %bb.9851:                             ;   in Loop: Header=BB4_47 Depth=1
	s_getpc_b64 s[34:35]
.Lpost_getpc19:
	s_add_u32 s34, s34, (.LBB4_45-.Lpost_getpc19)&4294967295
	s_addc_u32 s35, s35, (.LBB4_45-.Lpost_getpc19)>>32
	s_setpc_b64 s[34:35]
.LBB4_9719:                             ;   Parent Loop BB4_47 Depth=1
                                        ; =>  This Loop Header: Depth=2
                                        ;       Child Loop BB4_9725 Depth 3
                                        ;       Child Loop BB4_9749 Depth 3
	;; [unrolled: 1-line block ×3, first 2 shown]
	v_and_b32_e32 v8, 4, v100
	s_mov_b32 s21, exec_lo
	v_cmpx_ne_u32_e32 0, v8
	s_cbranch_execz .LBB4_9741
; %bb.9720:                             ;   in Loop: Header=BB4_9719 Depth=2
	v_add_co_u32 v8, vcc_lo, v64, 2
	v_add_co_ci_u32_e64 v9, null, 0, v65, vcc_lo
	s_mov_b32 s22, exec_lo
	s_waitcnt vmcnt(0) lgkmcnt(1)
	v_cmpx_lt_u64_e64 v[48:49], v[8:9]
	s_cbranch_execz .LBB4_9732
; %bb.9721:                             ;   in Loop: Header=BB4_9719 Depth=2
	v_and_b32_e32 v10, 64, v100
	s_mov_b32 s23, 0
	s_mov_b32 s72, 0
                                        ; implicit-def: $sgpr61
                                        ; implicit-def: $sgpr62
                                        ; implicit-def: $sgpr63
	v_cmp_eq_u32_e32 vcc_lo, 0, v10
	s_branch .LBB4_9725
.LBB4_9722:                             ;   in Loop: Header=BB4_9725 Depth=3
	s_waitcnt vmcnt(0) lgkmcnt(0)
	v_cmp_ge_u64_e64 s16, v[48:49], v[8:9]
	s_or_b32 s75, s75, exec_lo
	s_orn2_b32 s74, s16, exec_lo
.LBB4_9723:                             ;   in Loop: Header=BB4_9725 Depth=3
	s_or_b32 exec_lo, exec_lo, s77
	s_andn2_b32 s16, s63, exec_lo
	s_and_b32 s63, s75, exec_lo
	s_andn2_b32 s62, s62, exec_lo
	s_and_b32 s74, s74, exec_lo
	s_or_b32 s63, s16, s63
	s_or_b32 s62, s62, s74
.LBB4_9724:                             ;   in Loop: Header=BB4_9725 Depth=3
	s_or_b32 exec_lo, exec_lo, s73
	s_and_b32 s16, exec_lo, s62
	s_or_b32 s23, s16, s23
	s_andn2_b32 s16, s61, exec_lo
	s_and_b32 s61, s63, exec_lo
	s_or_b32 s61, s16, s61
	s_andn2_b32 exec_lo, exec_lo, s23
	s_cbranch_execz .LBB4_9729
.LBB4_9725:                             ;   Parent Loop BB4_47 Depth=1
                                        ;     Parent Loop BB4_9719 Depth=2
                                        ; =>    This Inner Loop Header: Depth=3
	s_sleep 1
	s_waitcnt vmcnt(0) lgkmcnt(0)
	flat_load_dwordx2 v[48:49], v[32:33] glc dlc
	s_or_b32 s63, s63, exec_lo
	s_or_b32 s62, s62, exec_lo
                                        ; implicit-def: $vgpr10
	s_and_saveexec_b32 s73, vcc_lo
	s_cbranch_execz .LBB4_9724
; %bb.9726:                             ;   in Loop: Header=BB4_9725 Depth=3
	s_cmpk_lt_i32 s72, 0x270f
	s_mov_b32 s74, -1
	s_cselect_b32 s76, -1, 0
	s_cmpk_gt_i32 s72, 0x270e
	s_cbranch_scc0 .LBB4_9728
; %bb.9727:                             ;   in Loop: Header=BB4_9725 Depth=3
	s_trap 2
	ds_read_b64 v[10:11], v0
	s_andn2_b32 s72, s76, exec_lo
	s_mov_b32 s75, 0
	s_waitcnt vmcnt(0) lgkmcnt(0)
	s_waitcnt_vscnt null, 0x0
	flat_load_dword v10, v[10:11] glc dlc
	s_waitcnt vmcnt(0) lgkmcnt(0)
	buffer_gl1_inv
	buffer_gl0_inv
	v_cmp_eq_u32_e64 s16, 0, v10
	s_and_b32 s16, s16, exec_lo
	s_or_b32 s76, s72, s16
	s_mov_b32 s72, 0
	s_and_saveexec_b32 s77, s76
	s_cbranch_execz .LBB4_9723
	s_branch .LBB4_9722
.LBB4_9728:                             ;   in Loop: Header=BB4_9725 Depth=3
	s_add_i32 s72, s72, 1
	s_mov_b32 s75, -1
                                        ; implicit-def: $vgpr10
	s_and_saveexec_b32 s77, s76
	s_cbranch_execz .LBB4_9723
	s_branch .LBB4_9722
.LBB4_9729:                             ;   in Loop: Header=BB4_9719 Depth=2
	s_or_b32 exec_lo, exec_lo, s23
	s_xor_b32 s16, s61, -1
	s_and_saveexec_b32 s23, s16
	s_xor_b32 s16, exec_lo, s23
	s_cbranch_execz .LBB4_9731
; %bb.9730:                             ;   in Loop: Header=BB4_9719 Depth=2
	v_or_b32_e32 v100, 64, v100
	s_waitcnt vmcnt(0) lgkmcnt(0)
	s_waitcnt_vscnt null, 0x0
	ds_write_b32 v0, v10
	s_trap 2
.LBB4_9731:                             ;   in Loop: Header=BB4_9719 Depth=2
	s_or_b32 exec_lo, exec_lo, s16
.LBB4_9732:                             ;   in Loop: Header=BB4_9719 Depth=2
	s_or_b32 exec_lo, exec_lo, s22
	v_and_b32_e32 v10, 0x100, v100
	v_and_b32_e32 v14, 7, v64
	s_mov_b32 s16, -1
	;;#ASMSTART
	s_wakeup
	;;#ASMEND
	v_cmp_ne_u32_e32 vcc_lo, 0, v10
                                        ; implicit-def: $vgpr10_vgpr11
	s_and_saveexec_b32 s22, vcc_lo
	s_cbranch_execz .LBB4_9736
; %bb.9733:                             ;   in Loop: Header=BB4_9719 Depth=2
	v_mad_u64_u32 v[12:13], null, v14, 24, v[6:7]
	flat_load_dword v10, v[12:13]
	s_waitcnt vmcnt(0) lgkmcnt(0)
	v_cmp_eq_u32_e64 s16, 1, v10
	v_cmp_ne_u32_e32 vcc_lo, 1, v10
                                        ; implicit-def: $vgpr10_vgpr11
	s_and_saveexec_b32 s23, s16
	s_cbranch_execz .LBB4_9735
; %bb.9734:                             ;   in Loop: Header=BB4_9719 Depth=2
	flat_load_dword v10, v[12:13] offset:4 glc dlc
	s_waitcnt vmcnt(0) lgkmcnt(0)
	v_ashrrev_i32_e32 v11, 31, v10
.LBB4_9735:                             ;   in Loop: Header=BB4_9719 Depth=2
	s_or_b32 exec_lo, exec_lo, s23
	s_orn2_b32 s16, vcc_lo, exec_lo
.LBB4_9736:                             ;   in Loop: Header=BB4_9719 Depth=2
	s_or_b32 exec_lo, exec_lo, s22
	s_and_saveexec_b32 s22, s16
; %bb.9737:                             ;   in Loop: Header=BB4_9719 Depth=2
	v_mad_i64_i32 v[10:11], null, v14, v101, 0
; %bb.9738:                             ;   in Loop: Header=BB4_9719 Depth=2
	s_or_b32 exec_lo, exec_lo, s22
	v_add_co_u32 v10, vcc_lo, v34, v10
	v_and_b32_e32 v12, 0x2000, v100
	v_add_co_ci_u32_e64 v11, null, v35, v11, vcc_lo
	s_mov_b32 s16, exec_lo
	ds_write_b64 v0, v[10:11] offset:720
	v_cmpx_ne_u32_e32 0, v12
	s_cbranch_execz .LBB4_9740
; %bb.9739:                             ;   in Loop: Header=BB4_9719 Depth=2
	ds_read_b64 v[10:11], v0 offset:872
	s_waitcnt lgkmcnt(0)
	v_add_co_u32 v10, vcc_lo, v10, 1
	v_add_co_ci_u32_e64 v11, null, 0, v11, vcc_lo
	ds_write_b64 v0, v[10:11] offset:872
.LBB4_9740:                             ;   in Loop: Header=BB4_9719 Depth=2
	s_or_b32 exec_lo, exec_lo, s16
	v_mov_b32_e32 v65, v9
	v_mov_b32_e32 v64, v8
.LBB4_9741:                             ;   in Loop: Header=BB4_9719 Depth=2
	s_or_b32 exec_lo, exec_lo, s21
	s_xor_b32 s16, s19, -1
	s_and_b32 s16, exec_lo, s16
	s_or_b32 s18, s16, s18
	s_and_saveexec_b32 s16, s6
	s_cbranch_execz .LBB4_9760
; %bb.9742:                             ;   in Loop: Header=BB4_9719 Depth=2
	s_and_saveexec_b32 s19, s29
	s_xor_b32 s19, exec_lo, s19
	s_cbranch_execz .LBB4_9757
; %bb.9743:                             ;   in Loop: Header=BB4_9719 Depth=2
	s_and_saveexec_b32 s21, s11
	s_cbranch_execz .LBB4_9756
; %bb.9744:                             ;   in Loop: Header=BB4_9719 Depth=2
	s_mov_b32 s23, exec_lo
	s_mov_b32 s22, exec_lo
	v_mbcnt_lo_u32_b32 v8, s23, 0
	s_waitcnt vmcnt(0) lgkmcnt(0)
	s_waitcnt_vscnt null, 0x0
	buffer_gl1_inv
	buffer_gl0_inv
	v_cmpx_eq_u32_e32 0, v8
	s_cbranch_execz .LBB4_9746
; %bb.9745:                             ;   in Loop: Header=BB4_9719 Depth=2
	s_bcnt1_i32_b32 s23, s23
	v_mov_b32_e32 v9, v2
	v_mov_b32_e32 v8, s23
	ds_add_u64 v0, v[8:9]
	s_trap 2
.LBB4_9746:                             ;   in Loop: Header=BB4_9719 Depth=2
	s_or_b32 exec_lo, exec_lo, s22
	s_trap 2
	ds_read_b64 v[8:9], v0
	s_waitcnt lgkmcnt(0)
	buffer_gl0_inv
	v_add_co_u32 v38, vcc_lo, v38, v103
	v_add_co_ci_u32_e64 v39, null, 0, v39, vcc_lo
	s_mov_b32 s22, exec_lo
	v_cmpx_lt_u64_e64 v[8:9], v[38:39]
	s_cbranch_execz .LBB4_9755
; %bb.9747:                             ;   in Loop: Header=BB4_9719 Depth=2
	s_mov_b32 s23, 0
	s_mov_b32 s63, 0
                                        ; implicit-def: $sgpr61
                                        ; implicit-def: $sgpr62
	s_inst_prefetch 0x1
	s_branch .LBB4_9749
	.p2align	6
.LBB4_9748:                             ;   in Loop: Header=BB4_9749 Depth=3
	s_or_b32 exec_lo, exec_lo, s73
	s_and_b32 s72, exec_lo, s74
	s_or_b32 s23, s72, s23
	s_andn2_b32 s61, s61, exec_lo
	s_and_b32 s72, s62, exec_lo
	s_or_b32 s61, s61, s72
	s_andn2_b32 exec_lo, exec_lo, s23
	s_cbranch_execz .LBB4_9753
.LBB4_9749:                             ;   Parent Loop BB4_47 Depth=1
                                        ;     Parent Loop BB4_9719 Depth=2
                                        ; =>    This Inner Loop Header: Depth=3
	s_add_i32 s63, s63, 1
	s_cmpk_lg_i32 s63, 0x2710
	s_cselect_b32 s72, -1, 0
	s_and_b32 vcc_lo, exec_lo, s72
	s_cbranch_vccz .LBB4_9751
; %bb.9750:                             ;   in Loop: Header=BB4_9749 Depth=3
	s_mov_b32 s74, -1
	s_or_b32 s62, s62, exec_lo
	s_and_saveexec_b32 s73, s72
	s_cbranch_execz .LBB4_9748
	s_branch .LBB4_9752
	.p2align	6
.LBB4_9751:                             ;   in Loop: Header=BB4_9749 Depth=3
	s_trap 2
	ds_read_b64 v[8:9], v0
	s_andn2_b32 s72, s72, exec_lo
	s_mov_b32 s63, 0
	s_waitcnt lgkmcnt(0)
	flat_load_dword v8, v[8:9] glc dlc
	s_waitcnt vmcnt(0) lgkmcnt(0)
	buffer_gl1_inv
	buffer_gl0_inv
	v_cmp_eq_u32_e32 vcc_lo, 0, v8
	s_and_b32 s73, vcc_lo, exec_lo
	s_or_b32 s72, s72, s73
	s_mov_b32 s74, -1
	s_or_b32 s62, s62, exec_lo
	s_and_saveexec_b32 s73, s72
	s_cbranch_execz .LBB4_9748
.LBB4_9752:                             ;   in Loop: Header=BB4_9749 Depth=3
	s_sleep 1
	s_trap 2
	ds_read_b64 v[8:9], v0
	s_waitcnt lgkmcnt(0)
	buffer_gl0_inv
	s_andn2_b32 s62, s62, exec_lo
	v_cmp_ge_u64_e32 vcc_lo, v[8:9], v[38:39]
	s_orn2_b32 s74, vcc_lo, exec_lo
	s_branch .LBB4_9748
.LBB4_9753:                             ;   in Loop: Header=BB4_9719 Depth=2
	s_inst_prefetch 0x2
	s_or_b32 exec_lo, exec_lo, s23
	s_and_saveexec_b32 s23, s61
	s_xor_b32 s23, exec_lo, s23
	s_cbranch_execz .LBB4_9755
; %bb.9754:                             ;   in Loop: Header=BB4_9719 Depth=2
	ds_write_b32 v0, v115
	s_trap 2
.LBB4_9755:                             ;   in Loop: Header=BB4_9719 Depth=2
	s_or_b32 exec_lo, exec_lo, s22
	;;#ASMSTART
	s_wakeup
	;;#ASMEND
.LBB4_9756:                             ;   in Loop: Header=BB4_9719 Depth=2
	s_or_b32 exec_lo, exec_lo, s21
.LBB4_9757:                             ;   in Loop: Header=BB4_9719 Depth=2
	s_andn2_saveexec_b32 s19, s19
	s_cbranch_execz .LBB4_9759
; %bb.9758:                             ;   in Loop: Header=BB4_9719 Depth=2
	s_waitcnt vmcnt(0) lgkmcnt(0)
	s_waitcnt_vscnt null, 0x0
	buffer_gl1_inv
	buffer_gl0_inv
	s_barrier
.LBB4_9759:                             ;   in Loop: Header=BB4_9719 Depth=2
	s_or_b32 exec_lo, exec_lo, s19
.LBB4_9760:                             ;   in Loop: Header=BB4_9719 Depth=2
	s_or_b32 exec_lo, exec_lo, s16
	v_sub_nc_u32_e32 v8, v3, v17
	v_min_i32_e32 v16, v16, v8
	s_and_saveexec_b32 s16, s15
	s_xor_b32 s19, exec_lo, s16
	s_cbranch_execz .LBB4_9764
; %bb.9761:                             ;   in Loop: Header=BB4_9719 Depth=2
	s_trap 2
	ds_read_b32 v8, v0
	v_cmp_lt_i32_e32 vcc_lo, 0, v16
	s_waitcnt lgkmcnt(0)
	v_readfirstlane_b32 s16, v8
	v_and_b32_e32 v8, 16, v100
	s_cmp_eq_u32 s16, 0
	v_cmp_ne_u32_e64 s16, 0, v8
	s_cselect_b32 s21, -1, 0
	s_and_b32 s21, vcc_lo, s21
	s_and_b32 s21, s16, s21
	s_and_saveexec_b32 s16, s21
	s_cbranch_execz .LBB4_9763
; %bb.9762:                             ;   in Loop: Header=BB4_9719 Depth=2
	s_waitcnt vmcnt(0)
	s_waitcnt_vscnt null, 0x0
	buffer_gl1_inv
	buffer_gl0_inv
.LBB4_9763:                             ;   in Loop: Header=BB4_9719 Depth=2
	s_or_b32 exec_lo, exec_lo, s16
.LBB4_9764:                             ;   in Loop: Header=BB4_9719 Depth=2
	s_andn2_saveexec_b32 s16, s19
	s_cbranch_execz .LBB4_9783
; %bb.9765:                             ;   in Loop: Header=BB4_9719 Depth=2
	s_and_saveexec_b32 s19, s29
	s_xor_b32 s19, exec_lo, s19
	s_cbranch_execz .LBB4_9780
; %bb.9766:                             ;   in Loop: Header=BB4_9719 Depth=2
	s_and_saveexec_b32 s21, s11
	s_cbranch_execz .LBB4_9779
; %bb.9767:                             ;   in Loop: Header=BB4_9719 Depth=2
	s_mov_b32 s23, exec_lo
	s_mov_b32 s22, exec_lo
	v_mbcnt_lo_u32_b32 v8, s23, 0
	;;#ASMSTART
	s_waitcnt lgkmcnt(0) vmcnt(0)
	;;#ASMEND
	v_cmpx_eq_u32_e32 0, v8
	s_cbranch_execz .LBB4_9769
; %bb.9768:                             ;   in Loop: Header=BB4_9719 Depth=2
	s_bcnt1_i32_b32 s23, s23
	v_mov_b32_e32 v9, v2
	v_mov_b32_e32 v8, s23
	s_waitcnt vmcnt(0) lgkmcnt(0)
	s_waitcnt_vscnt null, 0x0
	ds_add_u64 v0, v[8:9]
	s_trap 2
.LBB4_9769:                             ;   in Loop: Header=BB4_9719 Depth=2
	s_or_b32 exec_lo, exec_lo, s22
	s_trap 2
	ds_read_b64 v[8:9], v0
	s_waitcnt vmcnt(0) lgkmcnt(0)
	buffer_gl0_inv
	v_add_co_u32 v38, vcc_lo, v38, v103
	v_add_co_ci_u32_e64 v39, null, 0, v39, vcc_lo
	s_mov_b32 s22, exec_lo
	v_cmpx_lt_u64_e64 v[8:9], v[38:39]
	s_cbranch_execz .LBB4_9778
; %bb.9770:                             ;   in Loop: Header=BB4_9719 Depth=2
	s_mov_b32 s23, 0
	s_mov_b32 s63, 0
                                        ; implicit-def: $sgpr61
                                        ; implicit-def: $sgpr62
	s_inst_prefetch 0x1
	s_branch .LBB4_9772
	.p2align	6
.LBB4_9771:                             ;   in Loop: Header=BB4_9772 Depth=3
	s_or_b32 exec_lo, exec_lo, s73
	s_and_b32 s72, exec_lo, s74
	s_or_b32 s23, s72, s23
	s_andn2_b32 s61, s61, exec_lo
	s_and_b32 s72, s62, exec_lo
	s_or_b32 s61, s61, s72
	s_andn2_b32 exec_lo, exec_lo, s23
	s_cbranch_execz .LBB4_9776
.LBB4_9772:                             ;   Parent Loop BB4_47 Depth=1
                                        ;     Parent Loop BB4_9719 Depth=2
                                        ; =>    This Inner Loop Header: Depth=3
	s_add_i32 s63, s63, 1
	s_cmpk_lg_i32 s63, 0x2710
	s_cselect_b32 s72, -1, 0
	s_and_b32 vcc_lo, exec_lo, s72
	s_cbranch_vccz .LBB4_9774
; %bb.9773:                             ;   in Loop: Header=BB4_9772 Depth=3
	s_mov_b32 s74, -1
	s_or_b32 s62, s62, exec_lo
	s_and_saveexec_b32 s73, s72
	s_cbranch_execz .LBB4_9771
	s_branch .LBB4_9775
	.p2align	6
.LBB4_9774:                             ;   in Loop: Header=BB4_9772 Depth=3
	s_trap 2
	ds_read_b64 v[8:9], v0
	s_andn2_b32 s72, s72, exec_lo
	s_mov_b32 s63, 0
	s_waitcnt lgkmcnt(0)
	s_waitcnt_vscnt null, 0x0
	flat_load_dword v8, v[8:9] glc dlc
	s_waitcnt vmcnt(0) lgkmcnt(0)
	buffer_gl1_inv
	buffer_gl0_inv
	v_cmp_eq_u32_e32 vcc_lo, 0, v8
	s_and_b32 s73, vcc_lo, exec_lo
	s_or_b32 s72, s72, s73
	s_mov_b32 s74, -1
	s_or_b32 s62, s62, exec_lo
	s_and_saveexec_b32 s73, s72
	s_cbranch_execz .LBB4_9771
.LBB4_9775:                             ;   in Loop: Header=BB4_9772 Depth=3
	s_sleep 1
	s_trap 2
	ds_read_b64 v[8:9], v0
	s_waitcnt lgkmcnt(0)
	buffer_gl0_inv
	s_andn2_b32 s62, s62, exec_lo
	v_cmp_ge_u64_e32 vcc_lo, v[8:9], v[38:39]
	s_orn2_b32 s74, vcc_lo, exec_lo
	s_branch .LBB4_9771
.LBB4_9776:                             ;   in Loop: Header=BB4_9719 Depth=2
	s_inst_prefetch 0x2
	s_or_b32 exec_lo, exec_lo, s23
	s_and_saveexec_b32 s23, s61
	s_xor_b32 s23, exec_lo, s23
	s_cbranch_execz .LBB4_9778
; %bb.9777:                             ;   in Loop: Header=BB4_9719 Depth=2
	ds_write_b32 v0, v115
	s_trap 2
.LBB4_9778:                             ;   in Loop: Header=BB4_9719 Depth=2
	s_or_b32 exec_lo, exec_lo, s22
	;;#ASMSTART
	s_wakeup
	;;#ASMEND
.LBB4_9779:                             ;   in Loop: Header=BB4_9719 Depth=2
	s_or_b32 exec_lo, exec_lo, s21
.LBB4_9780:                             ;   in Loop: Header=BB4_9719 Depth=2
	s_andn2_saveexec_b32 s19, s19
	s_cbranch_execz .LBB4_9782
; %bb.9781:                             ;   in Loop: Header=BB4_9719 Depth=2
	;;#ASMSTART
	s_waitcnt lgkmcnt(0) vmcnt(0)
	;;#ASMEND
	s_barrier
.LBB4_9782:                             ;   in Loop: Header=BB4_9719 Depth=2
	s_or_b32 exec_lo, exec_lo, s19
.LBB4_9783:                             ;   in Loop: Header=BB4_9719 Depth=2
	s_or_b32 exec_lo, exec_lo, s16
	v_and_b32_e32 v8, 32, v100
	s_mov_b32 s16, exec_lo
	v_cmpx_ne_u32_e32 0, v8
	s_cbranch_execz .LBB4_9718
; %bb.9784:                             ;   in Loop: Header=BB4_9719 Depth=2
	v_add_co_u32 v64, vcc_lo, v64, 2
	v_add_co_ci_u32_e64 v65, null, 0, v65, vcc_lo
	s_waitcnt vmcnt(0) lgkmcnt(0)
	s_waitcnt_vscnt null, 0x0
	flat_store_dwordx2 v[32:33], v[64:65]
	s_branch .LBB4_9718
.LBB4_9785:
	s_or_b32 exec_lo, exec_lo, s27
.LBB4_9786:
	s_or_b32 exec_lo, exec_lo, s26
	v_and_b32_e32 v0, 0x800, v100
	s_mov_b32 s5, exec_lo
	v_cmpx_eq_u32_e32 0, v0
	s_cbranch_execz .LBB4_9819
; %bb.9787:
	v_and_b32_e32 v0, 48, v100
	s_mov_b32 s4, exec_lo
	v_cmpx_ne_u32_e32 0, v0
	s_cbranch_execz .LBB4_9789
; %bb.9788:
	flat_store_dwordx2 v[28:29], v[64:65] offset:104
.LBB4_9789:
	s_or_b32 exec_lo, exec_lo, s4
	v_and_b32_e32 v0, 0x88, v100
	s_mov_b32 s6, exec_lo
	v_cmpx_eq_u32_e32 0x88, v0
	s_cbranch_execz .LBB4_9799
; %bb.9790:
	v_add_nc_u32_e32 v0, 6, v64
	s_mov_b32 s7, 0
	v_and_b32_e32 v0, 7, v0
	v_mad_u64_u32 v[2:3], null, v0, 24, v[6:7]
	v_and_b32_e32 v0, 64, v100
	v_cmp_eq_u32_e64 s4, 0, v0
	flat_load_dwordx2 v[4:5], v[2:3] offset:8 glc dlc
	s_waitcnt vmcnt(0) lgkmcnt(0)
	v_cmp_ne_u64_e32 vcc_lo, -1, v[4:5]
	s_and_b32 s4, vcc_lo, s4
	s_and_b32 exec_lo, exec_lo, s4
	s_cbranch_execz .LBB4_9799
; %bb.9791:
	s_mov_b32 s11, 0
                                        ; implicit-def: $sgpr4
                                        ; implicit-def: $sgpr10
	s_inst_prefetch 0x1
	s_branch .LBB4_9794
	.p2align	6
.LBB4_9792:                             ;   in Loop: Header=BB4_9794 Depth=1
	flat_load_dwordx2 v[4:5], v[2:3] offset:8 glc dlc
	s_waitcnt vmcnt(0)
	s_andn2_b32 s10, s10, exec_lo
	s_waitcnt lgkmcnt(0)
	v_cmp_eq_u64_e32 vcc_lo, -1, v[4:5]
	s_orn2_b32 s13, vcc_lo, exec_lo
.LBB4_9793:                             ;   in Loop: Header=BB4_9794 Depth=1
	s_or_b32 exec_lo, exec_lo, s14
	s_and_b32 s12, exec_lo, s13
	s_or_b32 s7, s12, s7
	s_andn2_b32 s4, s4, exec_lo
	s_and_b32 s12, s10, exec_lo
	s_or_b32 s4, s4, s12
	s_andn2_b32 exec_lo, exec_lo, s7
	s_cbranch_execz .LBB4_9797
.LBB4_9794:                             ; =>This Inner Loop Header: Depth=1
	s_cmpk_lt_i32 s11, 0x270f
	s_cselect_b32 s12, -1, 0
	s_and_b32 vcc_lo, exec_lo, s12
	s_cbranch_vccnz .LBB4_9796
; %bb.9795:                             ;   in Loop: Header=BB4_9794 Depth=1
	s_trap 2
	ds_read_b64 v[4:5], v0
	s_andn2_b32 s12, s12, exec_lo
	s_mov_b32 s11, 0
	s_waitcnt lgkmcnt(0)
	s_waitcnt_vscnt null, 0x0
	flat_load_dword v0, v[4:5] glc dlc
	s_waitcnt vmcnt(0) lgkmcnt(0)
	buffer_gl1_inv
	buffer_gl0_inv
	v_cmp_eq_u32_e32 vcc_lo, 0, v0
	s_and_b32 s13, vcc_lo, exec_lo
	s_or_b32 s12, s12, s13
	s_mov_b32 s13, -1
	s_or_b32 s10, s10, exec_lo
	s_and_saveexec_b32 s14, s12
	s_cbranch_execz .LBB4_9793
	s_branch .LBB4_9792
	.p2align	6
.LBB4_9796:                             ;   in Loop: Header=BB4_9794 Depth=1
	s_add_i32 s11, s11, 1
                                        ; implicit-def: $vgpr0
	s_mov_b32 s13, -1
	s_or_b32 s10, s10, exec_lo
	s_and_saveexec_b32 s14, s12
	s_cbranch_execz .LBB4_9793
	s_branch .LBB4_9792
.LBB4_9797:
	s_inst_prefetch 0x2
	s_or_b32 exec_lo, exec_lo, s7
	s_and_saveexec_b32 s7, s4
	s_xor_b32 s7, exec_lo, s7
	s_cbranch_execz .LBB4_9799
; %bb.9798:
	s_waitcnt_vscnt null, 0x0
	ds_write_b32 v0, v0
	s_trap 2
.LBB4_9799:
	s_or_b32 exec_lo, exec_lo, s6
	v_and_b32_e32 v0, 0x2000, v100
	s_mov_b32 s4, exec_lo
	v_cmpx_ne_u32_e32 0, v0
	s_cbranch_execz .LBB4_9801
; %bb.9800:
	s_trap 2
	ds_read_b64 v[2:3], v0
	s_waitcnt lgkmcnt(0)
	flat_store_dwordx2 v[26:27], v[2:3] offset:16
.LBB4_9801:
	s_or_b32 exec_lo, exec_lo, s4
	v_cmp_ne_u32_e32 vcc_lo, 32, v1
	s_and_b32 exec_lo, exec_lo, vcc_lo
	s_cbranch_execz .LBB4_9819
; %bb.9802:
	s_waitcnt vmcnt(0)
	v_cmp_ne_u32_sdwa s4, v1, v30 src0_sel:DWORD src1_sel:WORD_0
	s_and_saveexec_b32 s6, s4
	s_xor_b32 s4, exec_lo, s6
	s_cbranch_execz .LBB4_9817
; %bb.9803:
	v_and_b32_e32 v0, 31, v31
	s_mov_b32 s6, exec_lo
	v_cmpx_eq_u32_e32 0, v0
	s_cbranch_execz .LBB4_9816
; %bb.9804:
	s_mov_b32 s10, exec_lo
	s_mov_b32 s7, exec_lo
	v_mbcnt_lo_u32_b32 v0, s10, 0
	s_waitcnt lgkmcnt(0)
	s_waitcnt_vscnt null, 0x0
	buffer_gl1_inv
	buffer_gl0_inv
	v_cmpx_eq_u32_e32 0, v0
	s_cbranch_execz .LBB4_9806
; %bb.9805:
	s_bcnt1_i32_b32 s10, s10
	v_mov_b32_e32 v3, 0
	v_mov_b32_e32 v2, s10
	ds_add_u64 v0, v[2:3]
	s_trap 2
.LBB4_9806:
	s_or_b32 exec_lo, exec_lo, s7
	s_trap 2
	ds_read_b64 v[2:3], v0
	s_waitcnt lgkmcnt(0)
	buffer_gl0_inv
	v_lshrrev_b32_e32 v0, 5, v1
	s_mov_b32 s7, exec_lo
	v_add_co_u32 v0, vcc_lo, v38, v0
	v_add_co_ci_u32_e64 v1, null, 0, v39, vcc_lo
	v_cmpx_lt_u64_e64 v[2:3], v[0:1]
	s_cbranch_execz .LBB4_9815
; %bb.9807:
	s_mov_b32 s10, 0
	s_mov_b32 s13, 0
                                        ; implicit-def: $sgpr11
                                        ; implicit-def: $sgpr12
	s_inst_prefetch 0x1
	s_branch .LBB4_9809
	.p2align	6
.LBB4_9808:                             ;   in Loop: Header=BB4_9809 Depth=1
	s_or_b32 exec_lo, exec_lo, s15
	s_and_b32 s14, exec_lo, s16
	s_or_b32 s10, s14, s10
	s_andn2_b32 s11, s11, exec_lo
	s_and_b32 s14, s12, exec_lo
	s_or_b32 s11, s11, s14
	s_andn2_b32 exec_lo, exec_lo, s10
	s_cbranch_execz .LBB4_9813
.LBB4_9809:                             ; =>This Inner Loop Header: Depth=1
	s_add_i32 s13, s13, 1
	s_cmpk_lg_i32 s13, 0x2710
	s_cselect_b32 s14, -1, 0
	s_and_b32 vcc_lo, exec_lo, s14
	s_cbranch_vccz .LBB4_9811
; %bb.9810:                             ;   in Loop: Header=BB4_9809 Depth=1
	s_mov_b32 s16, -1
	s_or_b32 s12, s12, exec_lo
	s_and_saveexec_b32 s15, s14
	s_cbranch_execz .LBB4_9808
	s_branch .LBB4_9812
.LBB4_9811:                             ;   in Loop: Header=BB4_9809 Depth=1
	s_trap 2
	ds_read_b64 v[2:3], v0
	s_andn2_b32 s14, s14, exec_lo
	s_mov_b32 s13, 0
	s_waitcnt lgkmcnt(0)
	flat_load_dword v2, v[2:3] glc dlc
	s_waitcnt vmcnt(0) lgkmcnt(0)
	buffer_gl1_inv
	buffer_gl0_inv
	v_cmp_eq_u32_e32 vcc_lo, 0, v2
	s_and_b32 s15, vcc_lo, exec_lo
	s_or_b32 s14, s14, s15
	s_mov_b32 s16, -1
	s_or_b32 s12, s12, exec_lo
	s_and_saveexec_b32 s15, s14
	s_cbranch_execz .LBB4_9808
.LBB4_9812:                             ;   in Loop: Header=BB4_9809 Depth=1
	s_sleep 1
	s_trap 2
	ds_read_b64 v[2:3], v0
	s_waitcnt lgkmcnt(0)
	buffer_gl0_inv
	s_andn2_b32 s12, s12, exec_lo
	v_cmp_ge_u64_e32 vcc_lo, v[2:3], v[0:1]
	s_orn2_b32 s16, vcc_lo, exec_lo
	s_branch .LBB4_9808
.LBB4_9813:
	s_inst_prefetch 0x2
	s_or_b32 exec_lo, exec_lo, s10
	s_and_saveexec_b32 s10, s11
	s_xor_b32 s10, exec_lo, s10
	s_cbranch_execz .LBB4_9815
; %bb.9814:
	v_mov_b32_e32 v0, 1
	ds_write_b32 v0, v0
	s_trap 2
.LBB4_9815:
	s_or_b32 exec_lo, exec_lo, s7
	;;#ASMSTART
	s_wakeup
	;;#ASMEND
.LBB4_9816:
	s_or_b32 exec_lo, exec_lo, s6
.LBB4_9817:
	s_andn2_saveexec_b32 s4, s4
	s_cbranch_execz .LBB4_9819
; %bb.9818:
	s_waitcnt lgkmcnt(0)
	s_waitcnt_vscnt null, 0x0
	buffer_gl1_inv
	buffer_gl0_inv
	s_barrier
.LBB4_9819:
	s_or_b32 exec_lo, exec_lo, s5
.LBB4_9820:
	s_andn2_saveexec_b32 s25, s24
	s_cbranch_execz .LBB4_9822
; %bb.9821:
	s_getpc_b64 s[4:5]
	s_add_u32 s4, s4, __PRETTY_FUNCTION__._ZN10PrimitivesI11rccl_float810FuncMinMaxIS0_E12FanSymmetricILi1EELi0E11ProtoSimpleILi2ELi2ELi0ELi2ELi0ELi0EELi0ELb0ELi0ELi0ELi0EEC2EiiPKiS9_PKvPvmhhhP15ncclDevWorkCollP14ncclDevWorkP2pii@rel32@lo+4
	s_addc_u32 s5, s5, __PRETTY_FUNCTION__._ZN10PrimitivesI11rccl_float810FuncMinMaxIS0_E12FanSymmetricILi1EELi0E11ProtoSimpleILi2ELi2ELi0ELi2ELi0ELi0EELi0ELb0ELi0ELi0ELi0EEC2EiiPKiS9_PKvPvmhhhP15ncclDevWorkCollP14ncclDevWorkP2pii@rel32@hi+12
	v_mov_b32_e32 v0, s4
	v_mov_b32_e32 v1, s5
	s_getpc_b64 s[6:7]
	s_add_u32 s6, s6, __assert_fail@rel32@lo+4
	s_addc_u32 s7, s7, __assert_fail@rel32@hi+12
	s_swappc_b64 s[30:31], s[6:7]
	; divergent unreachable
.LBB4_9822:
	s_or_b32 exec_lo, exec_lo, s25
	s_clause 0x2e
	buffer_load_dword v126, off, s[0:3], s33
	buffer_load_dword v125, off, s[0:3], s33 offset:4
	buffer_load_dword v124, off, s[0:3], s33 offset:8
	;; [unrolled: 1-line block ×46, first 2 shown]
	v_readlane_b32 s30, v127, 0
	v_readlane_b32 s31, v127, 1
	s_mov_b32 s32, s33
	s_or_saveexec_b32 s4, -1
	buffer_load_dword v127, off, s[0:3], s33 offset:188 ; 4-byte Folded Reload
	s_mov_b32 exec_lo, s4
	s_mov_b32 s33, s88
	s_waitcnt vmcnt(0) lgkmcnt(0)
	s_setpc_b64 s[30:31]
.Lfunc_end4:
	.size	_ZN12_GLOBAL__N_17runRingI11rccl_float810FuncMinMaxIS1_E11ProtoSimpleILi2ELi2ELi0ELi2ELi0ELi0EELi0ELi0ELi2ELi0EEEviiP15ncclDevWorkColl, .Lfunc_end4-_ZN12_GLOBAL__N_17runRingI11rccl_float810FuncMinMaxIS1_E11ProtoSimpleILi2ELi2ELi0ELi2ELi0ELi0EELi0ELi0ELi2ELi0EEEviiP15ncclDevWorkColl
                                        ; -- End function
	.set .L_ZN12_GLOBAL__N_17runRingI11rccl_float810FuncMinMaxIS1_E11ProtoSimpleILi2ELi2ELi0ELi2ELi0ELi0EELi0ELi0ELi2ELi0EEEviiP15ncclDevWorkColl.num_vgpr, max(128, .L__assert_fail.num_vgpr)
	.set .L_ZN12_GLOBAL__N_17runRingI11rccl_float810FuncMinMaxIS1_E11ProtoSimpleILi2ELi2ELi0ELi2ELi0ELi0EELi0ELi0ELi2ELi0EEEviiP15ncclDevWorkColl.num_agpr, max(0, .L__assert_fail.num_agpr)
	.set .L_ZN12_GLOBAL__N_17runRingI11rccl_float810FuncMinMaxIS1_E11ProtoSimpleILi2ELi2ELi0ELi2ELi0ELi0EELi0ELi0ELi2ELi0EEEviiP15ncclDevWorkColl.numbered_sgpr, max(89, .L__assert_fail.numbered_sgpr)
	.set .L_ZN12_GLOBAL__N_17runRingI11rccl_float810FuncMinMaxIS1_E11ProtoSimpleILi2ELi2ELi0ELi2ELi0ELi0EELi0ELi0ELi2ELi0EEEviiP15ncclDevWorkColl.num_named_barrier, max(0, .L__assert_fail.num_named_barrier)
	.set .L_ZN12_GLOBAL__N_17runRingI11rccl_float810FuncMinMaxIS1_E11ProtoSimpleILi2ELi2ELi0ELi2ELi0ELi0EELi0ELi0ELi2ELi0EEEviiP15ncclDevWorkColl.private_seg_size, 208+max(.L__assert_fail.private_seg_size)
	.set .L_ZN12_GLOBAL__N_17runRingI11rccl_float810FuncMinMaxIS1_E11ProtoSimpleILi2ELi2ELi0ELi2ELi0ELi0EELi0ELi0ELi2ELi0EEEviiP15ncclDevWorkColl.uses_vcc, or(1, .L__assert_fail.uses_vcc)
	.set .L_ZN12_GLOBAL__N_17runRingI11rccl_float810FuncMinMaxIS1_E11ProtoSimpleILi2ELi2ELi0ELi2ELi0ELi0EELi0ELi0ELi2ELi0EEEviiP15ncclDevWorkColl.uses_flat_scratch, or(1, .L__assert_fail.uses_flat_scratch)
	.set .L_ZN12_GLOBAL__N_17runRingI11rccl_float810FuncMinMaxIS1_E11ProtoSimpleILi2ELi2ELi0ELi2ELi0ELi0EELi0ELi0ELi2ELi0EEEviiP15ncclDevWorkColl.has_dyn_sized_stack, or(0, .L__assert_fail.has_dyn_sized_stack)
	.set .L_ZN12_GLOBAL__N_17runRingI11rccl_float810FuncMinMaxIS1_E11ProtoSimpleILi2ELi2ELi0ELi2ELi0ELi0EELi0ELi0ELi2ELi0EEEviiP15ncclDevWorkColl.has_recursion, or(1, .L__assert_fail.has_recursion)
	.set .L_ZN12_GLOBAL__N_17runRingI11rccl_float810FuncMinMaxIS1_E11ProtoSimpleILi2ELi2ELi0ELi2ELi0ELi0EELi0ELi0ELi2ELi0EEEviiP15ncclDevWorkColl.has_indirect_call, or(0, .L__assert_fail.has_indirect_call)
	.section	.AMDGPU.csdata,"",@progbits
; Function info:
; codeLenInByte = 306968
; TotalNumSgprs: 91
; NumVgprs: 128
; ScratchSize: 272
; MemoryBound: 1
	.text
	.p2align	2                               ; -- Begin function _Z53ncclDevFunc_AllReduce_RING_SIMPLE_MinMax_f8e4m3_0_0_2v
	.type	_Z53ncclDevFunc_AllReduce_RING_SIMPLE_MinMax_f8e4m3_0_0_2v,@function
_Z53ncclDevFunc_AllReduce_RING_SIMPLE_MinMax_f8e4m3_0_0_2v: ; @_Z53ncclDevFunc_AllReduce_RING_SIMPLE_MinMax_f8e4m3_0_0_2v
; %bb.0:
	s_waitcnt vmcnt(0) expcnt(0) lgkmcnt(0)
	s_mov_b32 s94, s33
	s_mov_b32 s33, s32
	s_or_saveexec_b32 s4, -1
	buffer_store_dword v43, off, s[0:3], s33 offset:16 ; 4-byte Folded Spill
	s_mov_b32 exec_lo, s4
	s_addk_i32 s32, 0x400
	buffer_store_dword v40, off, s[0:3], s33 offset:12 ; 4-byte Folded Spill
	buffer_store_dword v41, off, s[0:3], s33 offset:8 ; 4-byte Folded Spill
	;; [unrolled: 1-line block ×3, first 2 shown]
	buffer_store_dword v127, off, s[0:3], s33 ; 4-byte Folded Spill
	v_writelane_b32 v43, s34, 0
	v_writelane_b32 v43, s35, 1
	;; [unrolled: 1-line block ×4, first 2 shown]
	s_trap 2
	ds_read_b32 v0, v0
	v_mov_b32_e32 v40, v31
	s_mov_b32 s89, s12
	s_mov_b64 s[90:91], s[8:9]
	s_mov_b32 s4, exec_lo
	v_and_b32_e32 v41, 0x3ff, v40
	s_waitcnt lgkmcnt(0)
	v_cmpx_lt_i32_e64 v41, v0
	s_cbranch_execz .LBB5_5
; %bb.1:
	s_load_dword s5, s[90:91], 0x0
	v_mov_b32_e32 v1, 0
	v_mov_b32_e32 v3, v41
                                        ; implicit-def: $vgpr4
	s_waitcnt lgkmcnt(0)
	s_cmp_lt_u32 s89, s5
	s_cselect_b32 s5, 12, 18
	s_add_u32 s6, s90, s5
	s_addc_u32 s7, s91, 0
	s_mov_b32 s5, 0
	global_load_ushort v1, v1, s[6:7]
	s_trap 2
	ds_read_b32 v2, v0
	s_mov_b32 s6, 0
	s_waitcnt vmcnt(0) lgkmcnt(0)
	v_mul_lo_u32 v2, v2, v1
	s_branch .LBB5_3
	.p2align	6
.LBB5_2:                                ;   in Loop: Header=BB5_3 Depth=1
	s_or_b32 exec_lo, exec_lo, s7
	v_add_nc_u32_e32 v3, v3, v1
	v_add_nc_u32_e32 v4, v4, v2
	v_cmp_ge_i32_e32 vcc_lo, v3, v0
	s_or_b32 s6, vcc_lo, s6
	s_andn2_b32 exec_lo, exec_lo, s6
	s_cbranch_execz .LBB5_5
.LBB5_3:                                ; =>This Inner Loop Header: Depth=1
	ds_read_b32 v5, v4
	s_mov_b32 s7, exec_lo
	s_waitcnt lgkmcnt(0)
	v_and_b32_e32 v5, 0x1000000, v5
	v_cmpx_ne_u32_e32 0, v5
	s_cbranch_execz .LBB5_2
; %bb.4:                                ;   in Loop: Header=BB5_3 Depth=1
	ds_read_b64 v[5:6], v4 offset:104
	s_waitcnt lgkmcnt(0)
	flat_load_ubyte v5, v[5:6]
	v_mov_b32_e32 v6, s5
	s_waitcnt vmcnt(0) lgkmcnt(0)
	v_and_b32_e32 v5, 0xffff, v5
	ds_write_b64 v4, v[5:6] offset:104
	s_branch .LBB5_2
.LBB5_5:
	s_or_b32 exec_lo, exec_lo, s4
	s_waitcnt lgkmcnt(0)
	s_waitcnt_vscnt null, 0x0
	s_barrier
	buffer_gl0_inv
	s_trap 2
	ds_read_b32 v0, v0
	s_waitcnt lgkmcnt(0)
	v_cmp_gt_i32_e32 vcc_lo, 1, v0
	s_cbranch_vccnz .LBB5_13
; %bb.6:
	v_mov_b32_e32 v42, 5
	s_mov_b32 s92, 0
	s_inst_prefetch 0x1
	s_branch .LBB5_8
	.p2align	6
.LBB5_7:                                ;   in Loop: Header=BB5_8 Depth=1
	s_or_b32 exec_lo, exec_lo, s93
	s_trap 2
	ds_read_b32 v0, v0
	s_add_i32 s92, s92, 1
	s_waitcnt lgkmcnt(0)
	v_cmp_lt_i32_e32 vcc_lo, s92, v0
	s_cbranch_vccz .LBB5_13
.LBB5_8:                                ; =>This Inner Loop Header: Depth=1
	s_trap 2
	ds_read_b32 v0, v0
	s_cmp_eq_u32 s92, 0
	s_cbranch_scc1 .LBB5_11
; %bb.9:                                ;   in Loop: Header=BB5_8 Depth=1
	s_trap 2
	s_waitcnt lgkmcnt(0)
	ds_read_b32 v1, v0
	s_waitcnt lgkmcnt(0)
	v_xor_b32_e32 v1, v1, v0
	v_and_b32_e32 v1, 0xff0000, v1
	v_cmp_eq_u32_e32 vcc_lo, 0, v1
	s_cbranch_vccnz .LBB5_11
; %bb.10:                               ;   in Loop: Header=BB5_8 Depth=1
	s_barrier
	buffer_gl0_inv
	ds_read_b32 v0, v0
.LBB5_11:                               ;   in Loop: Header=BB5_8 Depth=1
	s_waitcnt lgkmcnt(0)
	v_lshlrev_b32_sdwa v1, v42, v0 dst_sel:DWORD dst_unused:UNUSED_PAD src0_sel:DWORD src1_sel:BYTE_2
	s_mov_b32 s93, exec_lo
	v_cmpx_lt_u32_e64 v41, v1
	s_cbranch_execz .LBB5_7
; %bb.12:                               ;   in Loop: Header=BB5_8 Depth=1
	s_mov_b64 s[4:5], src_shared_base
	v_mov_b32_e32 v31, v40
	v_mov_b32_e32 v0, v41
	;; [unrolled: 1-line block ×3, first 2 shown]
	s_getpc_b64 s[6:7]
	s_add_u32 s6, s6, _ZN12_GLOBAL__N_17runRingI11rccl_float810FuncMinMaxIS1_E11ProtoSimpleILi2ELi2ELi0ELi2ELi0ELi0EELi0ELi0ELi2ELi0EEEviiP15ncclDevWorkColl@rel32@lo+4
	s_addc_u32 s7, s7, _ZN12_GLOBAL__N_17runRingI11rccl_float810FuncMinMaxIS1_E11ProtoSimpleILi2ELi2ELi0ELi2ELi0ELi0EELi0ELi0ELi2ELi0EEEviiP15ncclDevWorkColl@rel32@hi+12
	s_mov_b64 s[8:9], s[90:91]
	s_mov_b32 s12, s89
	s_swappc_b64 s[30:31], s[6:7]
	s_branch .LBB5_7
.LBB5_13:
	s_inst_prefetch 0x2
	s_clause 0x3
	buffer_load_dword v127, off, s[0:3], s33
	buffer_load_dword v42, off, s[0:3], s33 offset:4
	buffer_load_dword v41, off, s[0:3], s33 offset:8
	;; [unrolled: 1-line block ×3, first 2 shown]
	v_readlane_b32 s30, v43, 2
	v_readlane_b32 s31, v43, 3
	v_readlane_b32 s35, v43, 1
	v_readlane_b32 s34, v43, 0
	s_mov_b32 s32, s33
	s_or_saveexec_b32 s4, -1
	buffer_load_dword v43, off, s[0:3], s33 offset:16 ; 4-byte Folded Reload
	s_mov_b32 exec_lo, s4
	s_mov_b32 s33, s94
	s_waitcnt vmcnt(0)
	s_setpc_b64 s[30:31]
.Lfunc_end5:
	.size	_Z53ncclDevFunc_AllReduce_RING_SIMPLE_MinMax_f8e4m3_0_0_2v, .Lfunc_end5-_Z53ncclDevFunc_AllReduce_RING_SIMPLE_MinMax_f8e4m3_0_0_2v
                                        ; -- End function
	.set .L_Z53ncclDevFunc_AllReduce_RING_SIMPLE_MinMax_f8e4m3_0_0_2v.num_vgpr, max(128, .L_ZN12_GLOBAL__N_17runRingI11rccl_float810FuncMinMaxIS1_E11ProtoSimpleILi2ELi2ELi0ELi2ELi0ELi0EELi0ELi0ELi2ELi0EEEviiP15ncclDevWorkColl.num_vgpr)
	.set .L_Z53ncclDevFunc_AllReduce_RING_SIMPLE_MinMax_f8e4m3_0_0_2v.num_agpr, max(0, .L_ZN12_GLOBAL__N_17runRingI11rccl_float810FuncMinMaxIS1_E11ProtoSimpleILi2ELi2ELi0ELi2ELi0ELi0EELi0ELi0ELi2ELi0EEEviiP15ncclDevWorkColl.num_agpr)
	.set .L_Z53ncclDevFunc_AllReduce_RING_SIMPLE_MinMax_f8e4m3_0_0_2v.numbered_sgpr, max(95, .L_ZN12_GLOBAL__N_17runRingI11rccl_float810FuncMinMaxIS1_E11ProtoSimpleILi2ELi2ELi0ELi2ELi0ELi0EELi0ELi0ELi2ELi0EEEviiP15ncclDevWorkColl.numbered_sgpr)
	.set .L_Z53ncclDevFunc_AllReduce_RING_SIMPLE_MinMax_f8e4m3_0_0_2v.num_named_barrier, max(0, .L_ZN12_GLOBAL__N_17runRingI11rccl_float810FuncMinMaxIS1_E11ProtoSimpleILi2ELi2ELi0ELi2ELi0ELi0EELi0ELi0ELi2ELi0EEEviiP15ncclDevWorkColl.num_named_barrier)
	.set .L_Z53ncclDevFunc_AllReduce_RING_SIMPLE_MinMax_f8e4m3_0_0_2v.private_seg_size, 32+max(.L_ZN12_GLOBAL__N_17runRingI11rccl_float810FuncMinMaxIS1_E11ProtoSimpleILi2ELi2ELi0ELi2ELi0ELi0EELi0ELi0ELi2ELi0EEEviiP15ncclDevWorkColl.private_seg_size)
	.set .L_Z53ncclDevFunc_AllReduce_RING_SIMPLE_MinMax_f8e4m3_0_0_2v.uses_vcc, or(1, .L_ZN12_GLOBAL__N_17runRingI11rccl_float810FuncMinMaxIS1_E11ProtoSimpleILi2ELi2ELi0ELi2ELi0ELi0EELi0ELi0ELi2ELi0EEEviiP15ncclDevWorkColl.uses_vcc)
	.set .L_Z53ncclDevFunc_AllReduce_RING_SIMPLE_MinMax_f8e4m3_0_0_2v.uses_flat_scratch, or(0, .L_ZN12_GLOBAL__N_17runRingI11rccl_float810FuncMinMaxIS1_E11ProtoSimpleILi2ELi2ELi0ELi2ELi0ELi0EELi0ELi0ELi2ELi0EEEviiP15ncclDevWorkColl.uses_flat_scratch)
	.set .L_Z53ncclDevFunc_AllReduce_RING_SIMPLE_MinMax_f8e4m3_0_0_2v.has_dyn_sized_stack, or(0, .L_ZN12_GLOBAL__N_17runRingI11rccl_float810FuncMinMaxIS1_E11ProtoSimpleILi2ELi2ELi0ELi2ELi0ELi0EELi0ELi0ELi2ELi0EEEviiP15ncclDevWorkColl.has_dyn_sized_stack)
	.set .L_Z53ncclDevFunc_AllReduce_RING_SIMPLE_MinMax_f8e4m3_0_0_2v.has_recursion, or(1, .L_ZN12_GLOBAL__N_17runRingI11rccl_float810FuncMinMaxIS1_E11ProtoSimpleILi2ELi2ELi0ELi2ELi0ELi0EELi0ELi0ELi2ELi0EEEviiP15ncclDevWorkColl.has_recursion)
	.set .L_Z53ncclDevFunc_AllReduce_RING_SIMPLE_MinMax_f8e4m3_0_0_2v.has_indirect_call, or(0, .L_ZN12_GLOBAL__N_17runRingI11rccl_float810FuncMinMaxIS1_E11ProtoSimpleILi2ELi2ELi0ELi2ELi0ELi0EELi0ELi0ELi2ELi0EEEviiP15ncclDevWorkColl.has_indirect_call)
	.section	.AMDGPU.csdata,"",@progbits
; Function info:
; codeLenInByte = 744
; TotalNumSgprs: 97
; NumVgprs: 128
; ScratchSize: 304
; MemoryBound: 0
	.text
	.p2align	2                               ; -- Begin function _ZN12_GLOBAL__N_17runRingI11rccl_float810FuncMinMaxIS1_E11ProtoSimpleILi2ELi2ELi0ELi4ELi0ELi0EELi0ELi0ELi4ELi0EEEviiP15ncclDevWorkColl
	.type	_ZN12_GLOBAL__N_17runRingI11rccl_float810FuncMinMaxIS1_E11ProtoSimpleILi2ELi2ELi0ELi4ELi0ELi0EELi0ELi0ELi4ELi0EEEviiP15ncclDevWorkColl,@function
_ZN12_GLOBAL__N_17runRingI11rccl_float810FuncMinMaxIS1_E11ProtoSimpleILi2ELi2ELi0ELi4ELi0ELi0EELi0ELi0ELi4ELi0EEEviiP15ncclDevWorkColl: ; @_ZN12_GLOBAL__N_17runRingI11rccl_float810FuncMinMaxIS1_E11ProtoSimpleILi2ELi2ELi0ELi4ELi0ELi0EELi0ELi0ELi4ELi0EEEviiP15ncclDevWorkColl
; %bb.0:
	s_waitcnt vmcnt(0) expcnt(0) lgkmcnt(0)
	s_mov_b32 s88, s33
	s_mov_b32 s33, s32
	s_or_saveexec_b32 s4, -1
	buffer_store_dword v127, off, s[0:3], s33 offset:308 ; 4-byte Folded Spill
	s_mov_b32 exec_lo, s4
	s_addk_i32 s32, 0x2800
	buffer_store_dword v40, off, s[0:3], s33 offset:184 ; 4-byte Folded Spill
	buffer_store_dword v41, off, s[0:3], s33 offset:180 ; 4-byte Folded Spill
	;; [unrolled: 1-line block ×46, first 2 shown]
	buffer_store_dword v126, off, s[0:3], s33 ; 4-byte Folded Spill
	v_writelane_b32 v127, s30, 0
	v_writelane_b32 v127, s31, 1
	s_trap 2
	flat_load_dword v4, v[2:3]
	ds_read_b32 v5, v0
	v_mov_b32_e32 v19, v1
                                        ; implicit-def: $vgpr14_vgpr15
                                        ; implicit-def: $vgpr6_vgpr7
                                        ; kill: killed $vgpr6_vgpr7
                                        ; implicit-def: $vgpr9_vgpr10
	s_waitcnt lgkmcnt(0)
	v_readfirstlane_b32 s25, v5
	s_waitcnt vmcnt(0)
	v_cmp_ne_u32_sdwa s4, v5, v4 src0_sel:DWORD src1_sel:BYTE_0
	s_and_saveexec_b32 s5, s4
	s_xor_b32 s4, exec_lo, s5
	s_cbranch_execz .LBB6_6
; %bb.1:
	v_not_b32_sdwa v1, v4 dst_sel:DWORD dst_unused:UNUSED_PAD src0_sel:BYTE_0
	v_cmp_ne_u32_sdwa s5, v5, v4 src0_sel:DWORD src1_sel:BYTE_1
                                        ; implicit-def: $vgpr14_vgpr15
                                        ; implicit-def: $vgpr6_vgpr7
                                        ; kill: killed $vgpr6_vgpr7
                                        ; implicit-def: $vgpr9_vgpr10
	s_and_saveexec_b32 s6, s5
	s_xor_b32 s5, exec_lo, s6
	s_cbranch_execz .LBB6_3
; %bb.2:
	s_clause 0x1
	flat_load_dwordx4 v[6:9], v[2:3] offset:72
	flat_load_dwordx2 v[10:11], v[2:3] offset:96
	v_add_nc_u32_e32 v1, v5, v1
	v_ashrrev_i32_e32 v4, 31, v1
	s_waitcnt vmcnt(1) lgkmcnt(1)
	v_mul_lo_u32 v4, v8, v4
	v_mad_u64_u32 v[5:6], null, v8, v1, v[6:7]
	v_mul_lo_u32 v1, v9, v1
	s_waitcnt vmcnt(0) lgkmcnt(0)
	v_lshrrev_b64 v[14:15], 12, v[10:11]
	v_mov_b32_e32 v10, v9
	v_mov_b32_e32 v9, v8
	v_add3_u32 v6, v1, v6, v4
                                        ; implicit-def: $vgpr4
                                        ; implicit-def: $vgpr1
	buffer_store_dword v5, off, s[0:3], s33 offset:248 ; 4-byte Folded Spill
	buffer_store_dword v6, off, s[0:3], s33 offset:252 ; 4-byte Folded Spill
.LBB6_3:
	s_andn2_saveexec_b32 s5, s5
	s_cbranch_execz .LBB6_5
; %bb.4:
	s_clause 0x1
	flat_load_dwordx4 v[5:8], v[2:3] offset:72
	flat_load_dwordx4 v[9:12], v[2:3] offset:88
	v_add_nc_u32_sdwa v1, v4, v1 dst_sel:DWORD dst_unused:UNUSED_PAD src0_sel:BYTE_1 src1_sel:DWORD
	v_ashrrev_i32_e32 v4, 31, v1
	s_waitcnt vmcnt(1) lgkmcnt(1)
	v_mul_lo_u32 v4, v7, v4
	v_mad_u64_u32 v[5:6], null, v7, v1, v[5:6]
	v_mul_lo_u32 v1, v8, v1
	s_waitcnt vmcnt(0) lgkmcnt(0)
	v_lshrrev_b32_e32 v14, 1, v12
	v_add3_u32 v6, v1, v6, v4
	buffer_store_dword v5, off, s[0:3], s33 offset:248 ; 4-byte Folded Spill
	buffer_store_dword v6, off, s[0:3], s33 offset:252 ; 4-byte Folded Spill
.LBB6_5:
	s_or_b32 exec_lo, exec_lo, s5
.LBB6_6:
	s_andn2_saveexec_b32 s4, s4
	s_cbranch_execz .LBB6_8
; %bb.7:
	s_clause 0x1
	flat_load_dwordx2 v[4:5], v[2:3] offset:96
	flat_load_dwordx2 v[9:10], v[2:3] offset:72
	s_waitcnt vmcnt(1) lgkmcnt(1)
	v_lshlrev_b64 v[14:15], 9, v[4:5]
	v_mov_b32_e32 v4, 0
	v_mov_b32_e32 v5, 0
	buffer_store_dword v4, off, s[0:3], s33 offset:248 ; 4-byte Folded Spill
	buffer_store_dword v5, off, s[0:3], s33 offset:252 ; 4-byte Folded Spill
.LBB6_8:
	s_or_b32 exec_lo, exec_lo, s4
	s_trap 2
	ds_read_b64 v[4:5], v0
	s_mov_b32 s5, exec_lo
	s_waitcnt lgkmcnt(0)
	v_cmp_ne_u32_e32 vcc_lo, -1, v4
	v_cndmask_b32_e64 v1, 0, 1, vcc_lo
	v_cmp_ne_u32_e32 vcc_lo, -1, v5
	v_add_co_ci_u32_e64 v4, null, 0, v1, vcc_lo
	v_lshlrev_b32_e32 v5, 1, v4
	v_cmpx_le_u32_e64 v5, v19
	s_xor_b32 s24, exec_lo, s5
	s_cbranch_execnz .LBB6_9
; %bb.16171:
	s_getpc_b64 s[34:35]
.Lpost_getpc26:
	s_add_u32 s34, s34, (.LBB6_16156-.Lpost_getpc26)&4294967295
	s_addc_u32 s35, s35, (.LBB6_16156-.Lpost_getpc26)>>32
	s_setpc_b64 s[34:35]
.LBB6_9:
	s_waitcnt vmcnt(0)
	buffer_store_dword v9, off, s[0:3], s33 offset:256 ; 4-byte Folded Spill
	buffer_store_dword v10, off, s[0:3], s33 offset:260 ; 4-byte Folded Spill
	;; [unrolled: 1-line block ×4, first 2 shown]
	s_clause 0x3
	flat_load_dwordx4 v[10:13], v[2:3] offset:16
	flat_load_dwordx2 v[15:16], v[2:3] offset:104
	flat_load_ushort v7, v[2:3] offset:8
	flat_load_dword v6, v[2:3] offset:4
	s_trap 2
	s_load_dword s4, s[8:9], 0x0
	v_mov_b32_e32 v5, 0
	v_mov_b32_e32 v44, 4
	s_waitcnt lgkmcnt(0)
	s_cmp_lt_u32 s12, s4
	s_cselect_b32 s4, 12, 18
	s_add_u32 s4, s8, s4
	s_addc_u32 s5, s9, 0
	global_load_ushort v20, v5, s[4:5]
	ds_read_b32 v5, v0
	s_mov_b32 s5, exec_lo
	s_waitcnt lgkmcnt(0)
	v_readfirstlane_b32 s15, v5
	v_cmpx_ge_u32_e64 v0, v1
	s_cbranch_execz .LBB6_19
; %bb.10:
	v_cmp_ge_u32_e64 s4, v0, v4
                                        ; implicit-def: $vgpr44
	s_and_saveexec_b32 s6, s4
	s_xor_b32 s4, exec_lo, s6
	s_cbranch_execz .LBB6_16
; %bb.11:
	v_cndmask_b32_e64 v5, 0, 1, vcc_lo
	s_mov_b32 s6, exec_lo
	v_sub_nc_u32_e32 v5, v19, v5
	v_cmpx_ge_u32_e64 v0, v5
	s_xor_b32 s6, exec_lo, s6
; %bb.12:
                                        ; implicit-def: $vgpr4
; %bb.13:
	s_or_saveexec_b32 s6, s6
	v_mov_b32_e32 v44, 16
	s_xor_b32 exec_lo, exec_lo, s6
; %bb.14:
	v_sub_nc_u32_e32 v4, v19, v4
	v_cmp_lt_i32_e32 vcc_lo, v0, v4
	v_cndmask_b32_e64 v44, 32, 0, vcc_lo
; %bb.15:
	s_or_b32 exec_lo, exec_lo, s6
.LBB6_16:
	s_andn2_saveexec_b32 s4, s4
; %bb.17:
	v_mov_b32_e32 v44, 8
; %bb.18:
	s_or_b32 exec_lo, exec_lo, s4
.LBB6_19:
	s_or_b32 exec_lo, exec_lo, s5
	v_and_b32_e32 v4, 36, v44
	v_mov_b32_e32 v8, -1
	v_cmp_ne_u32_e32 vcc_lo, 0, v4
	s_and_saveexec_b32 s4, vcc_lo
	s_cbranch_execz .LBB6_21
; %bb.20:
	s_trap 2
	ds_read_b32 v8, v0
.LBB6_21:
	s_or_b32 exec_lo, exec_lo, s4
	v_and_b32_e32 v4, 24, v44
	s_mov_b32 s5, exec_lo
	v_cmpx_ne_u32_e32 0, v4
	s_cbranch_execz .LBB6_23
; %bb.22:
	s_trap 2
	s_waitcnt lgkmcnt(0)
	ds_read_b32 v8, v0
.LBB6_23:
	s_or_b32 exec_lo, exec_lo, s5
	s_waitcnt vmcnt(1)
	v_lshrrev_b64 v[4:5], 31, v[6:7]
	v_mov_b32_e32 v21, 0
	v_mov_b32_e32 v6, 0
	v_mov_b32_e32 v22, 0
	v_mov_b32_e32 v7, 0
                                        ; implicit-def: $vgpr17_vgpr18
                                        ; kill: killed $vgpr17_vgpr18
                                        ; implicit-def: $vgpr45
                                        ; implicit-def: $vgpr96_vgpr97
                                        ; implicit-def: $vgpr66_vgpr67
                                        ; implicit-def: $vgpr80_vgpr81
                                        ; implicit-def: $vgpr64_vgpr65
	v_and_b32_e32 v4, 3, v4
	s_and_saveexec_b32 s4, vcc_lo
	s_cbranch_execz .LBB6_33
; %bb.24:
	s_trap 2
	ds_read_b64 v[5:6], v0
	s_waitcnt lgkmcnt(1)
	v_ashrrev_i32_e32 v9, 31, v8
	v_and_b32_e32 v7, 0xffff, v4
	v_lshlrev_b64 v[17:18], 3, v[8:9]
	s_waitcnt lgkmcnt(0)
	v_add_co_u32 v5, vcc_lo, v5, v17
	v_add_co_ci_u32_e64 v6, null, v6, v18, vcc_lo
	flat_load_dwordx2 v[5:6], v[5:6]
	s_waitcnt vmcnt(0) lgkmcnt(0)
	v_mad_u64_u32 v[17:18], null, 0xa8, v7, v[5:6]
	flat_load_dword v5, v[17:18] offset:640
	s_waitcnt vmcnt(0) lgkmcnt(0)
	v_cmp_eq_u32_e32 vcc_lo, 1, v5
                                        ; implicit-def: $vgpr5_vgpr6
                                        ; kill: killed $vgpr5_vgpr6
	s_and_saveexec_b32 s5, vcc_lo
	s_cbranch_execz .LBB6_26
; %bb.25:
	flat_load_dwordx2 v[21:22], v[17:18] offset:648
	v_or_b32_e32 v44, 0x2000, v44
	s_waitcnt vmcnt(0) lgkmcnt(0)
	flat_load_dwordx2 v[5:6], v[21:22]
	s_trap 2
	s_waitcnt vmcnt(0) lgkmcnt(0)
	ds_write_b64 v0, v[5:6]
	flat_load_dwordx2 v[5:6], v[21:22] offset:8
	s_waitcnt vmcnt(0) lgkmcnt(0)
	ds_write_b64 v0, v[5:6]
	buffer_store_dword v21, off, s[0:3], s33 offset:300 ; 4-byte Folded Spill
	buffer_store_dword v22, off, s[0:3], s33 offset:304 ; 4-byte Folded Spill
	flat_load_dwordx2 v[5:6], v[21:22] offset:16
	s_waitcnt vmcnt(0) lgkmcnt(0)
	ds_write_b64 v0, v[5:6]
.LBB6_26:
	s_or_b32 exec_lo, exec_lo, s5
	flat_load_dwordx2 v[5:6], v[17:18] offset:608
	v_and_b32_e32 v7, 32, v44
	s_mov_b32 s5, exec_lo
                                        ; implicit-def: $vgpr64_vgpr65
	s_waitcnt vmcnt(0) lgkmcnt(0)
	v_add_co_u32 v5, vcc_lo, v5, 3
	v_add_co_ci_u32_e64 v97, null, 0, v6, vcc_lo
	v_and_b32_e32 v96, -4, v5
	v_cmpx_ne_u32_e32 0, v7
	s_cbranch_execz .LBB6_28
; %bb.27:
	flat_load_dwordx2 v[64:65], v[17:18] offset:560
	s_waitcnt vmcnt(0) lgkmcnt(0)
	s_waitcnt_vscnt null, 0x0
	flat_store_dwordx2 v[64:65], v[96:97]
.LBB6_28:
	s_or_b32 exec_lo, exec_lo, s5
	v_add_co_u32 v21, vcc_lo, 0x1f8, v17
	v_mov_b32_e32 v6, 0
	v_and_b32_e32 v5, 4, v44
	v_add_co_ci_u32_e64 v22, null, 0, v18, vcc_lo
	v_mov_b32_e32 v7, 0
	s_mov_b32 s5, exec_lo
                                        ; implicit-def: $vgpr45
                                        ; implicit-def: $vgpr66_vgpr67
                                        ; implicit-def: $vgpr80_vgpr81
	v_cmpx_ne_u32_e32 0, v5
	s_cbranch_execz .LBB6_32
; %bb.29:
	v_and_b32_e32 v5, 0x800, v44
	s_mov_b32 s6, exec_lo
	v_cmpx_eq_u32_e32 0, v5
	s_cbranch_execz .LBB6_31
; %bb.30:
	s_trap 2
	ds_write_b64 v0, v[21:22]
.LBB6_31:
	s_or_b32 exec_lo, exec_lo, s6
	flat_load_dwordx2 v[64:65], v[17:18] offset:552
	v_or_b32_e32 v5, 0x100, v44
	s_waitcnt vmcnt(0) lgkmcnt(0)
	flat_load_dwordx2 v[80:81], v[64:65] glc dlc
	s_clause 0x2
	flat_load_dwordx2 v[6:7], v[17:18] offset:600
	flat_load_dword v45, v[17:18] offset:576
	flat_load_dwordx2 v[66:67], v[17:18] offset:520
	s_waitcnt vmcnt(2) lgkmcnt(2)
	v_cmp_eq_u64_e32 vcc_lo, 0, v[6:7]
	v_cndmask_b32_e32 v44, v5, v44, vcc_lo
.LBB6_32:
	s_or_b32 exec_lo, exec_lo, s5
.LBB6_33:
	s_or_b32 exec_lo, exec_lo, s4
	v_and_b32_e32 v5, 24, v44
	s_mov_b32 s4, exec_lo
                                        ; implicit-def: $vgpr68_vgpr69
	v_cmpx_ne_u32_e32 0, v5
	s_cbranch_execz .LBB6_41
; %bb.34:
	s_trap 2
	ds_read_b64 v[5:6], v0
	s_waitcnt lgkmcnt(1)
	v_ashrrev_i32_e32 v9, 31, v8
	v_and_b32_e32 v4, 0xffff, v4
	s_mov_b32 s5, exec_lo
                                        ; implicit-def: $vgpr68_vgpr69
	v_lshlrev_b64 v[7:8], 3, v[8:9]
	s_waitcnt lgkmcnt(0)
	v_add_co_u32 v5, vcc_lo, v5, v7
	v_add_co_ci_u32_e64 v6, null, v6, v8, vcc_lo
	flat_load_dwordx2 v[5:6], v[5:6]
	s_waitcnt vmcnt(0) lgkmcnt(0)
	v_mad_u64_u32 v[21:22], null, 0xa8, v4, v[5:6]
	v_or_b32_e32 v4, 0x100, v44
	flat_load_dwordx4 v[6:9], v[21:22] offset:96
	s_waitcnt vmcnt(0) lgkmcnt(0)
	v_cmp_eq_u64_e32 vcc_lo, 0, v[6:7]
	v_cndmask_b32_e32 v44, v4, v44, vcc_lo
	v_and_b32_e32 v4, 16, v44
	v_cmpx_ne_u32_e32 0, v4
	s_cbranch_execz .LBB6_36
; %bb.35:
	s_clause 0x2
	flat_load_dwordx2 v[64:65], v[21:22] offset:48
	flat_load_dwordx2 v[68:69], v[21:22] offset:120
	;; [unrolled: 1-line block ×3, first 2 shown]
.LBB6_36:
	s_or_b32 exec_lo, exec_lo, s5
	v_add_co_u32 v4, vcc_lo, v8, 3
	v_and_b32_e32 v5, 8, v44
	v_add_co_ci_u32_e64 v97, null, 0, v9, vcc_lo
	v_and_b32_e32 v96, -4, v4
	s_mov_b32 s5, exec_lo
	v_cmpx_ne_u32_e32 0, v5
	s_cbranch_execz .LBB6_40
; %bb.37:
	v_and_b32_e32 v4, 0x800, v44
	s_mov_b32 s6, exec_lo
	v_cmpx_eq_u32_e32 0, v4
	s_cbranch_execz .LBB6_39
; %bb.38:
	s_trap 2
	ds_write_b64 v0, v[21:22]
.LBB6_39:
	s_or_b32 exec_lo, exec_lo, s6
	s_waitcnt vmcnt(2) lgkmcnt(2)
	flat_load_dwordx2 v[64:65], v[21:22] offset:56
	s_waitcnt vmcnt(0) lgkmcnt(0)
	flat_load_dwordx2 v[80:81], v[64:65] glc dlc
	s_clause 0x1
	flat_load_dword v45, v[21:22] offset:72
	flat_load_dwordx2 v[66:67], v[21:22] offset:16
.LBB6_40:
	s_or_b32 exec_lo, exec_lo, s5
.LBB6_41:
	s_or_b32 exec_lo, exec_lo, s4
	v_cmp_eq_u32_e64 s4, 0, v0
	s_and_saveexec_b32 s5, s4
	s_cbranch_execz .LBB6_43
; %bb.42:
	flat_load_dwordx2 v[4:5], v[2:3] offset:32
	s_waitcnt lgkmcnt(1)
	v_mov_b32_e32 v8, v12
	v_mov_b32_e32 v9, v13
	ds_write2_b64 v0, v[8:9], v[10:11] offset1:1
	s_trap 2
	s_waitcnt vmcnt(0) lgkmcnt(1)
	ds_write_b64 v0, v[4:5]
	ds_write_b64 v0, v[15:16]
.LBB6_43:
	s_or_b32 exec_lo, exec_lo, s5
	s_waitcnt lgkmcnt(0)
	s_clause 0x3
	buffer_load_dword v8, off, s[0:3], s33 offset:256
	buffer_load_dword v9, off, s[0:3], s33 offset:260
	buffer_load_dword v10, off, s[0:3], s33 offset:264
	buffer_load_dword v11, off, s[0:3], s33 offset:268
	v_mov_b32_e32 v70, 0
	v_mov_b32_e32 v71, 0
	s_mov_b32 s26, exec_lo
	s_waitcnt vmcnt(2)
	v_cmpx_lt_i64_e32 0, v[8:9]
	s_cbranch_execnz .LBB6_44
; %bb.16173:
	s_getpc_b64 s[34:35]
.Lpost_getpc27:
	s_add_u32 s34, s34, (.LBB6_16122-.Lpost_getpc27)&4294967295
	s_addc_u32 s35, s35, (.LBB6_16122-.Lpost_getpc27)>>32
	s_setpc_b64 s[34:35]
.LBB6_44:
	buffer_store_dword v21, off, s[0:3], s33 offset:292 ; 4-byte Folded Spill
	buffer_store_dword v22, off, s[0:3], s33 offset:296 ; 4-byte Folded Spill
	flat_load_dword v3, v[2:3] offset:4
	v_mov_b32_e32 v2, 0
	s_waitcnt vmcnt(2)
	v_and_b32_e32 v10, 0x3ffffe00, v14
	buffer_store_dword v31, off, s[0:3], s33 offset:284 ; 4-byte Folded Spill
	buffer_store_dword v20, off, s[0:3], s33 offset:288 ; 4-byte Folded Spill
	;; [unrolled: 1-line block ×3, first 2 shown]
	s_waitcnt vmcnt(1)
	v_mov_b32_e32 v11, v2
	s_ashr_i32 s28, s25, 31
	v_and_b32_e32 v4, 31, v31
	v_and_b32_e32 v103, 31, v0
	buffer_store_dword v10, off, s[0:3], s33 offset:204 ; 4-byte Folded Spill
	buffer_store_dword v11, off, s[0:3], s33 offset:208 ; 4-byte Folded Spill
	s_add_u32 s40, s25, -1
	s_addc_u32 s41, s28, -1
	s_add_i32 s42, s25, s25
	s_not_b32 s11, s25
	s_cmp_gt_i32 s25, 0
	v_lshrrev_b32_e32 v5, 5, v0
	s_cselect_b32 s16, s11, -1
	v_cmp_eq_u32_e64 s11, 0, v4
	v_lshlrev_b32_e32 v4, 4, v103
	v_lshrrev_b32_e32 v47, 5, v19
	v_cmp_lt_u32_e64 s13, v103, v1
	v_cmp_le_u32_e64 s14, v103, v1
	v_and_b32_e32 v58, 0x1fe0, v19
	v_lshl_or_b32 v1, v5, 11, v4
	v_lshlrev_b32_e32 v76, 9, v47
	s_ashr_i32 s17, s15, 31
	s_add_i32 s43, s16, s42
	v_subrev_nc_u32_e32 v79, 32, v58
	buffer_store_dword v1, off, s[0:3], s33 offset:212 ; 4-byte Folded Spill
	s_lshr_b32 s16, s17, 25
	v_add_nc_u32_e32 v89, 0xfffffe00, v76
	s_add_i32 s15, s15, s16
	s_ashr_i32 s44, s43, 31
	s_ashr_i32 s45, s15, 7
	v_ashrrev_i32_e32 v90, 31, v79
	s_cmp_gt_i32 s25, 2
	v_ashrrev_i32_e32 v92, 31, v89
	s_cselect_b32 s46, -1, 0
	s_add_i32 s17, s25, 1
	v_add_co_u32 v93, s16, v79, 32
	v_add_co_ci_u32_e64 v94, null, 0, v90, s16
	v_add_co_u32 v95, s16, 0x200, v89
	v_cmp_ge_u32_e32 vcc_lo, v0, v19
	v_cmp_eq_u64_e64 s7, 0, v[68:69]
	v_cmp_ne_u64_e64 s10, 0, v[68:69]
	v_mov_b32_e32 v70, 0
	v_lshl_or_b32 v91, v5, 12, v4
	v_add_co_ci_u32_e64 v104, null, 0, v92, s16
	v_cmp_eq_u32_e64 s5, 32, v19
	v_cmp_ne_u32_e64 s6, 32, v19
	v_cmp_ne_u32_sdwa s29, v19, v20 src0_sel:DWORD src1_sel:WORD_0
	v_mov_b32_e32 v59, 1
	v_mov_b32_e32 v61, 0x7f
	;; [unrolled: 1-line block ×7, first 2 shown]
	v_cmp_eq_u32_e64 s12, 0, v103
	v_lshlrev_b32_e32 v75, 12, v47
	v_lshlrev_b32_e32 v77, 10, v47
	;; [unrolled: 1-line block ×3, first 2 shown]
	s_mov_b32 s27, 0
	s_trap 2
	s_waitcnt vmcnt(0) lgkmcnt(0)
	v_and_b32_e32 v1, 1, v3
	v_mov_b32_e32 v3, 0
	v_mov_b32_e32 v4, 0
	v_cmp_eq_u32_e64 s15, 1, v1
	v_mad_i64_i32 v[100:101], null, v10, s25, 0
	s_xor_b32 s47, s15, -1
	s_cmp_ge_i32 s17, s25
	buffer_store_dword v100, off, s[0:3], s33 offset:272 ; 4-byte Folded Spill
	buffer_store_dword v101, off, s[0:3], s33 offset:276 ; 4-byte Folded Spill
	s_cselect_b32 s16, s25, 0
	s_add_i32 s56, s25, -2
	s_sub_i32 s58, s17, s16
	s_xor_b32 s57, vcc_lo, -1
	s_ashr_i32 s20, s28, 31
	s_ashr_i32 s59, s58, 31
	s_sub_i32 s60, 0, s25
	s_branch .LBB6_47
.LBB6_45:                               ;   in Loop: Header=BB6_47 Depth=1
	s_or_b32 exec_lo, exec_lo, s18
.LBB6_46:                               ;   in Loop: Header=BB6_47 Depth=1
	s_or_b32 exec_lo, exec_lo, s17
	s_clause 0x5
	buffer_load_dword v3, off, s[0:3], s33 offset:236
	buffer_load_dword v4, off, s[0:3], s33 offset:240
	;; [unrolled: 1-line block ×6, first 2 shown]
	s_waitcnt vmcnt(5)
	v_add_co_u32 v3, vcc_lo, v3, v100
	s_waitcnt vmcnt(4)
	v_add_co_ci_u32_e64 v4, null, v4, v101, vcc_lo
	s_waitcnt vmcnt(2)
	v_cmp_ge_i64_e32 vcc_lo, v[3:4], v[8:9]
	s_or_b32 s27, vcc_lo, s27
	s_andn2_b32 exec_lo, exec_lo, s27
	s_cbranch_execnz .LBB6_47
; %bb.16175:
	s_getpc_b64 s[34:35]
.Lpost_getpc28:
	s_add_u32 s34, s34, (.LBB6_16121-.Lpost_getpc28)&4294967295
	s_addc_u32 s35, s35, (.LBB6_16121-.Lpost_getpc28)>>32
	s_setpc_b64 s[34:35]
.LBB6_47:                               ; =>This Loop Header: Depth=1
                                        ;     Child Loop BB6_57 Depth 2
                                        ;       Child Loop BB6_65 Depth 3
                                        ;       Child Loop BB6_89 Depth 3
	;; [unrolled: 1-line block ×9, first 2 shown]
                                        ;     Child Loop BB6_197 Depth 2
                                        ;       Child Loop BB6_203 Depth 3
                                        ;       Child Loop BB6_227 Depth 3
	;; [unrolled: 1-line block ×3, first 2 shown]
                                        ;     Child Loop BB6_269 Depth 2
                                        ;       Child Loop BB6_272 Depth 3
                                        ;         Child Loop BB6_280 Depth 4
                                        ;         Child Loop BB6_308 Depth 4
	;; [unrolled: 1-line block ×9, first 2 shown]
                                        ;       Child Loop BB6_5388 Depth 3
                                        ;         Child Loop BB6_5394 Depth 4
                                        ;         Child Loop BB6_5422 Depth 4
	;; [unrolled: 1-line block ×3, first 2 shown]
                                        ;     Child Loop BB6_5463 Depth 2
                                        ;       Child Loop BB6_5471 Depth 3
                                        ;       Child Loop BB6_5499 Depth 3
	;; [unrolled: 1-line block ×5, first 2 shown]
                                        ;         Child Loop BB6_8943 Depth 4
                                        ;       Child Loop BB6_9081 Depth 3
                                        ;       Child Loop BB6_10491 Depth 3
                                        ;         Child Loop BB6_10528 Depth 4
                                        ;       Child Loop BB6_10551 Depth 3
                                        ;       Child Loop BB6_13372 Depth 3
	;; [unrolled: 1-line block ×6, first 2 shown]
                                        ;     Child Loop BB6_15584 Depth 2
                                        ;       Child Loop BB6_15590 Depth 3
                                        ;       Child Loop BB6_15618 Depth 3
	;; [unrolled: 1-line block ×3, first 2 shown]
                                        ;     Child Loop BB6_15659 Depth 2
                                        ;       Child Loop BB6_15662 Depth 3
                                        ;         Child Loop BB6_15670 Depth 4
                                        ;         Child Loop BB6_15698 Depth 4
	;; [unrolled: 1-line block ×5, first 2 shown]
                                        ;           Child Loop BB6_15750 Depth 5
                                        ;         Child Loop BB6_15757 Depth 4
                                        ;         Child Loop BB6_15762 Depth 4
                                        ;           Child Loop BB6_15763 Depth 5
                                        ;         Child Loop BB6_15775 Depth 4
                                        ;         Child Loop BB6_15780 Depth 4
	;; [unrolled: 1-line block ×6, first 2 shown]
                                        ;       Child Loop BB6_15839 Depth 3
                                        ;         Child Loop BB6_15845 Depth 4
                                        ;         Child Loop BB6_15873 Depth 4
	;; [unrolled: 1-line block ×3, first 2 shown]
                                        ;     Child Loop BB6_15917 Depth 2
                                        ;       Child Loop BB6_15925 Depth 3
                                        ;       Child Loop BB6_15949 Depth 3
	;; [unrolled: 1-line block ×9, first 2 shown]
                                        ;     Child Loop BB6_16055 Depth 2
                                        ;       Child Loop BB6_16061 Depth 3
                                        ;       Child Loop BB6_16085 Depth 3
                                        ;       Child Loop BB6_16108 Depth 3
	v_sub_co_u32 v8, vcc_lo, v8, v3
	buffer_store_dword v3, off, s[0:3], s33 offset:236 ; 4-byte Folded Spill
	buffer_store_dword v4, off, s[0:3], s33 offset:240 ; 4-byte Folded Spill
	s_mov_b32 s17, exec_lo
	v_sub_co_ci_u32_e64 v9, null, v9, v4, vcc_lo
	buffer_store_dword v8, off, s[0:3], s33 offset:196 ; 4-byte Folded Spill
	buffer_store_dword v9, off, s[0:3], s33 offset:200 ; 4-byte Folded Spill
	v_cmpx_lt_i64_e64 v[8:9], v[100:101]
	s_cbranch_execz .LBB6_53
; %bb.48:                               ;   in Loop: Header=BB6_47 Depth=1
	s_clause 0x1
	buffer_load_dword v3, off, s[0:3], s33 offset:196
	buffer_load_dword v4, off, s[0:3], s33 offset:200
                                        ; implicit-def: $vgpr8_vgpr9
	s_mov_b32 s16, exec_lo
	s_waitcnt vmcnt(1)
	v_add_co_u32 v1, vcc_lo, s40, v3
	s_waitcnt vmcnt(0)
	v_add_co_ci_u32_e64 v4, null, s41, v4, vcc_lo
	v_or_b32_e32 v3, s28, v4
	v_cmpx_ne_u64_e32 0, v[2:3]
	s_xor_b32 s22, exec_lo, s16
	s_cbranch_execz .LBB6_50
; %bb.49:                               ;   in Loop: Header=BB6_47 Depth=1
	s_add_u32 s18, s25, s20
	s_mov_b32 s21, s20
	s_addc_u32 s19, s28, s20
	v_ashrrev_i32_e32 v12, 31, v4
	s_xor_b64 s[18:19], s[18:19], s[20:21]
	v_cvt_f32_u32_e32 v3, s18
	v_cvt_f32_u32_e32 v5, s19
	s_sub_u32 s16, 0, s18
	s_subb_u32 s61, 0, s19
	v_add_co_u32 v1, vcc_lo, v1, v12
	v_fmac_f32_e32 v3, 0x4f800000, v5
	v_xor_b32_e32 v1, v1, v12
	v_rcp_f32_e32 v3, v3
	v_mul_f32_e32 v3, 0x5f7ffffc, v3
	v_mul_f32_e32 v5, 0x2f800000, v3
	v_trunc_f32_e32 v5, v5
	v_fmac_f32_e32 v3, 0xcf800000, v5
	v_cvt_u32_f32_e32 v5, v5
	v_cvt_u32_f32_e32 v3, v3
	v_readfirstlane_b32 s21, v5
	v_readfirstlane_b32 s23, v3
	s_mul_i32 s62, s16, s21
	v_add_co_ci_u32_e64 v3, null, v4, v12, vcc_lo
	s_mul_hi_u32 s72, s16, s23
	s_mul_i32 s63, s61, s23
	s_add_i32 s62, s72, s62
	s_mul_i32 s73, s16, s23
	s_add_i32 s62, s62, s63
	s_mul_hi_u32 s72, s23, s73
	s_mul_i32 s75, s23, s62
	s_mul_hi_u32 s74, s21, s73
	s_mul_i32 s63, s21, s73
	s_mul_hi_u32 s73, s23, s62
	s_add_u32 s72, s72, s75
	s_addc_u32 s73, 0, s73
	s_mul_hi_u32 s76, s21, s62
	s_add_u32 s63, s72, s63
	s_mul_i32 s62, s21, s62
	s_addc_u32 s63, s73, s74
	s_addc_u32 s72, s76, 0
	s_add_u32 s62, s63, s62
	s_addc_u32 s63, 0, s72
	s_add_u32 s23, s23, s62
	s_cselect_b32 s62, -1, 0
	s_mul_hi_u32 s72, s16, s23
	s_cmp_lg_u32 s62, 0
	s_mul_i32 s62, s16, s23
	s_addc_u32 s21, s21, s63
	s_mul_i32 s61, s61, s23
	s_mul_i32 s16, s16, s21
	s_mul_hi_u32 s63, s23, s62
	s_add_i32 s16, s72, s16
	s_mul_hi_u32 s72, s21, s62
	s_add_i32 s16, s16, s61
	s_mul_i32 s61, s21, s62
	s_mul_i32 s74, s23, s16
	s_mul_hi_u32 s73, s23, s16
	s_add_u32 s63, s63, s74
	s_addc_u32 s73, 0, s73
	s_mul_hi_u32 s62, s21, s16
	s_add_u32 s61, s63, s61
	s_mul_i32 s16, s21, s16
	s_addc_u32 s61, s73, s72
	s_addc_u32 s62, s62, 0
	s_add_u32 s16, s61, s16
	s_addc_u32 s61, 0, s62
	s_add_u32 s16, s23, s16
	s_cselect_b32 s23, -1, 0
	v_xor_b32_e32 v5, v3, v12
	s_cmp_lg_u32 s23, 0
	v_mul_hi_u32 v13, v1, s16
	s_addc_u32 s21, s21, s61
	v_mad_u64_u32 v[3:4], null, v1, s21, 0
	v_mad_u64_u32 v[8:9], null, v5, s16, 0
	;; [unrolled: 1-line block ×3, first 2 shown]
	v_add_co_u32 v3, vcc_lo, v13, v3
	v_add_co_ci_u32_e64 v4, null, 0, v4, vcc_lo
	v_add_co_u32 v3, vcc_lo, v3, v8
	v_add_co_ci_u32_e32 v3, vcc_lo, v4, v9, vcc_lo
	v_add_co_ci_u32_e32 v4, vcc_lo, 0, v11, vcc_lo
	v_add_co_u32 v8, vcc_lo, v3, v10
	v_add_co_ci_u32_e64 v9, null, 0, v4, vcc_lo
	v_mul_lo_u32 v10, s19, v8
	v_mad_u64_u32 v[3:4], null, s18, v8, 0
	v_mul_lo_u32 v11, s18, v9
	v_sub_co_u32 v1, vcc_lo, v1, v3
	v_add3_u32 v4, v4, v11, v10
	v_sub_nc_u32_e32 v10, v5, v4
	v_sub_co_ci_u32_e64 v4, null, v5, v4, vcc_lo
	v_subrev_co_ci_u32_e64 v3, null, s19, v10, vcc_lo
	v_add_co_u32 v10, s16, v8, 2
	v_add_co_ci_u32_e64 v11, null, 0, v9, s16
	v_sub_co_u32 v13, s16, v1, s18
	v_subrev_co_ci_u32_e64 v3, null, 0, v3, s16
	v_cmp_le_u32_e32 vcc_lo, s18, v13
	v_cndmask_b32_e64 v5, 0, -1, vcc_lo
	v_cmp_le_u32_e32 vcc_lo, s19, v3
	v_cndmask_b32_e64 v13, 0, -1, vcc_lo
	;; [unrolled: 2-line block ×3, first 2 shown]
	v_cmp_le_u32_e32 vcc_lo, s19, v4
	s_waitcnt lgkmcnt(1)
	v_cndmask_b32_e64 v14, 0, -1, vcc_lo
	v_cmp_eq_u32_e32 vcc_lo, s19, v3
	v_cndmask_b32_e32 v3, v13, v5, vcc_lo
	v_add_co_u32 v5, vcc_lo, v8, 1
	v_add_co_ci_u32_e64 v13, null, 0, v9, vcc_lo
	v_cmp_eq_u32_e32 vcc_lo, s19, v4
	v_xor_b32_e32 v4, s20, v12
	v_cndmask_b32_e32 v1, v14, v1, vcc_lo
	v_cmp_ne_u32_e32 vcc_lo, 0, v3
	v_cmp_ne_u32_e64 s16, 0, v1
	v_cndmask_b32_e32 v1, v5, v10, vcc_lo
	v_cndmask_b32_e32 v3, v13, v11, vcc_lo
	v_cndmask_b32_e64 v1, v8, v1, s16
	v_cndmask_b32_e64 v3, v9, v3, s16
	v_xor_b32_e32 v1, v1, v4
	v_xor_b32_e32 v3, v3, v4
	v_sub_co_u32 v8, vcc_lo, v1, v4
	v_sub_co_ci_u32_e64 v9, null, v3, v4, vcc_lo
                                        ; implicit-def: $vgpr1
.LBB6_50:                               ;   in Loop: Header=BB6_47 Depth=1
	s_andn2_saveexec_b32 s16, s22
	s_cbranch_execz .LBB6_52
; %bb.51:                               ;   in Loop: Header=BB6_47 Depth=1
	v_cvt_f32_u32_e32 v3, s25
	v_mov_b32_e32 v9, v2
	v_rcp_iflag_f32_e32 v3, v3
	v_mul_f32_e32 v3, 0x4f7ffffe, v3
	v_cvt_u32_f32_e32 v3, v3
	v_mul_lo_u32 v4, s60, v3
	v_mul_hi_u32 v4, v3, v4
	v_add_nc_u32_e32 v3, v3, v4
	v_mul_hi_u32 v3, v1, v3
	v_mul_lo_u32 v4, v3, s25
	v_sub_nc_u32_e32 v1, v1, v4
	v_add_nc_u32_e32 v4, 1, v3
	v_subrev_nc_u32_e32 v5, s25, v1
	v_cmp_le_u32_e32 vcc_lo, s25, v1
	v_cndmask_b32_e32 v1, v1, v5, vcc_lo
	v_cndmask_b32_e32 v3, v3, v4, vcc_lo
	v_cmp_le_u32_e32 vcc_lo, s25, v1
	v_add_nc_u32_e32 v4, 1, v3
	v_cndmask_b32_e32 v8, v3, v4, vcc_lo
.LBB6_52:                               ;   in Loop: Header=BB6_47 Depth=1
	s_or_b32 exec_lo, exec_lo, s16
	v_add_co_u32 v1, vcc_lo, v8, 15
	v_add_co_ci_u32_e64 v4, null, 0, v9, vcc_lo
	v_and_b32_e32 v3, -16, v1
	buffer_store_dword v3, off, s[0:3], s33 offset:204 ; 4-byte Folded Spill
	buffer_store_dword v4, off, s[0:3], s33 offset:208 ; 4-byte Folded Spill
.LBB6_53:                               ;   in Loop: Header=BB6_47 Depth=1
	s_or_b32 exec_lo, exec_lo, s17
	s_clause 0x1
	buffer_load_dword v8, off, s[0:3], s33 offset:204
	buffer_load_dword v9, off, s[0:3], s33 offset:208
	s_waitcnt vmcnt(1)
	v_mul_lo_u32 v3, v8, s44
	s_waitcnt vmcnt(0)
	v_mul_lo_u32 v1, v9, s43
	v_mad_u64_u32 v[10:11], null, v8, s43, 0
	v_add3_u32 v11, v11, v3, v1
	s_clause 0x1
	buffer_load_dword v3, off, s[0:3], s33 offset:196
	buffer_load_dword v4, off, s[0:3], s33 offset:200
	s_waitcnt vmcnt(1)
	v_sub_co_u32 v3, vcc_lo, v3, v10
	s_waitcnt vmcnt(0)
	v_sub_co_ci_u32_e64 v4, null, v4, v11, vcc_lo
	v_cmp_lt_i64_e32 vcc_lo, v[8:9], v[3:4]
	v_cndmask_b32_e32 v4, v3, v8, vcc_lo
	s_clause 0x3
	buffer_load_dword v8, off, s[0:3], s33 offset:248
	buffer_load_dword v9, off, s[0:3], s33 offset:252
	;; [unrolled: 1-line block ×4, first 2 shown]
	v_max_i32_e32 v1, 0, v4
	v_add_nc_u32_e32 v3, 31, v1
	v_lshrrev_b32_e32 v3, 1, v3
	v_and_b32_e32 v5, 0x3ffffff0, v3
	s_waitcnt vmcnt(1)
	v_add_co_u32 v3, vcc_lo, v12, v8
	v_max_i32_e32 v8, s45, v5
	buffer_store_dword v3, off, s[0:3], s33 offset:188 ; 4-byte Folded Spill
	s_waitcnt vmcnt(0)
	v_add_co_ci_u32_e64 v3, null, v13, v9, vcc_lo
	v_cmp_lt_i32_e32 vcc_lo, 0, v4
	v_mov_b32_e32 v4, 0
	buffer_store_dword v3, off, s[0:3], s33 offset:192 ; 4-byte Folded Spill
	v_mov_b32_e32 v3, 0
	s_and_b32 s16, s57, vcc_lo
	s_and_saveexec_b32 s18, s16
	s_cbranch_execz .LBB6_193
; %bb.54:                               ;   in Loop: Header=BB6_47 Depth=1
	v_mov_b32_e32 v4, 0
	s_mov_b32 s22, 1
	s_mov_b32 s21, -1
	s_mov_b32 s19, 0
	s_branch .LBB6_57
.LBB6_55:                               ;   in Loop: Header=BB6_57 Depth=2
	s_or_b32 exec_lo, exec_lo, s17
	v_add_co_u32 v96, vcc_lo, v96, 2
	v_add_co_ci_u32_e64 v97, null, 0, v97, vcc_lo
	s_waitcnt vmcnt(0) lgkmcnt(0)
	s_waitcnt_vscnt null, 0x0
	flat_store_dwordx2 v[64:65], v[96:97]
.LBB6_56:                               ;   in Loop: Header=BB6_57 Depth=2
	s_or_b32 exec_lo, exec_lo, s16
	v_add_nc_u32_e32 v4, v8, v4
	s_xor_b32 s16, s21, -1
	v_mov_b32_e32 v3, s22
	s_mov_b32 s21, 0
	s_mov_b32 s22, 2
	v_cmp_ge_i32_e32 vcc_lo, v4, v1
	s_or_b32 s16, s16, vcc_lo
	s_and_b32 s16, exec_lo, s16
	s_or_b32 s19, s16, s19
	s_andn2_b32 exec_lo, exec_lo, s19
	s_cbranch_execz .LBB6_192
.LBB6_57:                               ;   Parent Loop BB6_47 Depth=1
                                        ; =>  This Loop Header: Depth=2
                                        ;       Child Loop BB6_65 Depth 3
                                        ;       Child Loop BB6_89 Depth 3
	;; [unrolled: 1-line block ×9, first 2 shown]
	s_and_saveexec_b32 s16, s4
	s_cbranch_execz .LBB6_59
; %bb.58:                               ;   in Loop: Header=BB6_57 Depth=2
	s_trap 2
	s_clause 0x1
	buffer_load_dword v3, off, s[0:3], s33 offset:188
	buffer_load_dword v5, off, s[0:3], s33 offset:192
	ds_read_b64 v[12:13], v0
	v_ashrrev_i32_e32 v9, 31, v4
	s_waitcnt vmcnt(1) lgkmcnt(0)
	v_add_co_u32 v3, vcc_lo, v12, v3
	s_waitcnt vmcnt(0)
	v_add_co_ci_u32_e64 v5, null, v13, v5, vcc_lo
	v_add_co_u32 v3, vcc_lo, v3, v10
	v_add_co_ci_u32_e64 v5, null, v5, v11, vcc_lo
	v_add_co_u32 v12, vcc_lo, v3, v4
	v_add_co_ci_u32_e64 v13, null, v5, v9, vcc_lo
	v_mov_b32_e32 v3, v2
	ds_write_b64 v0, v[12:13]
	ds_write_b64 v0, v[2:3]
.LBB6_59:                               ;   in Loop: Header=BB6_57 Depth=2
	s_or_b32 exec_lo, exec_lo, s16
	v_sub_nc_u32_e32 v3, v1, v4
	v_and_b32_e32 v5, 8, v44
	s_mov_b32 s17, exec_lo
	v_min_i32_e32 v8, v8, v3
	v_cmpx_ne_u32_e32 0, v5
	s_cbranch_execz .LBB6_81
; %bb.60:                               ;   in Loop: Header=BB6_57 Depth=2
	s_waitcnt vmcnt(0) lgkmcnt(1)
	v_add_co_u32 v14, vcc_lo, v80, 8
	v_add_co_ci_u32_e64 v15, null, 0, v81, vcc_lo
	v_add_co_u32 v12, vcc_lo, v96, 2
	v_add_co_ci_u32_e64 v13, null, 0, v97, vcc_lo
	s_mov_b32 s23, exec_lo
	v_cmpx_lt_u64_e64 v[14:15], v[12:13]
	s_cbranch_execz .LBB6_72
; %bb.61:                               ;   in Loop: Header=BB6_57 Depth=2
	v_and_b32_e32 v3, 64, v44
	s_mov_b32 s61, 0
	s_mov_b32 s73, 0
                                        ; implicit-def: $sgpr62
                                        ; implicit-def: $sgpr63
                                        ; implicit-def: $sgpr72
	v_cmp_eq_u32_e32 vcc_lo, 0, v3
	s_branch .LBB6_65
.LBB6_62:                               ;   in Loop: Header=BB6_65 Depth=3
	s_waitcnt vmcnt(0) lgkmcnt(0)
	v_add_co_u32 v14, s16, v80, 8
	v_add_co_ci_u32_e64 v15, null, 0, v81, s16
	s_or_b32 s76, s76, exec_lo
	v_cmp_ge_u64_e64 s16, v[14:15], v[12:13]
	s_orn2_b32 s75, s16, exec_lo
.LBB6_63:                               ;   in Loop: Header=BB6_65 Depth=3
	s_or_b32 exec_lo, exec_lo, s78
	s_andn2_b32 s16, s72, exec_lo
	s_and_b32 s72, s76, exec_lo
	s_andn2_b32 s63, s63, exec_lo
	s_and_b32 s75, s75, exec_lo
	s_or_b32 s72, s16, s72
	s_or_b32 s63, s63, s75
.LBB6_64:                               ;   in Loop: Header=BB6_65 Depth=3
	s_or_b32 exec_lo, exec_lo, s74
	s_and_b32 s16, exec_lo, s63
	s_or_b32 s61, s16, s61
	s_andn2_b32 s16, s62, exec_lo
	s_and_b32 s62, s72, exec_lo
	s_or_b32 s62, s16, s62
	s_andn2_b32 exec_lo, exec_lo, s61
	s_cbranch_execz .LBB6_69
.LBB6_65:                               ;   Parent Loop BB6_47 Depth=1
                                        ;     Parent Loop BB6_57 Depth=2
                                        ; =>    This Inner Loop Header: Depth=3
	s_sleep 1
	s_waitcnt vmcnt(0) lgkmcnt(0)
	flat_load_dwordx2 v[80:81], v[64:65] glc dlc
	s_or_b32 s72, s72, exec_lo
	s_or_b32 s63, s63, exec_lo
                                        ; implicit-def: $vgpr3
	s_and_saveexec_b32 s74, vcc_lo
	s_cbranch_execz .LBB6_64
; %bb.66:                               ;   in Loop: Header=BB6_65 Depth=3
	s_cmpk_lt_i32 s73, 0x270f
	s_mov_b32 s75, -1
	s_cselect_b32 s77, -1, 0
	s_cmpk_gt_i32 s73, 0x270e
	s_cbranch_scc0 .LBB6_68
; %bb.67:                               ;   in Loop: Header=BB6_65 Depth=3
	s_trap 2
	ds_read_b64 v[14:15], v0
	s_andn2_b32 s73, s77, exec_lo
	s_mov_b32 s76, 0
	s_waitcnt vmcnt(0) lgkmcnt(0)
	s_waitcnt_vscnt null, 0x0
	flat_load_dword v3, v[14:15] glc dlc
	s_waitcnt vmcnt(0) lgkmcnt(0)
	buffer_gl1_inv
	buffer_gl0_inv
	v_cmp_eq_u32_e64 s16, 0, v3
	s_and_b32 s16, s16, exec_lo
	s_or_b32 s77, s73, s16
	s_mov_b32 s73, 0
	s_and_saveexec_b32 s78, s77
	s_cbranch_execz .LBB6_63
	s_branch .LBB6_62
.LBB6_68:                               ;   in Loop: Header=BB6_65 Depth=3
	s_add_i32 s73, s73, 1
	s_mov_b32 s76, -1
                                        ; implicit-def: $vgpr3
	s_and_saveexec_b32 s78, s77
	s_cbranch_execz .LBB6_63
	s_branch .LBB6_62
.LBB6_69:                               ;   in Loop: Header=BB6_57 Depth=2
	s_or_b32 exec_lo, exec_lo, s61
	s_xor_b32 s16, s62, -1
	s_and_saveexec_b32 s61, s16
	s_xor_b32 s16, exec_lo, s61
	s_cbranch_execz .LBB6_71
; %bb.70:                               ;   in Loop: Header=BB6_57 Depth=2
	v_or_b32_e32 v44, 64, v44
	s_waitcnt vmcnt(0) lgkmcnt(0)
	s_waitcnt_vscnt null, 0x0
	ds_write_b32 v0, v3
	s_trap 2
.LBB6_71:                               ;   in Loop: Header=BB6_57 Depth=2
	s_or_b32 exec_lo, exec_lo, s16
.LBB6_72:                               ;   in Loop: Header=BB6_57 Depth=2
	s_or_b32 exec_lo, exec_lo, s23
	v_and_b32_e32 v3, 0x100, v44
	s_mov_b32 s16, -1
	;;#ASMSTART
	s_wakeup
	;;#ASMEND
                                        ; implicit-def: $vgpr14_vgpr15
	v_cmp_ne_u32_e32 vcc_lo, 0, v3
	v_and_b32_e32 v3, 7, v96
	s_and_saveexec_b32 s23, vcc_lo
	s_cbranch_execz .LBB6_76
; %bb.73:                               ;   in Loop: Header=BB6_57 Depth=2
	v_mad_u64_u32 v[16:17], null, v3, 24, v[6:7]
	v_ashrrev_i32_e32 v9, 31, v8
	s_mov_b32 s61, exec_lo
                                        ; implicit-def: $vgpr14_vgpr15
	flat_load_dword v5, v[16:17]
	flat_store_dwordx2 v[16:17], v[8:9] offset:8
	s_waitcnt vmcnt(0) lgkmcnt(1)
	v_cmp_ne_u32_e32 vcc_lo, 1, v5
	v_cmpx_eq_u32_e32 1, v5
	s_cbranch_execz .LBB6_75
; %bb.74:                               ;   in Loop: Header=BB6_57 Depth=2
	flat_load_dword v14, v[16:17] offset:4 glc dlc
	s_waitcnt vmcnt(0) lgkmcnt(0)
	v_ashrrev_i32_e32 v15, 31, v14
.LBB6_75:                               ;   in Loop: Header=BB6_57 Depth=2
	s_or_b32 exec_lo, exec_lo, s61
	s_orn2_b32 s16, vcc_lo, exec_lo
.LBB6_76:                               ;   in Loop: Header=BB6_57 Depth=2
	s_or_b32 exec_lo, exec_lo, s23
	s_and_saveexec_b32 s23, s16
; %bb.77:                               ;   in Loop: Header=BB6_57 Depth=2
	v_mad_i64_i32 v[14:15], null, v3, v45, 0
; %bb.78:                               ;   in Loop: Header=BB6_57 Depth=2
	s_or_b32 exec_lo, exec_lo, s23
	v_add_co_u32 v14, vcc_lo, v66, v14
	v_and_b32_e32 v3, 0x2000, v44
	v_add_co_ci_u32_e64 v15, null, v67, v15, vcc_lo
	s_mov_b32 s16, exec_lo
	ds_write_b64 v0, v[14:15] offset:784
	v_cmpx_ne_u32_e32 0, v3
	s_cbranch_execz .LBB6_80
; %bb.79:                               ;   in Loop: Header=BB6_57 Depth=2
	ds_read_b64 v[14:15], v0 offset:872
	s_waitcnt lgkmcnt(0)
	v_add_co_u32 v14, vcc_lo, v14, 1
	v_add_co_ci_u32_e64 v15, null, 0, v15, vcc_lo
	ds_write_b64 v0, v[14:15] offset:872
.LBB6_80:                               ;   in Loop: Header=BB6_57 Depth=2
	s_or_b32 exec_lo, exec_lo, s16
	v_mov_b32_e32 v97, v13
	v_mov_b32_e32 v96, v12
.LBB6_81:                               ;   in Loop: Header=BB6_57 Depth=2
	s_or_b32 exec_lo, exec_lo, s17
	s_and_saveexec_b32 s16, s6
	s_cbranch_execz .LBB6_100
; %bb.82:                               ;   in Loop: Header=BB6_57 Depth=2
	s_and_saveexec_b32 s17, s29
	s_xor_b32 s17, exec_lo, s17
	s_cbranch_execz .LBB6_97
; %bb.83:                               ;   in Loop: Header=BB6_57 Depth=2
	s_and_saveexec_b32 s23, s11
	s_cbranch_execz .LBB6_96
; %bb.84:                               ;   in Loop: Header=BB6_57 Depth=2
	s_mov_b32 s62, exec_lo
	s_mov_b32 s61, exec_lo
	v_mbcnt_lo_u32_b32 v3, s62, 0
	s_waitcnt vmcnt(0) lgkmcnt(0)
	s_waitcnt_vscnt null, 0x0
	buffer_gl1_inv
	buffer_gl0_inv
	v_cmpx_eq_u32_e32 0, v3
	s_cbranch_execz .LBB6_86
; %bb.85:                               ;   in Loop: Header=BB6_57 Depth=2
	s_bcnt1_i32_b32 s62, s62
	v_mov_b32_e32 v13, v2
	v_mov_b32_e32 v12, s62
	ds_add_u64 v0, v[12:13]
	s_trap 2
.LBB6_86:                               ;   in Loop: Header=BB6_57 Depth=2
	s_or_b32 exec_lo, exec_lo, s61
	s_trap 2
	ds_read_b64 v[12:13], v0
	s_waitcnt lgkmcnt(0)
	buffer_gl0_inv
	v_add_co_u32 v70, vcc_lo, v70, v47
	v_add_co_ci_u32_e64 v71, null, 0, v71, vcc_lo
	s_mov_b32 s61, exec_lo
	v_cmpx_lt_u64_e64 v[12:13], v[70:71]
	s_cbranch_execz .LBB6_95
; %bb.87:                               ;   in Loop: Header=BB6_57 Depth=2
	s_mov_b32 s62, 0
	s_mov_b32 s73, 0
                                        ; implicit-def: $sgpr63
                                        ; implicit-def: $sgpr72
	s_inst_prefetch 0x1
	s_branch .LBB6_89
	.p2align	6
.LBB6_88:                               ;   in Loop: Header=BB6_89 Depth=3
	s_or_b32 exec_lo, exec_lo, s75
	s_and_b32 s74, exec_lo, s76
	s_or_b32 s62, s74, s62
	s_andn2_b32 s63, s63, exec_lo
	s_and_b32 s74, s72, exec_lo
	s_or_b32 s63, s63, s74
	s_andn2_b32 exec_lo, exec_lo, s62
	s_cbranch_execz .LBB6_93
.LBB6_89:                               ;   Parent Loop BB6_47 Depth=1
                                        ;     Parent Loop BB6_57 Depth=2
                                        ; =>    This Inner Loop Header: Depth=3
	s_add_i32 s73, s73, 1
	s_cmpk_lg_i32 s73, 0x2710
	s_cselect_b32 s74, -1, 0
	s_and_b32 vcc_lo, exec_lo, s74
	s_cbranch_vccz .LBB6_91
; %bb.90:                               ;   in Loop: Header=BB6_89 Depth=3
	s_mov_b32 s76, -1
	s_or_b32 s72, s72, exec_lo
	s_and_saveexec_b32 s75, s74
	s_cbranch_execz .LBB6_88
	s_branch .LBB6_92
	.p2align	6
.LBB6_91:                               ;   in Loop: Header=BB6_89 Depth=3
	s_trap 2
	ds_read_b64 v[12:13], v0
	s_andn2_b32 s74, s74, exec_lo
	s_mov_b32 s73, 0
	s_waitcnt lgkmcnt(0)
	flat_load_dword v3, v[12:13] glc dlc
	s_waitcnt vmcnt(0) lgkmcnt(0)
	buffer_gl1_inv
	buffer_gl0_inv
	v_cmp_eq_u32_e32 vcc_lo, 0, v3
	s_and_b32 s75, vcc_lo, exec_lo
	s_or_b32 s74, s74, s75
	s_mov_b32 s76, -1
	s_or_b32 s72, s72, exec_lo
	s_and_saveexec_b32 s75, s74
	s_cbranch_execz .LBB6_88
.LBB6_92:                               ;   in Loop: Header=BB6_89 Depth=3
	s_sleep 1
	s_trap 2
	ds_read_b64 v[12:13], v0
	s_waitcnt lgkmcnt(0)
	buffer_gl0_inv
	s_andn2_b32 s72, s72, exec_lo
	v_cmp_ge_u64_e32 vcc_lo, v[12:13], v[70:71]
	s_orn2_b32 s76, vcc_lo, exec_lo
	s_branch .LBB6_88
.LBB6_93:                               ;   in Loop: Header=BB6_57 Depth=2
	s_inst_prefetch 0x2
	s_or_b32 exec_lo, exec_lo, s62
	s_and_saveexec_b32 s62, s63
	s_xor_b32 s62, exec_lo, s62
	s_cbranch_execz .LBB6_95
; %bb.94:                               ;   in Loop: Header=BB6_57 Depth=2
	ds_write_b32 v0, v59
	s_trap 2
.LBB6_95:                               ;   in Loop: Header=BB6_57 Depth=2
	s_or_b32 exec_lo, exec_lo, s61
	;;#ASMSTART
	s_wakeup
	;;#ASMEND
.LBB6_96:                               ;   in Loop: Header=BB6_57 Depth=2
	s_or_b32 exec_lo, exec_lo, s23
.LBB6_97:                               ;   in Loop: Header=BB6_57 Depth=2
	s_andn2_saveexec_b32 s17, s17
	s_cbranch_execz .LBB6_99
; %bb.98:                               ;   in Loop: Header=BB6_57 Depth=2
	s_waitcnt vmcnt(0) lgkmcnt(0)
	s_waitcnt_vscnt null, 0x0
	buffer_gl1_inv
	buffer_gl0_inv
	s_barrier
.LBB6_99:                               ;   in Loop: Header=BB6_57 Depth=2
	s_or_b32 exec_lo, exec_lo, s17
.LBB6_100:                              ;   in Loop: Header=BB6_57 Depth=2
	s_or_b32 exec_lo, exec_lo, s16
	s_trap 2
	ds_read_b32 v3, v0
	v_and_b32_e32 v5, 0x4000, v44
	s_xor_b32 s16, s5, -1
	v_cmp_ne_u32_e32 vcc_lo, 0, v5
	s_and_b32 s17, s16, vcc_lo
	s_and_saveexec_b32 s16, s17
	s_cbranch_execz .LBB6_119
; %bb.101:                              ;   in Loop: Header=BB6_57 Depth=2
	s_and_saveexec_b32 s17, s29
	s_xor_b32 s17, exec_lo, s17
	s_cbranch_execz .LBB6_116
; %bb.102:                              ;   in Loop: Header=BB6_57 Depth=2
	s_and_saveexec_b32 s23, s11
	s_cbranch_execz .LBB6_115
; %bb.103:                              ;   in Loop: Header=BB6_57 Depth=2
	s_mov_b32 s62, exec_lo
	s_mov_b32 s61, exec_lo
	v_mbcnt_lo_u32_b32 v5, s62, 0
	s_waitcnt vmcnt(0) lgkmcnt(0)
	s_waitcnt_vscnt null, 0x0
	buffer_gl1_inv
	buffer_gl0_inv
	v_cmpx_eq_u32_e32 0, v5
	s_cbranch_execz .LBB6_105
; %bb.104:                              ;   in Loop: Header=BB6_57 Depth=2
	s_bcnt1_i32_b32 s62, s62
	v_mov_b32_e32 v13, v2
	v_mov_b32_e32 v12, s62
	ds_add_u64 v0, v[12:13]
	s_trap 2
.LBB6_105:                              ;   in Loop: Header=BB6_57 Depth=2
	s_or_b32 exec_lo, exec_lo, s61
	s_trap 2
	ds_read_b64 v[12:13], v0
	s_waitcnt lgkmcnt(0)
	buffer_gl0_inv
	v_add_co_u32 v70, vcc_lo, v70, v47
	v_add_co_ci_u32_e64 v71, null, 0, v71, vcc_lo
	s_mov_b32 s61, exec_lo
	v_cmpx_lt_u64_e64 v[12:13], v[70:71]
	s_cbranch_execz .LBB6_114
; %bb.106:                              ;   in Loop: Header=BB6_57 Depth=2
	s_mov_b32 s62, 0
	s_mov_b32 s73, 0
                                        ; implicit-def: $sgpr63
                                        ; implicit-def: $sgpr72
	s_inst_prefetch 0x1
	s_branch .LBB6_108
	.p2align	6
.LBB6_107:                              ;   in Loop: Header=BB6_108 Depth=3
	s_or_b32 exec_lo, exec_lo, s75
	s_and_b32 s74, exec_lo, s76
	s_or_b32 s62, s74, s62
	s_andn2_b32 s63, s63, exec_lo
	s_and_b32 s74, s72, exec_lo
	s_or_b32 s63, s63, s74
	s_andn2_b32 exec_lo, exec_lo, s62
	s_cbranch_execz .LBB6_112
.LBB6_108:                              ;   Parent Loop BB6_47 Depth=1
                                        ;     Parent Loop BB6_57 Depth=2
                                        ; =>    This Inner Loop Header: Depth=3
	s_add_i32 s73, s73, 1
	s_cmpk_lg_i32 s73, 0x2710
	s_cselect_b32 s74, -1, 0
	s_and_b32 vcc_lo, exec_lo, s74
	s_cbranch_vccz .LBB6_110
; %bb.109:                              ;   in Loop: Header=BB6_108 Depth=3
	s_mov_b32 s76, -1
	s_or_b32 s72, s72, exec_lo
	s_and_saveexec_b32 s75, s74
	s_cbranch_execz .LBB6_107
	s_branch .LBB6_111
	.p2align	6
.LBB6_110:                              ;   in Loop: Header=BB6_108 Depth=3
	s_trap 2
	ds_read_b64 v[12:13], v0
	s_andn2_b32 s74, s74, exec_lo
	s_mov_b32 s73, 0
	s_waitcnt lgkmcnt(0)
	flat_load_dword v5, v[12:13] glc dlc
	s_waitcnt vmcnt(0) lgkmcnt(0)
	buffer_gl1_inv
	buffer_gl0_inv
	v_cmp_eq_u32_e32 vcc_lo, 0, v5
	s_and_b32 s75, vcc_lo, exec_lo
	s_or_b32 s74, s74, s75
	s_mov_b32 s76, -1
	s_or_b32 s72, s72, exec_lo
	s_and_saveexec_b32 s75, s74
	s_cbranch_execz .LBB6_107
.LBB6_111:                              ;   in Loop: Header=BB6_108 Depth=3
	s_sleep 1
	s_trap 2
	ds_read_b64 v[12:13], v0
	s_waitcnt lgkmcnt(0)
	buffer_gl0_inv
	s_andn2_b32 s72, s72, exec_lo
	v_cmp_ge_u64_e32 vcc_lo, v[12:13], v[70:71]
	s_orn2_b32 s76, vcc_lo, exec_lo
	s_branch .LBB6_107
.LBB6_112:                              ;   in Loop: Header=BB6_57 Depth=2
	s_inst_prefetch 0x2
	s_or_b32 exec_lo, exec_lo, s62
	s_and_saveexec_b32 s62, s63
	s_xor_b32 s62, exec_lo, s62
	s_cbranch_execz .LBB6_114
; %bb.113:                              ;   in Loop: Header=BB6_57 Depth=2
	ds_write_b32 v0, v59
	s_trap 2
.LBB6_114:                              ;   in Loop: Header=BB6_57 Depth=2
	s_or_b32 exec_lo, exec_lo, s61
	;;#ASMSTART
	s_wakeup
	;;#ASMEND
.LBB6_115:                              ;   in Loop: Header=BB6_57 Depth=2
	s_or_b32 exec_lo, exec_lo, s23
.LBB6_116:                              ;   in Loop: Header=BB6_57 Depth=2
	s_andn2_saveexec_b32 s17, s17
	s_cbranch_execz .LBB6_118
; %bb.117:                              ;   in Loop: Header=BB6_57 Depth=2
	s_waitcnt vmcnt(0) lgkmcnt(0)
	s_waitcnt_vscnt null, 0x0
	buffer_gl1_inv
	buffer_gl0_inv
	s_barrier
.LBB6_118:                              ;   in Loop: Header=BB6_57 Depth=2
	s_or_b32 exec_lo, exec_lo, s17
.LBB6_119:                              ;   in Loop: Header=BB6_57 Depth=2
	s_or_b32 exec_lo, exec_lo, s16
	s_trap 2
	ds_read_b64 v[12:13], v0
	s_waitcnt lgkmcnt(0)
	v_cmp_eq_u64_e32 vcc_lo, 0, v[12:13]
	s_cbranch_vccnz .LBB6_127
; %bb.120:                              ;   in Loop: Header=BB6_57 Depth=2
	s_trap 2
	ds_read_b64 v[14:15], v0
	s_waitcnt lgkmcnt(0)
	v_cmp_eq_u64_e32 vcc_lo, 0, v[14:15]
	s_cbranch_vccnz .LBB6_127
; %bb.121:                              ;   in Loop: Header=BB6_57 Depth=2
	s_mov_b32 s16, -1
	s_and_saveexec_b32 s17, s12
	s_cbranch_execz .LBB6_123
; %bb.122:                              ;   in Loop: Header=BB6_57 Depth=2
	ds_read_b32 v5, v0 offset:720
	s_waitcnt lgkmcnt(0)
	v_and_b32_e32 v5, 15, v5
	v_cmp_eq_u32_e32 vcc_lo, 0, v5
	s_orn2_b32 s16, vcc_lo, exec_lo
.LBB6_123:                              ;   in Loop: Header=BB6_57 Depth=2
	s_or_b32 exec_lo, exec_lo, s17
	s_and_saveexec_b32 s17, s13
	s_cbranch_execz .LBB6_125
; %bb.124:                              ;   in Loop: Header=BB6_57 Depth=2
	ds_read_b32 v5, v0 offset:784
	s_waitcnt lgkmcnt(0)
	v_and_b32_e32 v5, 15, v5
	v_cmp_eq_u32_e32 vcc_lo, 0, v5
	s_and_b32 s23, s16, vcc_lo
	s_andn2_b32 s16, s16, exec_lo
	s_and_b32 s23, s23, exec_lo
	s_or_b32 s16, s16, s23
.LBB6_125:                              ;   in Loop: Header=BB6_57 Depth=2
	s_or_b32 exec_lo, exec_lo, s17
	v_cmp_eq_u32_e32 vcc_lo, 0, v3
	s_xor_b32 s16, s16, -1
	v_mov_b32_e32 v16, v0
	v_cndmask_b32_e64 v5, 0, 1, s16
	s_mov_b32 s16, -1
	v_cndmask_b32_e32 v3, 0, v8, vcc_lo
	v_cmp_ne_u32_e32 vcc_lo, 0, v5
	v_mov_b32_e32 v5, 0
	v_mov_b32_e32 v9, v3
	s_cbranch_vccz .LBB6_132
; %bb.126:                              ;   in Loop: Header=BB6_57 Depth=2
	s_and_saveexec_b32 s17, s16
	s_cbranch_execnz .LBB6_143
	s_branch .LBB6_151
.LBB6_127:                              ;   in Loop: Header=BB6_57 Depth=2
	s_mov_b32 s16, 0
	s_and_saveexec_b32 s17, s6
	s_cbranch_execnz .LBB6_152
.LBB6_128:                              ;   in Loop: Header=BB6_57 Depth=2
	s_or_b32 exec_lo, exec_lo, s17
                                        ; implicit-def: $vgpr3
	s_and_saveexec_b32 s17, s15
	s_xor_b32 s17, exec_lo, s17
	s_cbranch_execz .LBB6_170
.LBB6_129:                              ;   in Loop: Header=BB6_57 Depth=2
	v_and_b32_e32 v3, 16, v44
	v_cmp_ne_u32_e32 vcc_lo, 0, v3
	v_and_b32_e32 v3, 16, v44
	s_and_b32 s23, vcc_lo, s16
	s_and_saveexec_b32 s16, s23
	s_cbranch_execz .LBB6_131
; %bb.130:                              ;   in Loop: Header=BB6_57 Depth=2
	v_mov_b32_e32 v3, 1
	s_waitcnt vmcnt(0) lgkmcnt(0)
	s_waitcnt_vscnt null, 0x0
	buffer_gl1_inv
	buffer_gl0_inv
.LBB6_131:                              ;   in Loop: Header=BB6_57 Depth=2
	s_or_b32 exec_lo, exec_lo, s16
	s_andn2_saveexec_b32 s16, s17
	s_cbranch_execz .LBB6_189
	s_branch .LBB6_171
.LBB6_132:                              ;   in Loop: Header=BB6_57 Depth=2
	v_ashrrev_i32_e32 v5, 31, v3
	v_lshrrev_b32_e32 v9, 5, v0
	s_mov_b32 s17, exec_lo
	v_lshrrev_b32_e32 v5, 20, v5
	v_add_nc_u32_e32 v5, v3, v5
	v_ashrrev_i32_e32 v5, 12, v5
	v_sub_nc_u32_e32 v20, v5, v9
	v_cmpx_lt_i32_e32 0, v20
	s_cbranch_execz .LBB6_136
; %bb.133:                              ;   in Loop: Header=BB6_57 Depth=2
	v_mov_b32_e32 v17, v15
	v_mov_b32_e32 v19, v13
	;; [unrolled: 1-line block ×4, first 2 shown]
	s_mov_b32 s23, 0
.LBB6_134:                              ;   Parent Loop BB6_47 Depth=1
                                        ;     Parent Loop BB6_57 Depth=2
                                        ; =>    This Inner Loop Header: Depth=3
	v_add_co_u32 v33, vcc_lo, v91, v18
	v_add_co_ci_u32_e64 v34, null, 0, v19, vcc_lo
	v_sub_nc_u32_e32 v20, v20, v47
	v_add_co_u32 v37, vcc_lo, 0x800, v33
	v_add_co_ci_u32_e64 v38, null, 0, v34, vcc_lo
	s_clause 0x3
	global_load_dwordx4 v[21:24], v[33:34], off slc
	global_load_dwordx4 v[25:28], v[33:34], off offset:512 slc
	global_load_dwordx4 v[29:32], v[33:34], off offset:1024 slc
	global_load_dwordx4 v[33:36], v[33:34], off offset:1536 slc
	s_clause 0x3
	global_load_dwordx4 v[48:51], v[37:38], off slc
	global_load_dwordx4 v[52:55], v[37:38], off offset:512 slc
	global_load_dwordx4 v[82:85], v[37:38], off offset:1024 slc
	;; [unrolled: 1-line block ×3, first 2 shown]
	v_add_co_u32 v37, vcc_lo, v91, v16
	v_add_co_ci_u32_e64 v38, null, 0, v17, vcc_lo
	v_add_co_u32 v18, vcc_lo, v18, v75
	v_add_co_ci_u32_e64 v19, null, 0, v19, vcc_lo
	;; [unrolled: 2-line block ×3, first 2 shown]
	v_cmp_gt_i32_e32 vcc_lo, 1, v20
	v_add_co_u32 v86, s16, 0x800, v37
	v_add_co_ci_u32_e64 v87, null, 0, v38, s16
	s_or_b32 s23, vcc_lo, s23
	s_waitcnt vmcnt(7)
	global_store_dwordx4 v[37:38], v[21:24], off glc slc
	s_waitcnt vmcnt(6)
	global_store_dwordx4 v[37:38], v[25:28], off offset:512 glc slc
	s_waitcnt vmcnt(5)
	global_store_dwordx4 v[37:38], v[29:32], off offset:1024 glc slc
	;; [unrolled: 2-line block ×3, first 2 shown]
	s_waitcnt vmcnt(3)
	global_store_dwordx4 v[86:87], v[48:51], off glc slc
	s_waitcnt vmcnt(2)
	global_store_dwordx4 v[86:87], v[52:55], off offset:512 glc slc
	s_waitcnt vmcnt(1)
	global_store_dwordx4 v[86:87], v[82:85], off offset:1024 glc slc
	;; [unrolled: 2-line block ×3, first 2 shown]
	s_andn2_b32 exec_lo, exec_lo, s23
	s_cbranch_execnz .LBB6_134
; %bb.135:                              ;   in Loop: Header=BB6_57 Depth=2
	s_or_b32 exec_lo, exec_lo, s23
.LBB6_136:                              ;   in Loop: Header=BB6_57 Depth=2
	s_or_b32 exec_lo, exec_lo, s17
	v_lshlrev_b32_e32 v17, 12, v5
	v_mov_b32_e32 v5, 0
	s_mov_b32 s16, 0
	s_mov_b32 s23, exec_lo
                                        ; implicit-def: $vgpr9
                                        ; implicit-def: $vgpr16
	v_cmpx_ne_u32_e64 v3, v17
	s_cbranch_execz .LBB6_142
; %bb.137:                              ;   in Loop: Header=BB6_57 Depth=2
	v_lshlrev_b32_e32 v5, 5, v20
	v_sub_nc_u32_e32 v18, v3, v17
	s_mov_b32 s61, exec_lo
	v_sub_nc_u32_e32 v5, v103, v5
	v_ashrrev_i32_e32 v16, 31, v18
	v_ashrrev_i32_e32 v9, 31, v5
	v_lshrrev_b32_e32 v16, 23, v16
	v_lshrrev_b32_e32 v9, 27, v9
	v_add_nc_u32_e32 v20, v18, v16
	v_add_nc_u32_e32 v9, v5, v9
	v_ashrrev_i32_e32 v22, 9, v20
	v_and_b32_e32 v19, 0xffffffe0, v9
	v_ashrrev_i32_e32 v21, 5, v9
	v_sub_nc_u32_e32 v16, v5, v19
	v_and_b32_e32 v5, 0xfffffe00, v20
	v_lshlrev_b32_e32 v19, 4, v16
	v_sub_nc_u32_e32 v9, v18, v5
	v_lshl_add_u32 v20, v21, 9, v19
	v_cmp_lt_i32_e32 vcc_lo, 15, v9
	v_sub_nc_u32_e32 v19, v18, v20
	v_add_co_ci_u32_e64 v22, null, 0, v22, vcc_lo
	v_sub_nc_u32_e32 v18, v22, v21
	v_cmpx_lt_i32_e32 15, v19
	s_cbranch_execz .LBB6_141
; %bb.138:                              ;   in Loop: Header=BB6_57 Depth=2
	v_add_nc_u32_e32 v20, v20, v17
	s_mov_b32 s62, 0
	v_ashrrev_i32_e32 v21, 31, v20
	.p2align	6
.LBB6_139:                              ;   Parent Loop BB6_47 Depth=1
                                        ;     Parent Loop BB6_57 Depth=2
                                        ; =>    This Inner Loop Header: Depth=3
	v_add_co_u32 v22, s16, v12, v20
	v_add_co_ci_u32_e64 v23, null, v13, v21, s16
	v_sub_nc_u32_e32 v19, v19, v76
	v_add_co_u32 v26, s16, v14, v20
	global_load_dwordx4 v[22:25], v[22:23], off slc
	v_add_co_ci_u32_e64 v27, null, v15, v21, s16
	v_cmp_gt_i32_e64 s16, 16, v19
	v_add_co_u32 v20, s17, v20, v76
	v_sub_nc_u32_e32 v18, v18, v47
	v_add_co_ci_u32_e64 v21, null, 0, v21, s17
	s_or_b32 s62, s16, s62
	s_waitcnt vmcnt(0)
	global_store_dwordx4 v[26:27], v[22:25], off glc slc
	s_andn2_b32 exec_lo, exec_lo, s62
	s_cbranch_execnz .LBB6_139
; %bb.140:                              ;   in Loop: Header=BB6_57 Depth=2
	s_or_b32 exec_lo, exec_lo, s62
.LBB6_141:                              ;   in Loop: Header=BB6_57 Depth=2
	s_or_b32 exec_lo, exec_lo, s61
	v_and_b32_e32 v19, 15, v3
	v_cmp_lt_i32_e64 s16, 0, v18
	v_sub_nc_u32_e32 v20, v9, v19
	v_cndmask_b32_e64 v21, 0, v47, s16
	v_cndmask_b32_e32 v9, v9, v19, vcc_lo
	v_cndmask_b32_e32 v19, 0, v20, vcc_lo
	v_sub_nc_u32_e32 v18, v21, v18
	v_cmp_ne_u32_e32 vcc_lo, 0, v9
	v_add3_u32 v5, v5, v17, v19
	v_lshl_add_u32 v16, v18, 5, v16
	s_and_b32 s16, vcc_lo, exec_lo
.LBB6_142:                              ;   in Loop: Header=BB6_57 Depth=2
	s_or_b32 exec_lo, exec_lo, s23
	s_and_saveexec_b32 s17, s16
	s_cbranch_execz .LBB6_151
.LBB6_143:                              ;   in Loop: Header=BB6_57 Depth=2
	v_ashrrev_i32_e32 v17, 31, v16
	v_ashrrev_i32_e32 v18, 31, v9
	s_mov_b32 s16, exec_lo
	v_lshrrev_b32_e32 v17, 27, v17
	v_lshrrev_b32_e32 v18, 22, v18
	v_add_nc_u32_e32 v20, v16, v17
	v_add_nc_u32_e32 v18, v9, v18
	v_ashrrev_i32_e32 v17, 5, v20
	v_ashrrev_i32_e32 v19, 10, v18
	v_sub_nc_u32_e32 v18, v19, v17
	v_cmpx_lt_i32_e32 0, v18
	s_cbranch_execz .LBB6_147
; %bb.144:                              ;   in Loop: Header=BB6_57 Depth=2
	v_and_b32_e32 v20, 0xffffffe0, v20
	v_lshlrev_b32_e32 v21, 10, v17
	s_mov_b32 s23, 0
	v_sub_nc_u32_e32 v20, v16, v20
	v_add3_u32 v20, v5, v20, v21
	v_ashrrev_i32_e32 v21, 31, v20
.LBB6_145:                              ;   Parent Loop BB6_47 Depth=1
                                        ;     Parent Loop BB6_57 Depth=2
                                        ; =>    This Inner Loop Header: Depth=3
	v_add_co_u32 v22, vcc_lo, v20, v12
	v_add_co_ci_u32_e64 v23, null, v21, v13, vcc_lo
	v_sub_nc_u32_e32 v18, v18, v47
	s_clause 0x1f
	flat_load_ubyte v24, v[22:23] slc
	flat_load_ubyte v25, v[22:23] offset:32 slc
	flat_load_ubyte v26, v[22:23] offset:64 slc
	;; [unrolled: 1-line block ×31, first 2 shown]
	v_add_co_u32 v22, vcc_lo, v20, v14
	v_add_co_ci_u32_e64 v23, null, v21, v15, vcc_lo
	v_add_co_u32 v12, vcc_lo, v12, v77
	v_add_co_ci_u32_e64 v13, null, 0, v13, vcc_lo
	;; [unrolled: 2-line block ×3, first 2 shown]
	v_cmp_gt_i32_e32 vcc_lo, 1, v18
	s_waitcnt vmcnt(31) lgkmcnt(31)
	flat_store_byte v[22:23], v24 glc slc
	s_waitcnt vmcnt(30) lgkmcnt(31)
	flat_store_byte v[22:23], v25 offset:32 glc slc
	s_waitcnt vmcnt(29) lgkmcnt(31)
	flat_store_byte v[22:23], v26 offset:64 glc slc
	s_waitcnt vmcnt(28) lgkmcnt(31)
	flat_store_byte v[22:23], v27 offset:96 glc slc
	s_waitcnt vmcnt(27) lgkmcnt(31)
	flat_store_byte v[22:23], v28 offset:128 glc slc
	s_waitcnt vmcnt(26) lgkmcnt(31)
	flat_store_byte v[22:23], v29 offset:160 glc slc
	s_waitcnt vmcnt(25) lgkmcnt(31)
	flat_store_byte v[22:23], v30 offset:192 glc slc
	s_waitcnt vmcnt(24) lgkmcnt(31)
	flat_store_byte v[22:23], v31 offset:224 glc slc
	s_waitcnt vmcnt(23) lgkmcnt(31)
	flat_store_byte v[22:23], v32 offset:256 glc slc
	s_waitcnt vmcnt(22) lgkmcnt(31)
	flat_store_byte v[22:23], v33 offset:288 glc slc
	s_waitcnt vmcnt(21) lgkmcnt(31)
	flat_store_byte v[22:23], v34 offset:320 glc slc
	s_waitcnt vmcnt(20) lgkmcnt(31)
	flat_store_byte v[22:23], v35 offset:352 glc slc
	s_waitcnt vmcnt(19) lgkmcnt(31)
	flat_store_byte v[22:23], v36 offset:384 glc slc
	s_waitcnt vmcnt(18) lgkmcnt(31)
	flat_store_byte v[22:23], v37 offset:416 glc slc
	s_waitcnt vmcnt(17) lgkmcnt(31)
	flat_store_byte v[22:23], v38 offset:448 glc slc
	s_waitcnt vmcnt(16) lgkmcnt(31)
	flat_store_byte v[22:23], v39 offset:480 glc slc
	s_waitcnt vmcnt(15) lgkmcnt(31)
	flat_store_byte v[22:23], v48 offset:512 glc slc
	s_waitcnt vmcnt(14) lgkmcnt(31)
	flat_store_byte v[22:23], v49 offset:544 glc slc
	s_waitcnt vmcnt(13) lgkmcnt(31)
	flat_store_byte v[22:23], v50 offset:576 glc slc
	s_waitcnt vmcnt(12) lgkmcnt(31)
	flat_store_byte v[22:23], v51 offset:608 glc slc
	s_waitcnt vmcnt(11) lgkmcnt(31)
	flat_store_byte v[22:23], v52 offset:640 glc slc
	s_waitcnt vmcnt(10) lgkmcnt(31)
	flat_store_byte v[22:23], v53 offset:672 glc slc
	s_waitcnt vmcnt(9) lgkmcnt(31)
	flat_store_byte v[22:23], v54 offset:704 glc slc
	s_waitcnt vmcnt(8) lgkmcnt(31)
	flat_store_byte v[22:23], v55 offset:736 glc slc
	s_waitcnt vmcnt(7) lgkmcnt(31)
	flat_store_byte v[22:23], v82 offset:768 glc slc
	s_waitcnt vmcnt(6) lgkmcnt(31)
	flat_store_byte v[22:23], v83 offset:800 glc slc
	s_waitcnt vmcnt(5) lgkmcnt(31)
	flat_store_byte v[22:23], v84 offset:832 glc slc
	s_waitcnt vmcnt(4) lgkmcnt(31)
	flat_store_byte v[22:23], v85 offset:864 glc slc
	s_waitcnt vmcnt(3) lgkmcnt(31)
	flat_store_byte v[22:23], v86 offset:896 glc slc
	s_waitcnt vmcnt(2) lgkmcnt(31)
	flat_store_byte v[22:23], v87 offset:928 glc slc
	s_waitcnt vmcnt(1) lgkmcnt(31)
	flat_store_byte v[22:23], v98 offset:960 glc slc
	s_waitcnt vmcnt(0) lgkmcnt(31)
	flat_store_byte v[22:23], v99 offset:992 glc slc
	s_or_b32 s23, vcc_lo, s23
	s_andn2_b32 exec_lo, exec_lo, s23
	s_cbranch_execnz .LBB6_145
; %bb.146:                              ;   in Loop: Header=BB6_57 Depth=2
	s_or_b32 exec_lo, exec_lo, s23
.LBB6_147:                              ;   in Loop: Header=BB6_57 Depth=2
	s_or_b32 exec_lo, exec_lo, s16
	v_lshlrev_b32_e32 v12, 10, v19
	v_cmp_ne_u32_e32 vcc_lo, v9, v12
	s_and_b32 exec_lo, exec_lo, vcc_lo
	s_cbranch_execz .LBB6_151
; %bb.148:                              ;   in Loop: Header=BB6_57 Depth=2
	v_lshlrev_b32_e32 v13, 5, v17
	v_lshlrev_b32_e32 v14, 5, v18
	v_sub_nc_u32_e32 v13, v16, v13
	v_sub_nc_u32_e32 v13, v13, v14
	v_add_nc_u32_e32 v14, v12, v13
	v_sub_nc_u32_e32 v9, v9, v14
	v_cmp_lt_i32_e32 vcc_lo, 0, v9
	s_and_b32 exec_lo, exec_lo, vcc_lo
	s_cbranch_execz .LBB6_151
; %bb.149:                              ;   in Loop: Header=BB6_57 Depth=2
	s_trap 2
	ds_read_b64 v[12:13], v0
	v_add_nc_u32_e32 v5, v14, v5
	s_mov_b32 s23, 0
	v_ashrrev_i32_e32 v14, 31, v5
	.p2align	6
.LBB6_150:                              ;   Parent Loop BB6_47 Depth=1
                                        ;     Parent Loop BB6_57 Depth=2
                                        ; =>    This Inner Loop Header: Depth=3
	s_waitcnt lgkmcnt(0)
	v_add_co_u32 v15, vcc_lo, v12, v5
	v_add_co_ci_u32_e64 v16, null, v13, v14, vcc_lo
	v_sub_nc_u32_e32 v9, v9, v58
	v_add_co_u32 v5, s16, v5, v58
	flat_load_ubyte v17, v[15:16] slc
	v_add_co_ci_u32_e64 v14, null, 0, v14, s16
	v_cmp_gt_i32_e32 vcc_lo, 1, v9
	s_or_b32 s23, vcc_lo, s23
	s_waitcnt vmcnt(0) lgkmcnt(0)
	flat_store_byte v[15:16], v17 glc slc
	s_andn2_b32 exec_lo, exec_lo, s23
	s_cbranch_execnz .LBB6_150
.LBB6_151:                              ;   in Loop: Header=BB6_57 Depth=2
	s_or_b32 exec_lo, exec_lo, s17
	v_cmp_lt_i32_e64 s16, 0, v3
	s_and_saveexec_b32 s17, s6
	s_cbranch_execz .LBB6_128
.LBB6_152:                              ;   in Loop: Header=BB6_57 Depth=2
	s_and_saveexec_b32 s23, s29
	s_xor_b32 s23, exec_lo, s23
	s_cbranch_execz .LBB6_167
; %bb.153:                              ;   in Loop: Header=BB6_57 Depth=2
	s_and_saveexec_b32 s61, s11
	s_cbranch_execz .LBB6_166
; %bb.154:                              ;   in Loop: Header=BB6_57 Depth=2
	s_mov_b32 s63, exec_lo
	s_mov_b32 s62, exec_lo
	v_mbcnt_lo_u32_b32 v3, s63, 0
	s_waitcnt vmcnt(0) lgkmcnt(0)
	s_waitcnt_vscnt null, 0x0
	buffer_gl1_inv
	buffer_gl0_inv
	v_cmpx_eq_u32_e32 0, v3
	s_cbranch_execz .LBB6_156
; %bb.155:                              ;   in Loop: Header=BB6_57 Depth=2
	s_bcnt1_i32_b32 s63, s63
	v_mov_b32_e32 v13, v2
	v_mov_b32_e32 v12, s63
	ds_add_u64 v0, v[12:13]
	s_trap 2
.LBB6_156:                              ;   in Loop: Header=BB6_57 Depth=2
	s_or_b32 exec_lo, exec_lo, s62
	s_trap 2
	ds_read_b64 v[12:13], v0
	s_waitcnt lgkmcnt(0)
	buffer_gl0_inv
	v_add_co_u32 v70, vcc_lo, v70, v47
	v_add_co_ci_u32_e64 v71, null, 0, v71, vcc_lo
	s_mov_b32 s62, exec_lo
	v_cmpx_lt_u64_e64 v[12:13], v[70:71]
	s_cbranch_execz .LBB6_165
; %bb.157:                              ;   in Loop: Header=BB6_57 Depth=2
	s_mov_b32 s63, 0
	s_mov_b32 s74, 0
                                        ; implicit-def: $sgpr72
                                        ; implicit-def: $sgpr73
	s_inst_prefetch 0x1
	s_branch .LBB6_159
	.p2align	6
.LBB6_158:                              ;   in Loop: Header=BB6_159 Depth=3
	s_or_b32 exec_lo, exec_lo, s76
	s_and_b32 s75, exec_lo, s77
	s_or_b32 s63, s75, s63
	s_andn2_b32 s72, s72, exec_lo
	s_and_b32 s75, s73, exec_lo
	s_or_b32 s72, s72, s75
	s_andn2_b32 exec_lo, exec_lo, s63
	s_cbranch_execz .LBB6_163
.LBB6_159:                              ;   Parent Loop BB6_47 Depth=1
                                        ;     Parent Loop BB6_57 Depth=2
                                        ; =>    This Inner Loop Header: Depth=3
	s_add_i32 s74, s74, 1
	s_cmpk_lg_i32 s74, 0x2710
	s_cselect_b32 s75, -1, 0
	s_and_b32 vcc_lo, exec_lo, s75
	s_cbranch_vccz .LBB6_161
; %bb.160:                              ;   in Loop: Header=BB6_159 Depth=3
	s_mov_b32 s77, -1
	s_or_b32 s73, s73, exec_lo
	s_and_saveexec_b32 s76, s75
	s_cbranch_execz .LBB6_158
	s_branch .LBB6_162
	.p2align	6
.LBB6_161:                              ;   in Loop: Header=BB6_159 Depth=3
	s_trap 2
	ds_read_b64 v[12:13], v0
	s_andn2_b32 s75, s75, exec_lo
	s_mov_b32 s74, 0
	s_waitcnt lgkmcnt(0)
	flat_load_dword v3, v[12:13] glc dlc
	s_waitcnt vmcnt(0) lgkmcnt(0)
	buffer_gl1_inv
	buffer_gl0_inv
	v_cmp_eq_u32_e32 vcc_lo, 0, v3
	s_and_b32 s76, vcc_lo, exec_lo
	s_or_b32 s75, s75, s76
	s_mov_b32 s77, -1
	s_or_b32 s73, s73, exec_lo
	s_and_saveexec_b32 s76, s75
	s_cbranch_execz .LBB6_158
.LBB6_162:                              ;   in Loop: Header=BB6_159 Depth=3
	s_sleep 1
	s_trap 2
	ds_read_b64 v[12:13], v0
	s_waitcnt lgkmcnt(0)
	buffer_gl0_inv
	s_andn2_b32 s73, s73, exec_lo
	v_cmp_ge_u64_e32 vcc_lo, v[12:13], v[70:71]
	s_orn2_b32 s77, vcc_lo, exec_lo
	s_branch .LBB6_158
.LBB6_163:                              ;   in Loop: Header=BB6_57 Depth=2
	s_inst_prefetch 0x2
	s_or_b32 exec_lo, exec_lo, s63
	s_and_saveexec_b32 s63, s72
	s_xor_b32 s63, exec_lo, s63
	s_cbranch_execz .LBB6_165
; %bb.164:                              ;   in Loop: Header=BB6_57 Depth=2
	ds_write_b32 v0, v59
	s_trap 2
.LBB6_165:                              ;   in Loop: Header=BB6_57 Depth=2
	s_or_b32 exec_lo, exec_lo, s62
	;;#ASMSTART
	s_wakeup
	;;#ASMEND
.LBB6_166:                              ;   in Loop: Header=BB6_57 Depth=2
	s_or_b32 exec_lo, exec_lo, s61
.LBB6_167:                              ;   in Loop: Header=BB6_57 Depth=2
	s_andn2_saveexec_b32 s23, s23
	s_cbranch_execz .LBB6_169
; %bb.168:                              ;   in Loop: Header=BB6_57 Depth=2
	s_waitcnt vmcnt(0) lgkmcnt(0)
	s_waitcnt_vscnt null, 0x0
	buffer_gl1_inv
	buffer_gl0_inv
	s_barrier
.LBB6_169:                              ;   in Loop: Header=BB6_57 Depth=2
	s_or_b32 exec_lo, exec_lo, s23
	s_or_b32 exec_lo, exec_lo, s17
                                        ; implicit-def: $vgpr3
	s_and_saveexec_b32 s17, s15
	s_xor_b32 s17, exec_lo, s17
	s_cbranch_execnz .LBB6_129
.LBB6_170:                              ;   in Loop: Header=BB6_57 Depth=2
	s_andn2_saveexec_b32 s16, s17
	s_cbranch_execz .LBB6_189
.LBB6_171:                              ;   in Loop: Header=BB6_57 Depth=2
	s_and_saveexec_b32 s17, s29
	s_xor_b32 s17, exec_lo, s17
	s_cbranch_execz .LBB6_186
; %bb.172:                              ;   in Loop: Header=BB6_57 Depth=2
	s_and_saveexec_b32 s23, s11
	s_cbranch_execz .LBB6_185
; %bb.173:                              ;   in Loop: Header=BB6_57 Depth=2
	s_mov_b32 s62, exec_lo
	s_mov_b32 s61, exec_lo
	v_mbcnt_lo_u32_b32 v3, s62, 0
	;;#ASMSTART
	s_waitcnt lgkmcnt(0) vmcnt(0)
	;;#ASMEND
	v_cmpx_eq_u32_e32 0, v3
	s_cbranch_execz .LBB6_175
; %bb.174:                              ;   in Loop: Header=BB6_57 Depth=2
	s_bcnt1_i32_b32 s62, s62
	v_mov_b32_e32 v13, v2
	v_mov_b32_e32 v12, s62
	s_waitcnt vmcnt(0) lgkmcnt(0)
	s_waitcnt_vscnt null, 0x0
	ds_add_u64 v0, v[12:13]
	s_trap 2
.LBB6_175:                              ;   in Loop: Header=BB6_57 Depth=2
	s_or_b32 exec_lo, exec_lo, s61
	s_trap 2
	ds_read_b64 v[12:13], v0
	s_waitcnt vmcnt(0) lgkmcnt(0)
	buffer_gl0_inv
	v_add_co_u32 v70, vcc_lo, v70, v47
	v_add_co_ci_u32_e64 v71, null, 0, v71, vcc_lo
	s_mov_b32 s61, exec_lo
	v_cmpx_lt_u64_e64 v[12:13], v[70:71]
	s_cbranch_execz .LBB6_184
; %bb.176:                              ;   in Loop: Header=BB6_57 Depth=2
	s_mov_b32 s62, 0
	s_mov_b32 s73, 0
                                        ; implicit-def: $sgpr63
                                        ; implicit-def: $sgpr72
	s_inst_prefetch 0x1
	s_branch .LBB6_178
	.p2align	6
.LBB6_177:                              ;   in Loop: Header=BB6_178 Depth=3
	s_or_b32 exec_lo, exec_lo, s75
	s_and_b32 s74, exec_lo, s76
	s_or_b32 s62, s74, s62
	s_andn2_b32 s63, s63, exec_lo
	s_and_b32 s74, s72, exec_lo
	s_or_b32 s63, s63, s74
	s_andn2_b32 exec_lo, exec_lo, s62
	s_cbranch_execz .LBB6_182
.LBB6_178:                              ;   Parent Loop BB6_47 Depth=1
                                        ;     Parent Loop BB6_57 Depth=2
                                        ; =>    This Inner Loop Header: Depth=3
	s_add_i32 s73, s73, 1
	s_cmpk_lg_i32 s73, 0x2710
	s_cselect_b32 s74, -1, 0
	s_and_b32 vcc_lo, exec_lo, s74
	s_cbranch_vccz .LBB6_180
; %bb.179:                              ;   in Loop: Header=BB6_178 Depth=3
	s_mov_b32 s76, -1
	s_or_b32 s72, s72, exec_lo
	s_and_saveexec_b32 s75, s74
	s_cbranch_execz .LBB6_177
	s_branch .LBB6_181
	.p2align	6
.LBB6_180:                              ;   in Loop: Header=BB6_178 Depth=3
	s_trap 2
	ds_read_b64 v[12:13], v0
	s_andn2_b32 s74, s74, exec_lo
	s_mov_b32 s73, 0
	s_waitcnt lgkmcnt(0)
	s_waitcnt_vscnt null, 0x0
	flat_load_dword v3, v[12:13] glc dlc
	s_waitcnt vmcnt(0) lgkmcnt(0)
	buffer_gl1_inv
	buffer_gl0_inv
	v_cmp_eq_u32_e32 vcc_lo, 0, v3
	s_and_b32 s75, vcc_lo, exec_lo
	s_or_b32 s74, s74, s75
	s_mov_b32 s76, -1
	s_or_b32 s72, s72, exec_lo
	s_and_saveexec_b32 s75, s74
	s_cbranch_execz .LBB6_177
.LBB6_181:                              ;   in Loop: Header=BB6_178 Depth=3
	s_sleep 1
	s_trap 2
	ds_read_b64 v[12:13], v0
	s_waitcnt lgkmcnt(0)
	buffer_gl0_inv
	s_andn2_b32 s72, s72, exec_lo
	v_cmp_ge_u64_e32 vcc_lo, v[12:13], v[70:71]
	s_orn2_b32 s76, vcc_lo, exec_lo
	s_branch .LBB6_177
.LBB6_182:                              ;   in Loop: Header=BB6_57 Depth=2
	s_inst_prefetch 0x2
	s_or_b32 exec_lo, exec_lo, s62
	s_and_saveexec_b32 s62, s63
	s_xor_b32 s62, exec_lo, s62
	s_cbranch_execz .LBB6_184
; %bb.183:                              ;   in Loop: Header=BB6_57 Depth=2
	ds_write_b32 v0, v59
	s_trap 2
.LBB6_184:                              ;   in Loop: Header=BB6_57 Depth=2
	s_or_b32 exec_lo, exec_lo, s61
	;;#ASMSTART
	s_wakeup
	;;#ASMEND
.LBB6_185:                              ;   in Loop: Header=BB6_57 Depth=2
	s_or_b32 exec_lo, exec_lo, s23
.LBB6_186:                              ;   in Loop: Header=BB6_57 Depth=2
	s_andn2_saveexec_b32 s17, s17
	s_cbranch_execz .LBB6_188
; %bb.187:                              ;   in Loop: Header=BB6_57 Depth=2
	;;#ASMSTART
	s_waitcnt lgkmcnt(0) vmcnt(0)
	;;#ASMEND
	s_barrier
.LBB6_188:                              ;   in Loop: Header=BB6_57 Depth=2
	s_or_b32 exec_lo, exec_lo, s17
	v_and_b32_e32 v3, 16, v44
.LBB6_189:                              ;   in Loop: Header=BB6_57 Depth=2
	s_or_b32 exec_lo, exec_lo, s16
	s_mov_b32 s16, exec_lo
	v_cmpx_ne_u32_e32 0, v3
	s_cbranch_execz .LBB6_56
; %bb.190:                              ;   in Loop: Header=BB6_57 Depth=2
	s_and_saveexec_b32 s17, s10
	s_cbranch_execz .LBB6_55
; %bb.191:                              ;   in Loop: Header=BB6_57 Depth=2
	s_waitcnt vmcnt(0) lgkmcnt(0)
	s_waitcnt_vscnt null, 0x0
	flat_store_dword v[68:69], v59
	s_branch .LBB6_55
.LBB6_192:                              ;   in Loop: Header=BB6_47 Depth=1
	s_or_b32 exec_lo, exec_lo, s19
.LBB6_193:                              ;   in Loop: Header=BB6_47 Depth=1
	s_or_b32 exec_lo, exec_lo, s18
	s_mov_b32 s17, exec_lo
	v_cmpx_gt_i32_e32 2, v3
	s_cbranch_execz .LBB6_265
; %bb.194:                              ;   in Loop: Header=BB6_47 Depth=1
	v_cmp_eq_u32_e64 s19, 0, v3
	s_mov_b32 s18, 0
	s_branch .LBB6_197
.LBB6_195:                              ;   in Loop: Header=BB6_197 Depth=2
	s_or_b32 exec_lo, exec_lo, s19
	v_add_co_u32 v96, vcc_lo, v96, 2
	v_add_co_ci_u32_e64 v97, null, 0, v97, vcc_lo
	s_waitcnt vmcnt(0) lgkmcnt(0)
	s_waitcnt_vscnt null, 0x0
	flat_store_dwordx2 v[64:65], v[96:97]
.LBB6_196:                              ;   in Loop: Header=BB6_197 Depth=2
	s_or_b32 exec_lo, exec_lo, s16
	v_add_nc_u32_e32 v4, v8, v4
	s_mov_b32 s19, 0
	s_andn2_b32 exec_lo, exec_lo, s18
	s_cbranch_execz .LBB6_264
.LBB6_197:                              ;   Parent Loop BB6_47 Depth=1
                                        ; =>  This Loop Header: Depth=2
                                        ;       Child Loop BB6_203 Depth 3
                                        ;       Child Loop BB6_227 Depth 3
	;; [unrolled: 1-line block ×3, first 2 shown]
	v_sub_nc_u32_e32 v3, v1, v4
	v_and_b32_e32 v5, 8, v44
	s_mov_b32 s21, exec_lo
	v_min_i32_e32 v8, v8, v3
	v_cmpx_ne_u32_e32 0, v5
	s_cbranch_execz .LBB6_219
; %bb.198:                              ;   in Loop: Header=BB6_197 Depth=2
	s_waitcnt vmcnt(0) lgkmcnt(1)
	v_add_co_u32 v12, vcc_lo, v80, 8
	v_add_co_ci_u32_e64 v13, null, 0, v81, vcc_lo
	v_add_co_u32 v10, vcc_lo, v96, 2
	v_add_co_ci_u32_e64 v11, null, 0, v97, vcc_lo
	s_mov_b32 s22, exec_lo
	v_cmpx_lt_u64_e64 v[12:13], v[10:11]
	s_cbranch_execz .LBB6_210
; %bb.199:                              ;   in Loop: Header=BB6_197 Depth=2
	v_and_b32_e32 v3, 64, v44
	s_mov_b32 s23, 0
	s_mov_b32 s72, 0
                                        ; implicit-def: $sgpr61
                                        ; implicit-def: $sgpr62
                                        ; implicit-def: $sgpr63
	v_cmp_eq_u32_e32 vcc_lo, 0, v3
	s_branch .LBB6_203
.LBB6_200:                              ;   in Loop: Header=BB6_203 Depth=3
	s_waitcnt vmcnt(0) lgkmcnt(0)
	v_add_co_u32 v12, s16, v80, 8
	v_add_co_ci_u32_e64 v13, null, 0, v81, s16
	s_or_b32 s75, s75, exec_lo
	v_cmp_ge_u64_e64 s16, v[12:13], v[10:11]
	s_orn2_b32 s74, s16, exec_lo
.LBB6_201:                              ;   in Loop: Header=BB6_203 Depth=3
	s_or_b32 exec_lo, exec_lo, s77
	s_andn2_b32 s16, s63, exec_lo
	s_and_b32 s63, s75, exec_lo
	s_andn2_b32 s62, s62, exec_lo
	s_and_b32 s74, s74, exec_lo
	s_or_b32 s63, s16, s63
	s_or_b32 s62, s62, s74
.LBB6_202:                              ;   in Loop: Header=BB6_203 Depth=3
	s_or_b32 exec_lo, exec_lo, s73
	s_and_b32 s16, exec_lo, s62
	s_or_b32 s23, s16, s23
	s_andn2_b32 s16, s61, exec_lo
	s_and_b32 s61, s63, exec_lo
	s_or_b32 s61, s16, s61
	s_andn2_b32 exec_lo, exec_lo, s23
	s_cbranch_execz .LBB6_207
.LBB6_203:                              ;   Parent Loop BB6_47 Depth=1
                                        ;     Parent Loop BB6_197 Depth=2
                                        ; =>    This Inner Loop Header: Depth=3
	s_sleep 1
	s_waitcnt vmcnt(0) lgkmcnt(0)
	flat_load_dwordx2 v[80:81], v[64:65] glc dlc
	s_or_b32 s63, s63, exec_lo
	s_or_b32 s62, s62, exec_lo
                                        ; implicit-def: $vgpr3
	s_and_saveexec_b32 s73, vcc_lo
	s_cbranch_execz .LBB6_202
; %bb.204:                              ;   in Loop: Header=BB6_203 Depth=3
	s_cmpk_lt_i32 s72, 0x270f
	s_mov_b32 s74, -1
	s_cselect_b32 s76, -1, 0
	s_cmpk_gt_i32 s72, 0x270e
	s_cbranch_scc0 .LBB6_206
; %bb.205:                              ;   in Loop: Header=BB6_203 Depth=3
	s_trap 2
	ds_read_b64 v[12:13], v0
	s_andn2_b32 s72, s76, exec_lo
	s_mov_b32 s75, 0
	s_waitcnt vmcnt(0) lgkmcnt(0)
	s_waitcnt_vscnt null, 0x0
	flat_load_dword v3, v[12:13] glc dlc
	s_waitcnt vmcnt(0) lgkmcnt(0)
	buffer_gl1_inv
	buffer_gl0_inv
	v_cmp_eq_u32_e64 s16, 0, v3
	s_and_b32 s16, s16, exec_lo
	s_or_b32 s76, s72, s16
	s_mov_b32 s72, 0
	s_and_saveexec_b32 s77, s76
	s_cbranch_execz .LBB6_201
	s_branch .LBB6_200
.LBB6_206:                              ;   in Loop: Header=BB6_203 Depth=3
	s_add_i32 s72, s72, 1
	s_mov_b32 s75, -1
                                        ; implicit-def: $vgpr3
	s_and_saveexec_b32 s77, s76
	s_cbranch_execz .LBB6_201
	s_branch .LBB6_200
.LBB6_207:                              ;   in Loop: Header=BB6_197 Depth=2
	s_or_b32 exec_lo, exec_lo, s23
	s_xor_b32 s16, s61, -1
	s_and_saveexec_b32 s23, s16
	s_xor_b32 s16, exec_lo, s23
	s_cbranch_execz .LBB6_209
; %bb.208:                              ;   in Loop: Header=BB6_197 Depth=2
	v_or_b32_e32 v44, 64, v44
	s_waitcnt vmcnt(0) lgkmcnt(0)
	s_waitcnt_vscnt null, 0x0
	ds_write_b32 v0, v3
	s_trap 2
.LBB6_209:                              ;   in Loop: Header=BB6_197 Depth=2
	s_or_b32 exec_lo, exec_lo, s16
.LBB6_210:                              ;   in Loop: Header=BB6_197 Depth=2
	s_or_b32 exec_lo, exec_lo, s22
	v_and_b32_e32 v3, 0x100, v44
	s_mov_b32 s16, -1
	;;#ASMSTART
	s_wakeup
	;;#ASMEND
                                        ; implicit-def: $vgpr12_vgpr13
	v_cmp_ne_u32_e32 vcc_lo, 0, v3
	v_and_b32_e32 v3, 7, v96
	s_and_saveexec_b32 s22, vcc_lo
	s_cbranch_execz .LBB6_214
; %bb.211:                              ;   in Loop: Header=BB6_197 Depth=2
	v_mad_u64_u32 v[14:15], null, v3, 24, v[6:7]
	v_ashrrev_i32_e32 v9, 31, v8
	s_mov_b32 s23, exec_lo
                                        ; implicit-def: $vgpr12_vgpr13
	flat_load_dword v5, v[14:15]
	flat_store_dwordx2 v[14:15], v[8:9] offset:8
	s_waitcnt vmcnt(0) lgkmcnt(1)
	v_cmp_ne_u32_e32 vcc_lo, 1, v5
	v_cmpx_eq_u32_e32 1, v5
	s_cbranch_execz .LBB6_213
; %bb.212:                              ;   in Loop: Header=BB6_197 Depth=2
	flat_load_dword v12, v[14:15] offset:4 glc dlc
	s_waitcnt vmcnt(0) lgkmcnt(0)
	v_ashrrev_i32_e32 v13, 31, v12
.LBB6_213:                              ;   in Loop: Header=BB6_197 Depth=2
	s_or_b32 exec_lo, exec_lo, s23
	s_orn2_b32 s16, vcc_lo, exec_lo
.LBB6_214:                              ;   in Loop: Header=BB6_197 Depth=2
	s_or_b32 exec_lo, exec_lo, s22
	s_and_saveexec_b32 s22, s16
; %bb.215:                              ;   in Loop: Header=BB6_197 Depth=2
	v_mad_i64_i32 v[12:13], null, v3, v45, 0
; %bb.216:                              ;   in Loop: Header=BB6_197 Depth=2
	s_or_b32 exec_lo, exec_lo, s22
	v_add_co_u32 v12, vcc_lo, v66, v12
	v_and_b32_e32 v3, 0x2000, v44
	v_add_co_ci_u32_e64 v13, null, v67, v13, vcc_lo
	s_mov_b32 s16, exec_lo
	ds_write_b64 v0, v[12:13] offset:784
	v_cmpx_ne_u32_e32 0, v3
	s_cbranch_execz .LBB6_218
; %bb.217:                              ;   in Loop: Header=BB6_197 Depth=2
	ds_read_b64 v[12:13], v0 offset:872
	s_waitcnt lgkmcnt(0)
	v_add_co_u32 v12, vcc_lo, v12, 1
	v_add_co_ci_u32_e64 v13, null, 0, v13, vcc_lo
	ds_write_b64 v0, v[12:13] offset:872
.LBB6_218:                              ;   in Loop: Header=BB6_197 Depth=2
	s_or_b32 exec_lo, exec_lo, s16
	v_mov_b32_e32 v97, v11
	v_mov_b32_e32 v96, v10
.LBB6_219:                              ;   in Loop: Header=BB6_197 Depth=2
	s_or_b32 exec_lo, exec_lo, s21
	s_xor_b32 s16, s19, -1
	s_and_b32 s16, exec_lo, s16
	s_or_b32 s18, s16, s18
	s_and_saveexec_b32 s16, s6
	s_cbranch_execz .LBB6_238
; %bb.220:                              ;   in Loop: Header=BB6_197 Depth=2
	s_and_saveexec_b32 s19, s29
	s_xor_b32 s19, exec_lo, s19
	s_cbranch_execz .LBB6_235
; %bb.221:                              ;   in Loop: Header=BB6_197 Depth=2
	s_and_saveexec_b32 s21, s11
	s_cbranch_execz .LBB6_234
; %bb.222:                              ;   in Loop: Header=BB6_197 Depth=2
	s_mov_b32 s23, exec_lo
	s_mov_b32 s22, exec_lo
	v_mbcnt_lo_u32_b32 v3, s23, 0
	s_waitcnt vmcnt(0) lgkmcnt(0)
	s_waitcnt_vscnt null, 0x0
	buffer_gl1_inv
	buffer_gl0_inv
	v_cmpx_eq_u32_e32 0, v3
	s_cbranch_execz .LBB6_224
; %bb.223:                              ;   in Loop: Header=BB6_197 Depth=2
	s_bcnt1_i32_b32 s23, s23
	v_mov_b32_e32 v10, v2
	v_mov_b32_e32 v9, s23
	ds_add_u64 v0, v[9:10]
	s_trap 2
.LBB6_224:                              ;   in Loop: Header=BB6_197 Depth=2
	s_or_b32 exec_lo, exec_lo, s22
	s_trap 2
	ds_read_b64 v[9:10], v0
	s_waitcnt lgkmcnt(0)
	buffer_gl0_inv
	v_add_co_u32 v70, vcc_lo, v70, v47
	v_add_co_ci_u32_e64 v71, null, 0, v71, vcc_lo
	s_mov_b32 s22, exec_lo
	v_cmpx_lt_u64_e64 v[9:10], v[70:71]
	s_cbranch_execz .LBB6_233
; %bb.225:                              ;   in Loop: Header=BB6_197 Depth=2
	s_mov_b32 s23, 0
	s_mov_b32 s63, 0
                                        ; implicit-def: $sgpr61
                                        ; implicit-def: $sgpr62
	s_inst_prefetch 0x1
	s_branch .LBB6_227
	.p2align	6
.LBB6_226:                              ;   in Loop: Header=BB6_227 Depth=3
	s_or_b32 exec_lo, exec_lo, s73
	s_and_b32 s72, exec_lo, s74
	s_or_b32 s23, s72, s23
	s_andn2_b32 s61, s61, exec_lo
	s_and_b32 s72, s62, exec_lo
	s_or_b32 s61, s61, s72
	s_andn2_b32 exec_lo, exec_lo, s23
	s_cbranch_execz .LBB6_231
.LBB6_227:                              ;   Parent Loop BB6_47 Depth=1
                                        ;     Parent Loop BB6_197 Depth=2
                                        ; =>    This Inner Loop Header: Depth=3
	s_add_i32 s63, s63, 1
	s_cmpk_lg_i32 s63, 0x2710
	s_cselect_b32 s72, -1, 0
	s_and_b32 vcc_lo, exec_lo, s72
	s_cbranch_vccz .LBB6_229
; %bb.228:                              ;   in Loop: Header=BB6_227 Depth=3
	s_mov_b32 s74, -1
	s_or_b32 s62, s62, exec_lo
	s_and_saveexec_b32 s73, s72
	s_cbranch_execz .LBB6_226
	s_branch .LBB6_230
	.p2align	6
.LBB6_229:                              ;   in Loop: Header=BB6_227 Depth=3
	s_trap 2
	ds_read_b64 v[9:10], v0
	s_andn2_b32 s72, s72, exec_lo
	s_mov_b32 s63, 0
	s_waitcnt lgkmcnt(0)
	flat_load_dword v3, v[9:10] glc dlc
	s_waitcnt vmcnt(0) lgkmcnt(0)
	buffer_gl1_inv
	buffer_gl0_inv
	v_cmp_eq_u32_e32 vcc_lo, 0, v3
	s_and_b32 s73, vcc_lo, exec_lo
	s_or_b32 s72, s72, s73
	s_mov_b32 s74, -1
	s_or_b32 s62, s62, exec_lo
	s_and_saveexec_b32 s73, s72
	s_cbranch_execz .LBB6_226
.LBB6_230:                              ;   in Loop: Header=BB6_227 Depth=3
	s_sleep 1
	s_trap 2
	ds_read_b64 v[9:10], v0
	s_waitcnt lgkmcnt(0)
	buffer_gl0_inv
	s_andn2_b32 s62, s62, exec_lo
	v_cmp_ge_u64_e32 vcc_lo, v[9:10], v[70:71]
	s_orn2_b32 s74, vcc_lo, exec_lo
	s_branch .LBB6_226
.LBB6_231:                              ;   in Loop: Header=BB6_197 Depth=2
	s_inst_prefetch 0x2
	s_or_b32 exec_lo, exec_lo, s23
	s_and_saveexec_b32 s23, s61
	s_xor_b32 s23, exec_lo, s23
	s_cbranch_execz .LBB6_233
; %bb.232:                              ;   in Loop: Header=BB6_197 Depth=2
	ds_write_b32 v0, v59
	s_trap 2
.LBB6_233:                              ;   in Loop: Header=BB6_197 Depth=2
	s_or_b32 exec_lo, exec_lo, s22
	;;#ASMSTART
	s_wakeup
	;;#ASMEND
.LBB6_234:                              ;   in Loop: Header=BB6_197 Depth=2
	s_or_b32 exec_lo, exec_lo, s21
.LBB6_235:                              ;   in Loop: Header=BB6_197 Depth=2
	s_andn2_saveexec_b32 s19, s19
	s_cbranch_execz .LBB6_237
; %bb.236:                              ;   in Loop: Header=BB6_197 Depth=2
	s_waitcnt vmcnt(0) lgkmcnt(0)
	s_waitcnt_vscnt null, 0x0
	buffer_gl1_inv
	buffer_gl0_inv
	s_barrier
.LBB6_237:                              ;   in Loop: Header=BB6_197 Depth=2
	s_or_b32 exec_lo, exec_lo, s19
.LBB6_238:                              ;   in Loop: Header=BB6_197 Depth=2
	s_or_b32 exec_lo, exec_lo, s16
                                        ; implicit-def: $vgpr3
	s_and_saveexec_b32 s16, s15
	s_xor_b32 s19, exec_lo, s16
	s_cbranch_execz .LBB6_242
; %bb.239:                              ;   in Loop: Header=BB6_197 Depth=2
	s_trap 2
	ds_read_b32 v3, v0
	v_cmp_lt_i32_e32 vcc_lo, 0, v8
	s_waitcnt lgkmcnt(0)
	v_readfirstlane_b32 s16, v3
	v_and_b32_e32 v3, 16, v44
	s_cmp_eq_u32 s16, 0
	v_cmp_ne_u32_e64 s16, 0, v3
	s_cselect_b32 s21, -1, 0
	v_and_b32_e32 v3, 16, v44
	s_and_b32 s21, vcc_lo, s21
	s_and_b32 s21, s16, s21
	s_and_saveexec_b32 s16, s21
	s_cbranch_execz .LBB6_241
; %bb.240:                              ;   in Loop: Header=BB6_197 Depth=2
	v_mov_b32_e32 v3, 1
	s_waitcnt vmcnt(0)
	s_waitcnt_vscnt null, 0x0
	buffer_gl1_inv
	buffer_gl0_inv
.LBB6_241:                              ;   in Loop: Header=BB6_197 Depth=2
	s_or_b32 exec_lo, exec_lo, s16
	s_andn2_saveexec_b32 s16, s19
	s_cbranch_execz .LBB6_261
	s_branch .LBB6_243
.LBB6_242:                              ;   in Loop: Header=BB6_197 Depth=2
	s_andn2_saveexec_b32 s16, s19
	s_cbranch_execz .LBB6_261
.LBB6_243:                              ;   in Loop: Header=BB6_197 Depth=2
	s_and_saveexec_b32 s19, s29
	s_xor_b32 s19, exec_lo, s19
	s_cbranch_execz .LBB6_258
; %bb.244:                              ;   in Loop: Header=BB6_197 Depth=2
	s_and_saveexec_b32 s21, s11
	s_cbranch_execz .LBB6_257
; %bb.245:                              ;   in Loop: Header=BB6_197 Depth=2
	s_mov_b32 s23, exec_lo
	s_mov_b32 s22, exec_lo
	v_mbcnt_lo_u32_b32 v3, s23, 0
	;;#ASMSTART
	s_waitcnt lgkmcnt(0) vmcnt(0)
	;;#ASMEND
	v_cmpx_eq_u32_e32 0, v3
	s_cbranch_execz .LBB6_247
; %bb.246:                              ;   in Loop: Header=BB6_197 Depth=2
	s_bcnt1_i32_b32 s23, s23
	v_mov_b32_e32 v10, v2
	v_mov_b32_e32 v9, s23
	s_waitcnt vmcnt(0) lgkmcnt(0)
	s_waitcnt_vscnt null, 0x0
	ds_add_u64 v0, v[9:10]
	s_trap 2
.LBB6_247:                              ;   in Loop: Header=BB6_197 Depth=2
	s_or_b32 exec_lo, exec_lo, s22
	s_trap 2
	ds_read_b64 v[9:10], v0
	s_waitcnt vmcnt(0) lgkmcnt(0)
	buffer_gl0_inv
	v_add_co_u32 v70, vcc_lo, v70, v47
	v_add_co_ci_u32_e64 v71, null, 0, v71, vcc_lo
	s_mov_b32 s22, exec_lo
	v_cmpx_lt_u64_e64 v[9:10], v[70:71]
	s_cbranch_execz .LBB6_256
; %bb.248:                              ;   in Loop: Header=BB6_197 Depth=2
	s_mov_b32 s23, 0
	s_mov_b32 s63, 0
                                        ; implicit-def: $sgpr61
                                        ; implicit-def: $sgpr62
	s_inst_prefetch 0x1
	s_branch .LBB6_250
	.p2align	6
.LBB6_249:                              ;   in Loop: Header=BB6_250 Depth=3
	s_or_b32 exec_lo, exec_lo, s73
	s_and_b32 s72, exec_lo, s74
	s_or_b32 s23, s72, s23
	s_andn2_b32 s61, s61, exec_lo
	s_and_b32 s72, s62, exec_lo
	s_or_b32 s61, s61, s72
	s_andn2_b32 exec_lo, exec_lo, s23
	s_cbranch_execz .LBB6_254
.LBB6_250:                              ;   Parent Loop BB6_47 Depth=1
                                        ;     Parent Loop BB6_197 Depth=2
                                        ; =>    This Inner Loop Header: Depth=3
	s_add_i32 s63, s63, 1
	s_cmpk_lg_i32 s63, 0x2710
	s_cselect_b32 s72, -1, 0
	s_and_b32 vcc_lo, exec_lo, s72
	s_cbranch_vccz .LBB6_252
; %bb.251:                              ;   in Loop: Header=BB6_250 Depth=3
	s_mov_b32 s74, -1
	s_or_b32 s62, s62, exec_lo
	s_and_saveexec_b32 s73, s72
	s_cbranch_execz .LBB6_249
	s_branch .LBB6_253
	.p2align	6
.LBB6_252:                              ;   in Loop: Header=BB6_250 Depth=3
	s_trap 2
	ds_read_b64 v[9:10], v0
	s_andn2_b32 s72, s72, exec_lo
	s_mov_b32 s63, 0
	s_waitcnt lgkmcnt(0)
	s_waitcnt_vscnt null, 0x0
	flat_load_dword v3, v[9:10] glc dlc
	s_waitcnt vmcnt(0) lgkmcnt(0)
	buffer_gl1_inv
	buffer_gl0_inv
	v_cmp_eq_u32_e32 vcc_lo, 0, v3
	s_and_b32 s73, vcc_lo, exec_lo
	s_or_b32 s72, s72, s73
	s_mov_b32 s74, -1
	s_or_b32 s62, s62, exec_lo
	s_and_saveexec_b32 s73, s72
	s_cbranch_execz .LBB6_249
.LBB6_253:                              ;   in Loop: Header=BB6_250 Depth=3
	s_sleep 1
	s_trap 2
	ds_read_b64 v[9:10], v0
	s_waitcnt lgkmcnt(0)
	buffer_gl0_inv
	s_andn2_b32 s62, s62, exec_lo
	v_cmp_ge_u64_e32 vcc_lo, v[9:10], v[70:71]
	s_orn2_b32 s74, vcc_lo, exec_lo
	s_branch .LBB6_249
.LBB6_254:                              ;   in Loop: Header=BB6_197 Depth=2
	s_inst_prefetch 0x2
	s_or_b32 exec_lo, exec_lo, s23
	s_and_saveexec_b32 s23, s61
	s_xor_b32 s23, exec_lo, s23
	s_cbranch_execz .LBB6_256
; %bb.255:                              ;   in Loop: Header=BB6_197 Depth=2
	ds_write_b32 v0, v59
	s_trap 2
.LBB6_256:                              ;   in Loop: Header=BB6_197 Depth=2
	s_or_b32 exec_lo, exec_lo, s22
	;;#ASMSTART
	s_wakeup
	;;#ASMEND
.LBB6_257:                              ;   in Loop: Header=BB6_197 Depth=2
	s_or_b32 exec_lo, exec_lo, s21
.LBB6_258:                              ;   in Loop: Header=BB6_197 Depth=2
	s_andn2_saveexec_b32 s19, s19
	s_cbranch_execz .LBB6_260
; %bb.259:                              ;   in Loop: Header=BB6_197 Depth=2
	;;#ASMSTART
	s_waitcnt lgkmcnt(0) vmcnt(0)
	;;#ASMEND
	s_barrier
.LBB6_260:                              ;   in Loop: Header=BB6_197 Depth=2
	s_or_b32 exec_lo, exec_lo, s19
	v_and_b32_e32 v3, 16, v44
.LBB6_261:                              ;   in Loop: Header=BB6_197 Depth=2
	s_or_b32 exec_lo, exec_lo, s16
	s_mov_b32 s16, exec_lo
	v_cmpx_ne_u32_e32 0, v3
	s_cbranch_execz .LBB6_196
; %bb.262:                              ;   in Loop: Header=BB6_197 Depth=2
	s_and_saveexec_b32 s19, s10
	s_cbranch_execz .LBB6_195
; %bb.263:                              ;   in Loop: Header=BB6_197 Depth=2
	s_waitcnt vmcnt(0) lgkmcnt(0)
	s_waitcnt_vscnt null, 0x0
	flat_store_dword v[68:69], v59
	s_branch .LBB6_195
.LBB6_264:                              ;   in Loop: Header=BB6_47 Depth=1
	s_or_b32 exec_lo, exec_lo, s18
.LBB6_265:                              ;   in Loop: Header=BB6_47 Depth=1
	s_or_b32 exec_lo, exec_lo, s17
	s_andn2_b32 vcc_lo, exec_lo, s46
	s_cbranch_vccz .LBB6_266
; %bb.16177:                            ;   in Loop: Header=BB6_47 Depth=1
	s_getpc_b64 s[34:35]
.Lpost_getpc29:
	s_add_u32 s34, s34, (.LBB6_5460-.Lpost_getpc29)&4294967295
	s_addc_u32 s35, s35, (.LBB6_5460-.Lpost_getpc29)>>32
	s_setpc_b64 s[34:35]
.LBB6_266:                              ;   in Loop: Header=BB6_47 Depth=1
	s_mov_b32 s18, 2
	s_branch .LBB6_269
.LBB6_267:                              ;   in Loop: Header=BB6_269 Depth=2
	s_or_b32 exec_lo, exec_lo, s19
.LBB6_268:                              ;   in Loop: Header=BB6_269 Depth=2
	s_or_b32 exec_lo, exec_lo, s17
	s_add_i32 s18, s18, 1
	s_cmp_eq_u32 s18, s25
	s_cbranch_scc0 .LBB6_269
; %bb.16179:                            ;   in Loop: Header=BB6_47 Depth=1
	s_getpc_b64 s[34:35]
.Lpost_getpc30:
	s_add_u32 s34, s34, (.LBB6_5460-.Lpost_getpc30)&4294967295
	s_addc_u32 s35, s35, (.LBB6_5460-.Lpost_getpc30)>>32
	s_setpc_b64 s[34:35]
.LBB6_269:                              ;   Parent Loop BB6_47 Depth=1
                                        ; =>  This Loop Header: Depth=2
                                        ;       Child Loop BB6_272 Depth 3
                                        ;         Child Loop BB6_280 Depth 4
                                        ;         Child Loop BB6_308 Depth 4
	;; [unrolled: 1-line block ×9, first 2 shown]
                                        ;       Child Loop BB6_5388 Depth 3
                                        ;         Child Loop BB6_5394 Depth 4
                                        ;         Child Loop BB6_5422 Depth 4
	;; [unrolled: 1-line block ×3, first 2 shown]
	s_clause 0x1
	buffer_load_dword v8, off, s[0:3], s33 offset:204
	buffer_load_dword v9, off, s[0:3], s33 offset:208
	s_sub_i32 s16, s42, s18
	v_mov_b32_e32 v43, 0
	s_cmp_ge_i32 s16, s25
	s_mov_b32 s21, 0
	s_cselect_b32 s17, s25, 0
	s_sub_i32 s16, s16, s17
	s_ashr_i32 s17, s16, 31
	s_waitcnt vmcnt(1)
	v_mad_u64_u32 v[102:103], null, v8, s16, 0
	s_waitcnt vmcnt(0)
	v_mul_lo_u32 v1, v9, s16
	v_mul_lo_u32 v3, v8, s17
	v_add3_u32 v103, v103, v3, v1
	s_clause 0x1
	buffer_load_dword v3, off, s[0:3], s33 offset:196
	buffer_load_dword v4, off, s[0:3], s33 offset:200
	s_waitcnt vmcnt(1)
	v_sub_co_u32 v3, vcc_lo, v3, v102
	s_waitcnt vmcnt(0)
	v_sub_co_ci_u32_e64 v4, null, v4, v103, vcc_lo
	v_cmp_lt_i64_e32 vcc_lo, v[8:9], v[3:4]
	v_cndmask_b32_e32 v3, v3, v8, vcc_lo
	v_max_i32_e32 v42, 0, v3
	v_cmp_lt_i32_e32 vcc_lo, 0, v3
	v_add_nc_u32_e32 v1, 31, v42
	s_and_b32 s16, s57, vcc_lo
	v_lshrrev_b32_e32 v1, 1, v1
	v_and_b32_e32 v4, 0x3ffffff0, v1
	v_mov_b32_e32 v1, 0
	v_max_i32_e32 v100, s45, v4
	s_and_saveexec_b32 s19, s16
	s_cbranch_execnz .LBB6_270
; %bb.16181:                            ;   in Loop: Header=BB6_269 Depth=2
	s_getpc_b64 s[34:35]
.Lpost_getpc31:
	s_add_u32 s34, s34, (.LBB6_5385-.Lpost_getpc31)&4294967295
	s_addc_u32 s35, s35, (.LBB6_5385-.Lpost_getpc31)>>32
	s_setpc_b64 s[34:35]
.LBB6_270:                              ;   in Loop: Header=BB6_269 Depth=2
	v_mov_b32_e32 v43, 0
	s_mov_b32 s23, 1
	s_mov_b32 s22, -1
	s_branch .LBB6_272
.LBB6_271:                              ;   in Loop: Header=BB6_272 Depth=3
	s_or_b32 exec_lo, exec_lo, s16
	v_add_nc_u32_e32 v43, v100, v43
	s_xor_b32 s16, s22, -1
	v_mov_b32_e32 v1, s23
	s_mov_b32 s22, 0
	s_mov_b32 s23, 2
	v_cmp_ge_i32_e32 vcc_lo, v43, v42
	s_or_b32 s16, s16, vcc_lo
	s_and_b32 s16, exec_lo, s16
	s_or_b32 s21, s16, s21
	s_andn2_b32 exec_lo, exec_lo, s21
	s_cbranch_execnz .LBB6_272
; %bb.16183:                            ;   in Loop: Header=BB6_269 Depth=2
	s_getpc_b64 s[34:35]
.Lpost_getpc32:
	s_add_u32 s34, s34, (.LBB6_5384-.Lpost_getpc32)&4294967295
	s_addc_u32 s35, s35, (.LBB6_5384-.Lpost_getpc32)>>32
	s_setpc_b64 s[34:35]
.LBB6_272:                              ;   Parent Loop BB6_47 Depth=1
                                        ;     Parent Loop BB6_269 Depth=2
                                        ; =>    This Loop Header: Depth=3
                                        ;         Child Loop BB6_280 Depth 4
                                        ;         Child Loop BB6_308 Depth 4
                                        ;         Child Loop BB6_327 Depth 4
                                        ;         Child Loop BB6_356 Depth 4
                                        ;         Child Loop BB6_3177 Depth 4
                                        ;         Child Loop BB6_3887 Depth 4
                                        ;         Child Loop BB6_5300 Depth 4
                                        ;         Child Loop BB6_5350 Depth 4
                                        ;         Child Loop BB6_5369 Depth 4
	s_and_saveexec_b32 s16, s4
	s_cbranch_execz .LBB6_274
; %bb.273:                              ;   in Loop: Header=BB6_272 Depth=3
	s_trap 2
	buffer_load_dword v1, off, s[0:3], s33 offset:188 ; 4-byte Folded Reload
	ds_read_b64 v[3:4], v0
	v_ashrrev_i32_e32 v5, 31, v43
	s_waitcnt vmcnt(0) lgkmcnt(0)
	v_add_co_u32 v1, vcc_lo, v3, v1
	buffer_load_dword v3, off, s[0:3], s33 offset:192 ; 4-byte Folded Reload
	s_waitcnt vmcnt(0)
	v_add_co_ci_u32_e64 v3, null, v4, v3, vcc_lo
	v_add_co_u32 v1, vcc_lo, v1, v102
	v_add_co_ci_u32_e64 v3, null, v3, v103, vcc_lo
	v_add_co_u32 v4, vcc_lo, v1, v43
	v_add_co_ci_u32_e64 v5, null, v3, v5, vcc_lo
	v_mov_b32_e32 v3, v2
	ds_write_b64 v0, v[4:5]
	ds_write_b64 v0, v[2:3]
.LBB6_274:                              ;   in Loop: Header=BB6_272 Depth=3
	s_or_b32 exec_lo, exec_lo, s16
	v_sub_nc_u32_e32 v1, v42, v43
	v_and_b32_e32 v3, 12, v44
	s_mov_b32 s17, exec_lo
	v_min_i32_e32 v100, v100, v1
	v_cmpx_ne_u32_e32 0, v3
	s_cbranch_execz .LBB6_300
; %bb.275:                              ;   in Loop: Header=BB6_272 Depth=3
	v_and_b32_e32 v1, 8, v44
	s_mov_b32 s61, exec_lo
	s_waitcnt vmcnt(0) lgkmcnt(1)
	v_add_co_u32 v3, vcc_lo, v80, v1
	v_add_co_ci_u32_e64 v4, null, 0, v81, vcc_lo
	v_add_co_u32 v8, vcc_lo, v96, 2
	v_add_co_ci_u32_e64 v9, null, 0, v97, vcc_lo
	v_cmpx_lt_u64_e64 v[3:4], v[8:9]
	s_cbranch_execz .LBB6_287
; %bb.276:                              ;   in Loop: Header=BB6_272 Depth=3
	v_and_b32_e32 v3, 64, v44
	s_mov_b32 s62, 0
	s_mov_b32 s74, 0
                                        ; implicit-def: $sgpr63
                                        ; implicit-def: $sgpr72
                                        ; implicit-def: $sgpr73
	v_cmp_eq_u32_e32 vcc_lo, 0, v3
	s_branch .LBB6_280
.LBB6_277:                              ;   in Loop: Header=BB6_280 Depth=4
	s_waitcnt vmcnt(0) lgkmcnt(0)
	v_add_co_u32 v4, s16, v80, v1
	v_add_co_ci_u32_e64 v5, null, 0, v81, s16
	s_or_b32 s77, s77, exec_lo
	v_cmp_ge_u64_e64 s16, v[4:5], v[8:9]
	s_orn2_b32 s76, s16, exec_lo
.LBB6_278:                              ;   in Loop: Header=BB6_280 Depth=4
	s_or_b32 exec_lo, exec_lo, s79
	s_andn2_b32 s16, s73, exec_lo
	s_and_b32 s73, s77, exec_lo
	s_andn2_b32 s72, s72, exec_lo
	s_and_b32 s76, s76, exec_lo
	s_or_b32 s73, s16, s73
	s_or_b32 s72, s72, s76
.LBB6_279:                              ;   in Loop: Header=BB6_280 Depth=4
	s_or_b32 exec_lo, exec_lo, s75
	s_and_b32 s16, exec_lo, s72
	s_or_b32 s62, s16, s62
	s_andn2_b32 s16, s63, exec_lo
	s_and_b32 s63, s73, exec_lo
	s_or_b32 s63, s16, s63
	s_andn2_b32 exec_lo, exec_lo, s62
	s_cbranch_execz .LBB6_284
.LBB6_280:                              ;   Parent Loop BB6_47 Depth=1
                                        ;     Parent Loop BB6_269 Depth=2
                                        ;       Parent Loop BB6_272 Depth=3
                                        ; =>      This Inner Loop Header: Depth=4
	s_sleep 1
	s_waitcnt vmcnt(0) lgkmcnt(0)
	flat_load_dwordx2 v[80:81], v[64:65] glc dlc
	s_or_b32 s73, s73, exec_lo
	s_or_b32 s72, s72, exec_lo
                                        ; implicit-def: $vgpr3
	s_and_saveexec_b32 s75, vcc_lo
	s_cbranch_execz .LBB6_279
; %bb.281:                              ;   in Loop: Header=BB6_280 Depth=4
	s_cmpk_lt_i32 s74, 0x270f
	s_mov_b32 s76, -1
	s_cselect_b32 s78, -1, 0
	s_cmpk_gt_i32 s74, 0x270e
	s_cbranch_scc0 .LBB6_283
; %bb.282:                              ;   in Loop: Header=BB6_280 Depth=4
	s_trap 2
	ds_read_b64 v[3:4], v0
	s_andn2_b32 s74, s78, exec_lo
	s_mov_b32 s77, 0
	s_waitcnt vmcnt(0) lgkmcnt(0)
	s_waitcnt_vscnt null, 0x0
	flat_load_dword v3, v[3:4] glc dlc
	s_waitcnt vmcnt(0) lgkmcnt(0)
	buffer_gl1_inv
	buffer_gl0_inv
	v_cmp_eq_u32_e64 s16, 0, v3
	s_and_b32 s16, s16, exec_lo
	s_or_b32 s78, s74, s16
	s_mov_b32 s74, 0
	s_and_saveexec_b32 s79, s78
	s_cbranch_execz .LBB6_278
	s_branch .LBB6_277
.LBB6_283:                              ;   in Loop: Header=BB6_280 Depth=4
	s_add_i32 s74, s74, 1
	s_mov_b32 s77, -1
                                        ; implicit-def: $vgpr3
	s_and_saveexec_b32 s79, s78
	s_cbranch_execz .LBB6_278
	s_branch .LBB6_277
.LBB6_284:                              ;   in Loop: Header=BB6_272 Depth=3
	s_or_b32 exec_lo, exec_lo, s62
	s_xor_b32 s16, s63, -1
	s_and_saveexec_b32 s62, s16
	s_xor_b32 s16, exec_lo, s62
	s_cbranch_execz .LBB6_286
; %bb.285:                              ;   in Loop: Header=BB6_272 Depth=3
	v_or_b32_e32 v44, 64, v44
	s_waitcnt vmcnt(0) lgkmcnt(0)
	s_waitcnt_vscnt null, 0x0
	ds_write_b32 v0, v3
	s_trap 2
.LBB6_286:                              ;   in Loop: Header=BB6_272 Depth=3
	s_or_b32 exec_lo, exec_lo, s16
.LBB6_287:                              ;   in Loop: Header=BB6_272 Depth=3
	s_or_b32 exec_lo, exec_lo, s61
	v_and_b32_e32 v3, 0x108, v44
	s_mov_b32 s16, exec_lo
	;;#ASMSTART
	s_wakeup
	;;#ASMEND
                                        ; implicit-def: $vgpr10_vgpr11
	v_cmpx_ne_u32_e32 0x108, v3
	s_xor_b32 s16, exec_lo, s16
; %bb.288:                              ;   in Loop: Header=BB6_272 Depth=3
	v_and_b32_e32 v10, 7, v96
	v_mov_b32_e32 v11, v2
                                        ; implicit-def: $vgpr96_vgpr97
; %bb.289:                              ;   in Loop: Header=BB6_272 Depth=3
	s_andn2_saveexec_b32 s16, s16
	s_cbranch_execz .LBB6_291
; %bb.290:                              ;   in Loop: Header=BB6_272 Depth=3
	v_and_b32_e32 v10, 7, v96
	v_ashrrev_i32_e32 v101, 31, v100
	v_mov_b32_e32 v11, v2
	v_mad_u64_u32 v[3:4], null, v10, 24, v[6:7]
	flat_store_dwordx2 v[3:4], v[100:101] offset:8
.LBB6_291:                              ;   in Loop: Header=BB6_272 Depth=3
	s_or_b32 exec_lo, exec_lo, s16
	v_and_b32_e32 v3, 0x100, v44
	s_mov_b32 s16, -1
	s_mov_b32 s61, exec_lo
                                        ; implicit-def: $vgpr12_vgpr13
	v_cmpx_ne_u32_e32 0, v3
	s_cbranch_execz .LBB6_295
; %bb.292:                              ;   in Loop: Header=BB6_272 Depth=3
	v_mad_u64_u32 v[14:15], null, v10, 24, v[6:7]
	s_mov_b32 s62, exec_lo
                                        ; implicit-def: $vgpr12_vgpr13
	v_mov_b32_e32 v3, v15
	v_mad_u64_u32 v[3:4], null, v11, 24, v[3:4]
	v_mov_b32_e32 v15, v3
	flat_load_dword v3, v[14:15]
	s_waitcnt vmcnt(0) lgkmcnt(0)
	v_cmp_ne_u32_e32 vcc_lo, 1, v3
	v_cmpx_eq_u32_e32 1, v3
	s_cbranch_execz .LBB6_294
; %bb.293:                              ;   in Loop: Header=BB6_272 Depth=3
	flat_load_dword v12, v[14:15] offset:4 glc dlc
	s_waitcnt vmcnt(0) lgkmcnt(0)
	v_ashrrev_i32_e32 v13, 31, v12
.LBB6_294:                              ;   in Loop: Header=BB6_272 Depth=3
	s_or_b32 exec_lo, exec_lo, s62
	s_orn2_b32 s16, vcc_lo, exec_lo
.LBB6_295:                              ;   in Loop: Header=BB6_272 Depth=3
	s_or_b32 exec_lo, exec_lo, s61
	s_and_saveexec_b32 s61, s16
	s_cbranch_execz .LBB6_297
; %bb.296:                              ;   in Loop: Header=BB6_272 Depth=3
	v_ashrrev_i32_e32 v4, 31, v45
	v_mul_lo_u32 v3, v11, v45
	v_mad_u64_u32 v[12:13], null, v10, v45, 0
	v_mul_lo_u32 v4, v10, v4
	v_add3_u32 v13, v13, v4, v3
.LBB6_297:                              ;   in Loop: Header=BB6_272 Depth=3
	s_or_b32 exec_lo, exec_lo, s61
	v_cmp_eq_u32_e32 vcc_lo, 0, v1
	v_mov_b32_e32 v1, 0x90
	v_and_b32_e32 v5, 0x2000, v44
	s_mov_b32 s16, exec_lo
	v_cndmask_b32_e32 v1, 0xc8, v1, vcc_lo
	v_add_co_u32 v3, vcc_lo, v66, v12
	v_add_co_ci_u32_e64 v4, null, v67, v13, vcc_lo
	v_add_nc_u32_e32 v1, v0, v1
	ds_write_b64 v1, v[3:4] offset:584
	v_cmpx_ne_u32_e32 0, v5
	s_cbranch_execz .LBB6_299
; %bb.298:                              ;   in Loop: Header=BB6_272 Depth=3
	ds_read_b64 v[3:4], v0 offset:872
	s_waitcnt lgkmcnt(0)
	v_add_co_u32 v3, vcc_lo, v3, 1
	v_add_co_ci_u32_e64 v4, null, 0, v4, vcc_lo
	ds_write_b64 v0, v[3:4] offset:872
.LBB6_299:                              ;   in Loop: Header=BB6_272 Depth=3
	s_or_b32 exec_lo, exec_lo, s16
	v_mov_b32_e32 v97, v9
	v_mov_b32_e32 v96, v8
.LBB6_300:                              ;   in Loop: Header=BB6_272 Depth=3
	s_or_b32 exec_lo, exec_lo, s17
	s_and_saveexec_b32 s16, s6
	s_cbranch_execz .LBB6_319
; %bb.301:                              ;   in Loop: Header=BB6_272 Depth=3
	s_and_saveexec_b32 s17, s29
	s_xor_b32 s17, exec_lo, s17
	s_cbranch_execz .LBB6_316
; %bb.302:                              ;   in Loop: Header=BB6_272 Depth=3
	s_and_saveexec_b32 s61, s11
	s_cbranch_execz .LBB6_315
; %bb.303:                              ;   in Loop: Header=BB6_272 Depth=3
	s_mov_b32 s63, exec_lo
	s_mov_b32 s62, exec_lo
	v_mbcnt_lo_u32_b32 v1, s63, 0
	s_waitcnt vmcnt(0) lgkmcnt(0)
	s_waitcnt_vscnt null, 0x0
	buffer_gl1_inv
	buffer_gl0_inv
	v_cmpx_eq_u32_e32 0, v1
	s_cbranch_execz .LBB6_305
; %bb.304:                              ;   in Loop: Header=BB6_272 Depth=3
	s_bcnt1_i32_b32 s63, s63
	v_mov_b32_e32 v4, v2
	v_mov_b32_e32 v3, s63
	ds_add_u64 v0, v[3:4]
	s_trap 2
.LBB6_305:                              ;   in Loop: Header=BB6_272 Depth=3
	s_or_b32 exec_lo, exec_lo, s62
	s_trap 2
	ds_read_b64 v[3:4], v0
	s_waitcnt lgkmcnt(0)
	buffer_gl0_inv
	v_add_co_u32 v70, vcc_lo, v70, v47
	v_add_co_ci_u32_e64 v71, null, 0, v71, vcc_lo
	s_mov_b32 s62, exec_lo
	v_cmpx_lt_u64_e64 v[3:4], v[70:71]
	s_cbranch_execz .LBB6_314
; %bb.306:                              ;   in Loop: Header=BB6_272 Depth=3
	s_mov_b32 s63, 0
	s_mov_b32 s74, 0
                                        ; implicit-def: $sgpr72
                                        ; implicit-def: $sgpr73
	s_inst_prefetch 0x1
	s_branch .LBB6_308
	.p2align	6
.LBB6_307:                              ;   in Loop: Header=BB6_308 Depth=4
	s_or_b32 exec_lo, exec_lo, s76
	s_and_b32 s75, exec_lo, s77
	s_or_b32 s63, s75, s63
	s_andn2_b32 s72, s72, exec_lo
	s_and_b32 s75, s73, exec_lo
	s_or_b32 s72, s72, s75
	s_andn2_b32 exec_lo, exec_lo, s63
	s_cbranch_execz .LBB6_312
.LBB6_308:                              ;   Parent Loop BB6_47 Depth=1
                                        ;     Parent Loop BB6_269 Depth=2
                                        ;       Parent Loop BB6_272 Depth=3
                                        ; =>      This Inner Loop Header: Depth=4
	s_add_i32 s74, s74, 1
	s_cmpk_lg_i32 s74, 0x2710
	s_cselect_b32 s75, -1, 0
	s_and_b32 vcc_lo, exec_lo, s75
	s_cbranch_vccz .LBB6_310
; %bb.309:                              ;   in Loop: Header=BB6_308 Depth=4
	s_mov_b32 s77, -1
	s_or_b32 s73, s73, exec_lo
	s_and_saveexec_b32 s76, s75
	s_cbranch_execz .LBB6_307
	s_branch .LBB6_311
	.p2align	6
.LBB6_310:                              ;   in Loop: Header=BB6_308 Depth=4
	s_trap 2
	ds_read_b64 v[3:4], v0
	s_andn2_b32 s75, s75, exec_lo
	s_mov_b32 s74, 0
	s_waitcnt lgkmcnt(0)
	flat_load_dword v1, v[3:4] glc dlc
	s_waitcnt vmcnt(0) lgkmcnt(0)
	buffer_gl1_inv
	buffer_gl0_inv
	v_cmp_eq_u32_e32 vcc_lo, 0, v1
	s_and_b32 s76, vcc_lo, exec_lo
	s_or_b32 s75, s75, s76
	s_mov_b32 s77, -1
	s_or_b32 s73, s73, exec_lo
	s_and_saveexec_b32 s76, s75
	s_cbranch_execz .LBB6_307
.LBB6_311:                              ;   in Loop: Header=BB6_308 Depth=4
	s_sleep 1
	s_trap 2
	ds_read_b64 v[3:4], v0
	s_waitcnt lgkmcnt(0)
	buffer_gl0_inv
	s_andn2_b32 s73, s73, exec_lo
	v_cmp_ge_u64_e32 vcc_lo, v[3:4], v[70:71]
	s_orn2_b32 s77, vcc_lo, exec_lo
	s_branch .LBB6_307
.LBB6_312:                              ;   in Loop: Header=BB6_272 Depth=3
	s_inst_prefetch 0x2
	s_or_b32 exec_lo, exec_lo, s63
	s_and_saveexec_b32 s63, s72
	s_xor_b32 s63, exec_lo, s63
	s_cbranch_execz .LBB6_314
; %bb.313:                              ;   in Loop: Header=BB6_272 Depth=3
	ds_write_b32 v0, v59
	s_trap 2
.LBB6_314:                              ;   in Loop: Header=BB6_272 Depth=3
	s_or_b32 exec_lo, exec_lo, s62
	;;#ASMSTART
	s_wakeup
	;;#ASMEND
.LBB6_315:                              ;   in Loop: Header=BB6_272 Depth=3
	s_or_b32 exec_lo, exec_lo, s61
.LBB6_316:                              ;   in Loop: Header=BB6_272 Depth=3
	s_andn2_saveexec_b32 s17, s17
	s_cbranch_execz .LBB6_318
; %bb.317:                              ;   in Loop: Header=BB6_272 Depth=3
	s_waitcnt vmcnt(0) lgkmcnt(0)
	s_waitcnt_vscnt null, 0x0
	buffer_gl1_inv
	buffer_gl0_inv
	s_barrier
.LBB6_318:                              ;   in Loop: Header=BB6_272 Depth=3
	s_or_b32 exec_lo, exec_lo, s17
.LBB6_319:                              ;   in Loop: Header=BB6_272 Depth=3
	s_or_b32 exec_lo, exec_lo, s16
	s_trap 2
	ds_read_b32 v1, v0
	v_and_b32_e32 v3, 0x4000, v44
	s_xor_b32 s16, s5, -1
	v_cmp_ne_u32_e32 vcc_lo, 0, v3
	s_and_b32 s17, s16, vcc_lo
	s_and_saveexec_b32 s16, s17
	s_cbranch_execz .LBB6_338
; %bb.320:                              ;   in Loop: Header=BB6_272 Depth=3
	s_and_saveexec_b32 s17, s29
	s_xor_b32 s17, exec_lo, s17
	s_cbranch_execz .LBB6_335
; %bb.321:                              ;   in Loop: Header=BB6_272 Depth=3
	s_and_saveexec_b32 s61, s11
	s_cbranch_execz .LBB6_334
; %bb.322:                              ;   in Loop: Header=BB6_272 Depth=3
	s_mov_b32 s63, exec_lo
	s_mov_b32 s62, exec_lo
	v_mbcnt_lo_u32_b32 v3, s63, 0
	s_waitcnt vmcnt(0) lgkmcnt(0)
	s_waitcnt_vscnt null, 0x0
	buffer_gl1_inv
	buffer_gl0_inv
	v_cmpx_eq_u32_e32 0, v3
	s_cbranch_execz .LBB6_324
; %bb.323:                              ;   in Loop: Header=BB6_272 Depth=3
	s_bcnt1_i32_b32 s63, s63
	v_mov_b32_e32 v4, v2
	v_mov_b32_e32 v3, s63
	ds_add_u64 v0, v[3:4]
	s_trap 2
.LBB6_324:                              ;   in Loop: Header=BB6_272 Depth=3
	s_or_b32 exec_lo, exec_lo, s62
	s_trap 2
	ds_read_b64 v[3:4], v0
	s_waitcnt lgkmcnt(0)
	buffer_gl0_inv
	v_add_co_u32 v70, vcc_lo, v70, v47
	v_add_co_ci_u32_e64 v71, null, 0, v71, vcc_lo
	s_mov_b32 s62, exec_lo
	v_cmpx_lt_u64_e64 v[3:4], v[70:71]
	s_cbranch_execz .LBB6_333
; %bb.325:                              ;   in Loop: Header=BB6_272 Depth=3
	s_mov_b32 s63, 0
	s_mov_b32 s74, 0
                                        ; implicit-def: $sgpr72
                                        ; implicit-def: $sgpr73
	s_inst_prefetch 0x1
	s_branch .LBB6_327
	.p2align	6
.LBB6_326:                              ;   in Loop: Header=BB6_327 Depth=4
	s_or_b32 exec_lo, exec_lo, s76
	s_and_b32 s75, exec_lo, s77
	s_or_b32 s63, s75, s63
	s_andn2_b32 s72, s72, exec_lo
	s_and_b32 s75, s73, exec_lo
	s_or_b32 s72, s72, s75
	s_andn2_b32 exec_lo, exec_lo, s63
	s_cbranch_execz .LBB6_331
.LBB6_327:                              ;   Parent Loop BB6_47 Depth=1
                                        ;     Parent Loop BB6_269 Depth=2
                                        ;       Parent Loop BB6_272 Depth=3
                                        ; =>      This Inner Loop Header: Depth=4
	s_add_i32 s74, s74, 1
	s_cmpk_lg_i32 s74, 0x2710
	s_cselect_b32 s75, -1, 0
	s_and_b32 vcc_lo, exec_lo, s75
	s_cbranch_vccz .LBB6_329
; %bb.328:                              ;   in Loop: Header=BB6_327 Depth=4
	s_mov_b32 s77, -1
	s_or_b32 s73, s73, exec_lo
	s_and_saveexec_b32 s76, s75
	s_cbranch_execz .LBB6_326
	s_branch .LBB6_330
	.p2align	6
.LBB6_329:                              ;   in Loop: Header=BB6_327 Depth=4
	s_trap 2
	ds_read_b64 v[3:4], v0
	s_andn2_b32 s75, s75, exec_lo
	s_mov_b32 s74, 0
	s_waitcnt lgkmcnt(0)
	flat_load_dword v3, v[3:4] glc dlc
	s_waitcnt vmcnt(0) lgkmcnt(0)
	buffer_gl1_inv
	buffer_gl0_inv
	v_cmp_eq_u32_e32 vcc_lo, 0, v3
	s_and_b32 s76, vcc_lo, exec_lo
	s_or_b32 s75, s75, s76
	s_mov_b32 s77, -1
	s_or_b32 s73, s73, exec_lo
	s_and_saveexec_b32 s76, s75
	s_cbranch_execz .LBB6_326
.LBB6_330:                              ;   in Loop: Header=BB6_327 Depth=4
	s_sleep 1
	s_trap 2
	ds_read_b64 v[3:4], v0
	s_waitcnt lgkmcnt(0)
	buffer_gl0_inv
	s_andn2_b32 s73, s73, exec_lo
	v_cmp_ge_u64_e32 vcc_lo, v[3:4], v[70:71]
	s_orn2_b32 s77, vcc_lo, exec_lo
	s_branch .LBB6_326
.LBB6_331:                              ;   in Loop: Header=BB6_272 Depth=3
	s_inst_prefetch 0x2
	s_or_b32 exec_lo, exec_lo, s63
	s_and_saveexec_b32 s63, s72
	s_xor_b32 s63, exec_lo, s63
	s_cbranch_execz .LBB6_333
; %bb.332:                              ;   in Loop: Header=BB6_272 Depth=3
	ds_write_b32 v0, v59
	s_trap 2
.LBB6_333:                              ;   in Loop: Header=BB6_272 Depth=3
	s_or_b32 exec_lo, exec_lo, s62
	;;#ASMSTART
	s_wakeup
	;;#ASMEND
.LBB6_334:                              ;   in Loop: Header=BB6_272 Depth=3
	s_or_b32 exec_lo, exec_lo, s61
.LBB6_335:                              ;   in Loop: Header=BB6_272 Depth=3
	s_andn2_saveexec_b32 s17, s17
	s_cbranch_execz .LBB6_337
; %bb.336:                              ;   in Loop: Header=BB6_272 Depth=3
	s_waitcnt vmcnt(0) lgkmcnt(0)
	s_waitcnt_vscnt null, 0x0
	buffer_gl1_inv
	buffer_gl0_inv
	s_barrier
.LBB6_337:                              ;   in Loop: Header=BB6_272 Depth=3
	s_or_b32 exec_lo, exec_lo, s17
.LBB6_338:                              ;   in Loop: Header=BB6_272 Depth=3
	s_or_b32 exec_lo, exec_lo, s16
	s_trap 2
	ds_read_b64 v[112:113], v0
	s_waitcnt lgkmcnt(0)
	v_cmp_eq_u64_e32 vcc_lo, 0, v[112:113]
	s_cbranch_vccnz .LBB6_346
; %bb.339:                              ;   in Loop: Header=BB6_272 Depth=3
	s_trap 2
	ds_read_b64 v[114:115], v0
	s_waitcnt lgkmcnt(0)
	v_cmp_eq_u64_e32 vcc_lo, 0, v[114:115]
	s_cbranch_vccnz .LBB6_346
; %bb.340:                              ;   in Loop: Header=BB6_272 Depth=3
	s_trap 2
	ds_read_b64 v[3:4], v0
	s_mov_b32 s16, -1
	s_waitcnt lgkmcnt(0)
	v_readfirstlane_b32 s61, v3
	s_and_saveexec_b32 s17, s14
	s_cbranch_execz .LBB6_342
; %bb.341:                              ;   in Loop: Header=BB6_272 Depth=3
	ds_read_b32 v3, v0 offset:720
	s_waitcnt lgkmcnt(0)
	v_and_b32_e32 v3, 15, v3
	v_cmp_eq_u32_e32 vcc_lo, 0, v3
	s_orn2_b32 s16, vcc_lo, exec_lo
.LBB6_342:                              ;   in Loop: Header=BB6_272 Depth=3
	s_or_b32 exec_lo, exec_lo, s17
	s_and_saveexec_b32 s17, s13
	s_cbranch_execz .LBB6_344
; %bb.343:                              ;   in Loop: Header=BB6_272 Depth=3
	ds_read_b32 v3, v0 offset:784
	s_waitcnt lgkmcnt(0)
	v_and_b32_e32 v3, 15, v3
	v_cmp_eq_u32_e32 vcc_lo, 0, v3
	s_and_b32 s62, s16, vcc_lo
	s_andn2_b32 s16, s16, exec_lo
	s_and_b32 s62, s62, exec_lo
	s_or_b32 s16, s16, s62
.LBB6_344:                              ;   in Loop: Header=BB6_272 Depth=3
	s_or_b32 exec_lo, exec_lo, s17
	v_cmp_eq_u32_e32 vcc_lo, 0, v1
	s_xor_b32 s16, s16, -1
	s_waitcnt vmcnt(0)
	v_mov_b32_e32 v14, v0
	v_cndmask_b32_e64 v4, 0, 1, s16
	s_mov_b32 s16, -1
	v_cndmask_b32_e32 v3, 0, v100, vcc_lo
	v_cmp_ne_u32_e32 vcc_lo, 0, v4
	v_mov_b32_e32 v4, 0
	v_mov_b32_e32 v5, v3
	s_cbranch_vccz .LBB6_351
; %bb.345:                              ;   in Loop: Header=BB6_272 Depth=3
	s_and_saveexec_b32 s17, s16
	s_cbranch_execnz .LBB6_3882
; %bb.16159:                            ;   in Loop: Header=BB6_272 Depth=3
	s_getpc_b64 s[34:35]
.Lpost_getpc20:
	s_add_u32 s34, s34, (.LBB6_5342-.Lpost_getpc20)&4294967295
	s_addc_u32 s35, s35, (.LBB6_5342-.Lpost_getpc20)>>32
	s_setpc_b64 s[34:35]
.LBB6_346:                              ;   in Loop: Header=BB6_272 Depth=3
	s_mov_b32 s16, 0
	s_and_saveexec_b32 s17, s6
	s_cbranch_execz .LBB6_347
; %bb.16185:                            ;   in Loop: Header=BB6_272 Depth=3
	s_getpc_b64 s[34:35]
.Lpost_getpc33:
	s_add_u32 s34, s34, (.LBB6_5343-.Lpost_getpc33)&4294967295
	s_addc_u32 s35, s35, (.LBB6_5343-.Lpost_getpc33)>>32
	s_setpc_b64 s[34:35]
.LBB6_347:                              ;   in Loop: Header=BB6_272 Depth=3
	s_or_b32 exec_lo, exec_lo, s17
                                        ; implicit-def: $vgpr1
	s_and_saveexec_b32 s17, s15
	s_xor_b32 s17, exec_lo, s17
	s_cbranch_execnz .LBB6_348
; %bb.16187:                            ;   in Loop: Header=BB6_272 Depth=3
	s_getpc_b64 s[34:35]
.Lpost_getpc34:
	s_add_u32 s34, s34, (.LBB6_5361-.Lpost_getpc34)&4294967295
	s_addc_u32 s35, s35, (.LBB6_5361-.Lpost_getpc34)>>32
	s_setpc_b64 s[34:35]
.LBB6_348:                              ;   in Loop: Header=BB6_272 Depth=3
	v_and_b32_e32 v1, 16, v44
	v_cmp_ne_u32_e32 vcc_lo, 0, v1
	v_and_b32_e32 v1, 16, v44
	s_and_b32 s61, vcc_lo, s16
	s_and_saveexec_b32 s16, s61
	s_cbranch_execz .LBB6_350
; %bb.349:                              ;   in Loop: Header=BB6_272 Depth=3
	v_mov_b32_e32 v1, 1
	s_waitcnt vmcnt(0) lgkmcnt(0)
	s_waitcnt_vscnt null, 0x0
	buffer_gl1_inv
	buffer_gl0_inv
.LBB6_350:                              ;   in Loop: Header=BB6_272 Depth=3
	s_or_b32 exec_lo, exec_lo, s16
	s_andn2_saveexec_b32 s16, s17
	s_cbranch_execnz .LBB6_16161
; %bb.16189:                            ;   in Loop: Header=BB6_272 Depth=3
	s_getpc_b64 s[34:35]
.Lpost_getpc35:
	s_add_u32 s34, s34, (.LBB6_5380-.Lpost_getpc35)&4294967295
	s_addc_u32 s35, s35, (.LBB6_5380-.Lpost_getpc35)>>32
	s_setpc_b64 s[34:35]
.LBB6_16161:                            ;   in Loop: Header=BB6_272 Depth=3
	s_getpc_b64 s[34:35]
.Lpost_getpc21:
	s_add_u32 s34, s34, (.LBB6_5362-.Lpost_getpc21)&4294967295
	s_addc_u32 s35, s35, (.LBB6_5362-.Lpost_getpc21)>>32
	s_setpc_b64 s[34:35]
.LBB6_351:                              ;   in Loop: Header=BB6_272 Depth=3
	v_ashrrev_i32_e32 v1, 31, v3
	s_mov_b32 s17, exec_lo
	v_lshrrev_b32_e32 v1, 21, v1
	v_add_nc_u32_e32 v1, v3, v1
	v_ashrrev_i32_e32 v107, 11, v1
	v_lshrrev_b32_e32 v1, 5, v0
	v_sub_nc_u32_e32 v101, v107, v1
	v_cmpx_lt_i32_e32 0, v101
	s_cbranch_execz .LBB6_3171
; %bb.352:                              ;   in Loop: Header=BB6_272 Depth=3
	s_trap 2
	buffer_load_dword v1, off, s[0:3], s33 offset:212 ; 4-byte Folded Reload
	ds_read_b64 v[4:5], v0
	s_bitcmp1_b32 s61, 0
	s_mov_b32 s62, 0
	s_cselect_b32 s63, -1, 0
	s_waitcnt vmcnt(0)
	v_add_co_u32 v116, vcc_lo, v112, v1
	v_add_co_ci_u32_e64 v117, null, 0, v113, vcc_lo
	s_waitcnt lgkmcnt(0)
	v_add_co_u32 v118, vcc_lo, v4, v1
	v_add_co_ci_u32_e64 v119, null, 0, v5, vcc_lo
	v_add_co_u32 v40, vcc_lo, v114, v1
	v_add_co_ci_u32_e64 v41, null, 0, v115, vcc_lo
	s_branch .LBB6_356
.LBB6_353:                              ;   in Loop: Header=BB6_356 Depth=4
	s_or_b32 exec_lo, exec_lo, s16
	v_lshrrev_b32_e32 v15, 20, v105
	v_min_i32_e32 v87, 15, v86
	v_cmp_gt_i32_e32 vcc_lo, 16, v86
	v_and_b32_sdwa v11, v60, v62 dst_sel:DWORD dst_unused:UNUSED_PAD src0_sel:BYTE_3 src1_sel:DWORD
	v_lshlrev_b32_e32 v87, 3, v87
	v_cndmask_b32_e32 v15, 7, v15, vcc_lo
	v_and_b32_e32 v87, 0xf8, v87
	v_or_b32_e32 v86, v86, v15
	v_and_b32_e32 v15, 7, v15
	v_cmp_ne_u32_e32 vcc_lo, 0, v86
	v_or3_b32 v11, v11, v87, v15
	v_lshlrev_b32_e32 v11, 8, v11
	v_cndmask_b32_e32 v11, 0, v11, vcc_lo
.LBB6_354:                              ;   in Loop: Header=BB6_356 Depth=4
	s_or_b32 exec_lo, exec_lo, s73
.LBB6_355:                              ;   in Loop: Header=BB6_356 Depth=4
	s_or_b32 exec_lo, exec_lo, s72
	v_or_b32_sdwa v1, v18, v1 dst_sel:WORD_1 dst_unused:UNUSED_PAD src0_sel:DWORD src1_sel:DWORD
	v_or_b32_sdwa v15, v17, v56 dst_sel:WORD_1 dst_unused:UNUSED_PAD src0_sel:DWORD src1_sel:DWORD
	v_add_co_u32 v116, vcc_lo, v116, v78
	v_sub_nc_u32_e32 v101, v101, v47
	v_or3_b32 v18, v31, v21, v1
	v_or_b32_sdwa v1, v19, v124 dst_sel:WORD_1 dst_unused:UNUSED_PAD src0_sel:DWORD src1_sel:DWORD
	v_or3_b32 v17, v83, v20, v15
	v_or_b32_sdwa v15, v16, v82 dst_sel:WORD_1 dst_unused:UNUSED_PAD src0_sel:DWORD src1_sel:DWORD
	v_add_co_ci_u32_e64 v117, null, 0, v117, vcc_lo
	v_or3_b32 v19, v123, v22, v1
	v_or_b32_sdwa v1, v25, v28 dst_sel:WORD_1 dst_unused:UNUSED_PAD src0_sel:DWORD src1_sel:DWORD
	v_or3_b32 v16, v35, v27, v15
	v_add_co_u32 v118, vcc_lo, v118, v78
	v_add_co_ci_u32_e64 v119, null, 0, v119, vcc_lo
	v_or3_b32 v25, v55, v32, v1
	v_or_b32_sdwa v1, v24, v54 dst_sel:WORD_1 dst_unused:UNUSED_PAD src0_sel:DWORD src1_sel:DWORD
	v_or3_b32 v24, v30, v51, v1
	v_or_b32_sdwa v1, v26, v84 dst_sel:WORD_1 dst_unused:UNUSED_PAD src0_sel:DWORD src1_sel:DWORD
	;; [unrolled: 2-line block ×11, first 2 shown]
	v_or3_b32 v11, v74, v14, v1
	global_store_dwordx4 v[40:41], v[28:31], off glc slc
	global_store_dwordx4 v[40:41], v[24:27], off offset:512 glc slc
	global_store_dwordx4 v[40:41], v[16:19], off offset:1024 glc slc
	;; [unrolled: 1-line block ×3, first 2 shown]
	v_add_co_u32 v40, vcc_lo, v40, v78
	v_add_co_ci_u32_e64 v41, null, 0, v41, vcc_lo
	v_cmp_gt_i32_e32 vcc_lo, 1, v101
	s_or_b32 s62, vcc_lo, s62
	s_andn2_b32 exec_lo, exec_lo, s62
	s_cbranch_execz .LBB6_3170
.LBB6_356:                              ;   Parent Loop BB6_47 Depth=1
                                        ;     Parent Loop BB6_269 Depth=2
                                        ;       Parent Loop BB6_272 Depth=3
                                        ; =>      This Inner Loop Header: Depth=4
	s_clause 0x3
	global_load_dwordx4 v[48:51], v[116:117], off slc
	global_load_dwordx4 v[32:35], v[116:117], off offset:512 slc
	global_load_dwordx4 v[20:23], v[116:117], off offset:1024 slc
	;; [unrolled: 1-line block ×3, first 2 shown]
	s_clause 0x3
	global_load_dwordx4 v[36:39], v[118:119], off slc
	global_load_dwordx4 v[24:27], v[118:119], off offset:512 slc
	global_load_dwordx4 v[16:19], v[118:119], off offset:1024 slc
	;; [unrolled: 1-line block ×3, first 2 shown]
	s_and_b32 vcc_lo, exec_lo, s63
	s_mov_b32 s16, -1
                                        ; implicit-def: $vgpr1
	s_waitcnt vmcnt(7)
	v_cmp_gt_i16_sdwa s72, v48, v61 src0_sel:BYTE_0 src1_sel:DWORD
	s_cbranch_vccz .LBB6_370
; %bb.357:                              ;   in Loop: Header=BB6_356 Depth=4
	s_mov_b32 s16, 0
	s_and_saveexec_b32 s73, s72
	s_xor_b32 s72, exec_lo, s73
	s_cbranch_execz .LBB6_2658
; %bb.358:                              ;   in Loop: Header=BB6_356 Depth=4
	v_cmp_eq_u16_sdwa s74, v48, v62 src0_sel:BYTE_0 src1_sel:DWORD
	s_mov_b32 s16, -1
	s_and_saveexec_b32 s73, s74
; %bb.359:                              ;   in Loop: Header=BB6_356 Depth=4
	s_xor_b32 s16, exec_lo, -1
; %bb.360:                              ;   in Loop: Header=BB6_356 Depth=4
	s_or_b32 exec_lo, exec_lo, s73
	s_and_b32 s16, s16, exec_lo
	s_or_saveexec_b32 s72, s72
	v_mov_b32_e32 v1, 0x7f800001
	s_xor_b32 exec_lo, exec_lo, s72
	s_cbranch_execnz .LBB6_2659
.LBB6_361:                              ;   in Loop: Header=BB6_356 Depth=4
	s_or_b32 exec_lo, exec_lo, s72
	s_and_saveexec_b32 s72, s16
	s_cbranch_execz .LBB6_363
.LBB6_362:                              ;   in Loop: Header=BB6_356 Depth=4
	v_and_b32_e32 v1, 7, v48
	v_bfe_u32 v28, v48, 3, 4
	v_lshlrev_b32_e32 v29, 24, v48
	v_ffbh_u32_e32 v4, v1
	v_cmp_eq_u32_e32 vcc_lo, 0, v28
	v_min_u32_e32 v4, 32, v4
	v_subrev_nc_u32_e32 v5, 28, v4
	v_sub_nc_u32_e32 v4, 29, v4
	v_lshlrev_b32_e32 v5, v5, v48
	v_cndmask_b32_e32 v4, v28, v4, vcc_lo
	v_and_b32_e32 v5, 7, v5
	v_lshl_add_u32 v4, v4, 23, 0x3b800000
	v_cndmask_b32_e32 v1, v1, v5, vcc_lo
	v_and_b32_e32 v5, 0x80000000, v29
	v_lshlrev_b32_e32 v1, 20, v1
	v_or3_b32 v1, v5, v4, v1
.LBB6_363:                              ;   in Loop: Header=BB6_356 Depth=4
	s_or_b32 exec_lo, exec_lo, s72
	s_waitcnt vmcnt(3)
	v_cmp_gt_i16_sdwa s72, v36, v61 src0_sel:BYTE_0 src1_sel:DWORD
	s_mov_b32 s16, 0
	s_and_saveexec_b32 s73, s72
	s_xor_b32 s72, exec_lo, s73
	s_cbranch_execz .LBB6_2660
; %bb.364:                              ;   in Loop: Header=BB6_356 Depth=4
	v_cmp_eq_u16_sdwa s74, v36, v62 src0_sel:BYTE_0 src1_sel:DWORD
	s_mov_b32 s16, -1
	s_and_saveexec_b32 s73, s74
; %bb.365:                              ;   in Loop: Header=BB6_356 Depth=4
	s_xor_b32 s16, exec_lo, -1
; %bb.366:                              ;   in Loop: Header=BB6_356 Depth=4
	s_or_b32 exec_lo, exec_lo, s73
	s_and_b32 s16, s16, exec_lo
	s_or_saveexec_b32 s72, s72
	v_mov_b32_e32 v4, 0x7f800001
	s_xor_b32 exec_lo, exec_lo, s72
	s_cbranch_execnz .LBB6_2661
.LBB6_367:                              ;   in Loop: Header=BB6_356 Depth=4
	s_or_b32 exec_lo, exec_lo, s72
	s_and_saveexec_b32 s72, s16
	s_cbranch_execz .LBB6_369
.LBB6_368:                              ;   in Loop: Header=BB6_356 Depth=4
	v_and_b32_e32 v4, 7, v36
	v_bfe_u32 v29, v36, 3, 4
	v_lshlrev_b32_e32 v30, 24, v36
	v_ffbh_u32_e32 v5, v4
	v_cmp_eq_u32_e32 vcc_lo, 0, v29
	v_min_u32_e32 v5, 32, v5
	v_subrev_nc_u32_e32 v28, 28, v5
	v_sub_nc_u32_e32 v5, 29, v5
	v_lshlrev_b32_e32 v28, v28, v36
	v_cndmask_b32_e32 v5, v29, v5, vcc_lo
	v_and_b32_e32 v28, 7, v28
	v_lshl_add_u32 v5, v5, 23, 0x3b800000
	v_cndmask_b32_e32 v4, v4, v28, vcc_lo
	v_and_b32_e32 v28, 0x80000000, v30
	v_lshlrev_b32_e32 v4, 20, v4
	v_or3_b32 v4, v28, v5, v4
.LBB6_369:                              ;   in Loop: Header=BB6_356 Depth=4
	s_or_b32 exec_lo, exec_lo, s72
	v_max_f32_e32 v4, v4, v4
	v_max_f32_e32 v1, v1, v1
	s_mov_b32 s16, 0
	v_max_f32_e32 v1, v1, v4
.LBB6_370:                              ;   in Loop: Header=BB6_356 Depth=4
	s_and_b32 vcc_lo, exec_lo, s16
	s_cbranch_vccz .LBB6_384
; %bb.371:                              ;   in Loop: Header=BB6_356 Depth=4
	v_cmp_gt_i16_sdwa s72, v48, v61 src0_sel:BYTE_0 src1_sel:DWORD
	s_mov_b32 s16, 0
	s_and_saveexec_b32 s73, s72
	s_xor_b32 s72, exec_lo, s73
	s_cbranch_execz .LBB6_2662
; %bb.372:                              ;   in Loop: Header=BB6_356 Depth=4
	v_cmp_eq_u16_sdwa s74, v48, v62 src0_sel:BYTE_0 src1_sel:DWORD
	s_mov_b32 s16, -1
	s_and_saveexec_b32 s73, s74
; %bb.373:                              ;   in Loop: Header=BB6_356 Depth=4
	s_xor_b32 s16, exec_lo, -1
; %bb.374:                              ;   in Loop: Header=BB6_356 Depth=4
	s_or_b32 exec_lo, exec_lo, s73
	s_and_b32 s16, s16, exec_lo
	s_or_saveexec_b32 s72, s72
	v_mov_b32_e32 v1, 0x7f800001
	s_xor_b32 exec_lo, exec_lo, s72
	s_cbranch_execnz .LBB6_2663
.LBB6_375:                              ;   in Loop: Header=BB6_356 Depth=4
	s_or_b32 exec_lo, exec_lo, s72
	s_and_saveexec_b32 s72, s16
	s_cbranch_execz .LBB6_377
.LBB6_376:                              ;   in Loop: Header=BB6_356 Depth=4
	v_and_b32_e32 v1, 7, v48
	v_bfe_u32 v28, v48, 3, 4
	v_lshlrev_b32_e32 v29, 24, v48
	v_ffbh_u32_e32 v4, v1
	v_cmp_eq_u32_e32 vcc_lo, 0, v28
	v_min_u32_e32 v4, 32, v4
	v_subrev_nc_u32_e32 v5, 28, v4
	v_sub_nc_u32_e32 v4, 29, v4
	v_lshlrev_b32_e32 v5, v5, v48
	v_cndmask_b32_e32 v4, v28, v4, vcc_lo
	v_and_b32_e32 v5, 7, v5
	v_lshl_add_u32 v4, v4, 23, 0x3b800000
	v_cndmask_b32_e32 v1, v1, v5, vcc_lo
	v_and_b32_e32 v5, 0x80000000, v29
	v_lshlrev_b32_e32 v1, 20, v1
	v_or3_b32 v1, v5, v4, v1
.LBB6_377:                              ;   in Loop: Header=BB6_356 Depth=4
	s_or_b32 exec_lo, exec_lo, s72
	s_waitcnt vmcnt(3)
	v_cmp_gt_i16_sdwa s72, v36, v61 src0_sel:BYTE_0 src1_sel:DWORD
	s_mov_b32 s16, 0
	s_and_saveexec_b32 s73, s72
	s_xor_b32 s72, exec_lo, s73
	s_cbranch_execz .LBB6_2664
; %bb.378:                              ;   in Loop: Header=BB6_356 Depth=4
	v_cmp_eq_u16_sdwa s74, v36, v62 src0_sel:BYTE_0 src1_sel:DWORD
	s_mov_b32 s16, -1
	s_and_saveexec_b32 s73, s74
; %bb.379:                              ;   in Loop: Header=BB6_356 Depth=4
	s_xor_b32 s16, exec_lo, -1
; %bb.380:                              ;   in Loop: Header=BB6_356 Depth=4
	s_or_b32 exec_lo, exec_lo, s73
	s_and_b32 s16, s16, exec_lo
	s_or_saveexec_b32 s72, s72
	v_mov_b32_e32 v4, 0x7f800001
	s_xor_b32 exec_lo, exec_lo, s72
	s_cbranch_execnz .LBB6_2665
.LBB6_381:                              ;   in Loop: Header=BB6_356 Depth=4
	s_or_b32 exec_lo, exec_lo, s72
	s_and_saveexec_b32 s72, s16
	s_cbranch_execz .LBB6_383
.LBB6_382:                              ;   in Loop: Header=BB6_356 Depth=4
	v_and_b32_e32 v4, 7, v36
	v_bfe_u32 v29, v36, 3, 4
	v_lshlrev_b32_e32 v30, 24, v36
	v_ffbh_u32_e32 v5, v4
	v_cmp_eq_u32_e32 vcc_lo, 0, v29
	v_min_u32_e32 v5, 32, v5
	v_subrev_nc_u32_e32 v28, 28, v5
	v_sub_nc_u32_e32 v5, 29, v5
	v_lshlrev_b32_e32 v28, v28, v36
	v_cndmask_b32_e32 v5, v29, v5, vcc_lo
	v_and_b32_e32 v28, 7, v28
	v_lshl_add_u32 v5, v5, 23, 0x3b800000
	v_cndmask_b32_e32 v4, v4, v28, vcc_lo
	v_and_b32_e32 v28, 0x80000000, v30
	v_lshlrev_b32_e32 v4, 20, v4
	v_or3_b32 v4, v28, v5, v4
.LBB6_383:                              ;   in Loop: Header=BB6_356 Depth=4
	s_or_b32 exec_lo, exec_lo, s72
	v_max_f32_e32 v4, v4, v4
	v_max_f32_e32 v1, v1, v1
	v_min_f32_e32 v1, v1, v4
.LBB6_384:                              ;   in Loop: Header=BB6_356 Depth=4
	v_and_b32_e32 v4, 0x7f800000, v1
	v_mov_b32_e32 v108, 0x80
	s_mov_b32 s72, exec_lo
	v_cmpx_ne_u32_e32 0x7f800000, v4
	s_cbranch_execz .LBB6_392
; %bb.385:                              ;   in Loop: Header=BB6_356 Depth=4
	v_mov_b32_e32 v108, 0
	s_mov_b32 s73, exec_lo
	v_cmpx_ne_u32_e32 0, v1
	s_cbranch_execz .LBB6_391
; %bb.386:                              ;   in Loop: Header=BB6_356 Depth=4
	v_bfe_u32 v4, v1, 23, 8
	v_and_b32_e32 v5, 0x7fffff, v1
	v_sub_nc_u32_e32 v28, 0x78, v4
	v_cmp_gt_u32_e32 vcc_lo, 0x79, v4
	v_or_b32_e32 v29, 0x800000, v5
	v_cndmask_b32_e32 v28, 0, v28, vcc_lo
	v_cmp_eq_u32_e32 vcc_lo, 0, v4
	v_add_nc_u32_e32 v4, 0xffffff89, v4
	v_cndmask_b32_e64 v28, v28, 0x77, vcc_lo
	v_cndmask_b32_e32 v5, v29, v5, vcc_lo
	v_cndmask_b32_e64 v4, v4, 0xffffff8a, vcc_lo
	v_lshl_add_u32 v29, 0x100000, v28, -1
	v_lshrrev_b32_e32 v30, v28, v5
	v_lshlrev_b32_e64 v52, v28, 0x80000
	v_add_nc_u32_e32 v28, v28, v4
	v_and_b32_e32 v5, v29, v5
	v_bfe_u32 v31, v30, 20, 1
	v_cmp_eq_u32_e64 s16, v5, v52
	v_add_nc_u32_e32 v29, -1, v31
	v_cndmask_b32_e64 v5, 0, v29, s16
	v_lshrrev_b32_e32 v29, 23, v30
	s_mov_b32 s16, exec_lo
	v_add_nc_u32_e32 v5, v5, v30
	v_xor_b32_e32 v29, 1, v29
	v_and_b32_e32 v4, 0xfffff, v5
	v_add_nc_u32_e32 v5, v4, v30
                                        ; implicit-def: $vgpr4
	v_cmpx_ne_u32_e64 v28, v29
	s_xor_b32 s16, exec_lo, s16
; %bb.387:                              ;   in Loop: Header=BB6_356 Depth=4
	v_cmp_lt_u32_e32 vcc_lo, 0xffffff, v5
	v_sub_nc_u32_e32 v4, v28, v29
	v_cndmask_b32_e64 v28, 0, 1, vcc_lo
	v_add_co_ci_u32_e64 v4, null, 0, v4, vcc_lo
	v_lshrrev_b32_e32 v5, v28, v5
; %bb.388:                              ;   in Loop: Header=BB6_356 Depth=4
	s_andn2_saveexec_b32 s16, s16
; %bb.389:                              ;   in Loop: Header=BB6_356 Depth=4
	v_bfe_u32 v4, v5, 23, 1
; %bb.390:                              ;   in Loop: Header=BB6_356 Depth=4
	s_or_b32 exec_lo, exec_lo, s16
	v_lshrrev_b32_e32 v5, 20, v5
	v_min_i32_e32 v28, 15, v4
	v_cmp_gt_i32_e32 vcc_lo, 16, v4
	v_and_b32_sdwa v1, v1, v62 dst_sel:DWORD dst_unused:UNUSED_PAD src0_sel:BYTE_3 src1_sel:DWORD
	v_lshlrev_b32_e32 v28, 3, v28
	v_cndmask_b32_e32 v5, 7, v5, vcc_lo
	v_and_b32_e32 v28, 0xf8, v28
	v_and_b32_e32 v29, 7, v5
	v_or_b32_e32 v4, v4, v5
	v_or3_b32 v1, v28, v1, v29
	v_cmp_ne_u32_e32 vcc_lo, 0, v4
	v_cndmask_b32_e32 v108, 0, v1, vcc_lo
.LBB6_391:                              ;   in Loop: Header=BB6_356 Depth=4
	s_or_b32 exec_lo, exec_lo, s73
.LBB6_392:                              ;   in Loop: Header=BB6_356 Depth=4
	s_or_b32 exec_lo, exec_lo, s72
	v_cmp_gt_i16_sdwa s72, v48, v61 src0_sel:BYTE_1 src1_sel:DWORD
	s_and_b32 vcc_lo, exec_lo, s63
	s_mov_b32 s16, -1
                                        ; implicit-def: $vgpr1
	s_cbranch_vccz .LBB6_406
; %bb.393:                              ;   in Loop: Header=BB6_356 Depth=4
	s_mov_b32 s16, 0
	s_and_saveexec_b32 s73, s72
	s_xor_b32 s72, exec_lo, s73
	s_cbranch_execz .LBB6_2666
; %bb.394:                              ;   in Loop: Header=BB6_356 Depth=4
	v_cmp_eq_u16_sdwa s74, v48, v62 src0_sel:BYTE_1 src1_sel:DWORD
	s_mov_b32 s16, -1
	s_and_saveexec_b32 s73, s74
; %bb.395:                              ;   in Loop: Header=BB6_356 Depth=4
	s_xor_b32 s16, exec_lo, -1
; %bb.396:                              ;   in Loop: Header=BB6_356 Depth=4
	s_or_b32 exec_lo, exec_lo, s73
	s_and_b32 s16, s16, exec_lo
	s_or_saveexec_b32 s72, s72
	v_mov_b32_e32 v1, 0x7f800001
	s_xor_b32 exec_lo, exec_lo, s72
	s_cbranch_execnz .LBB6_2667
.LBB6_397:                              ;   in Loop: Header=BB6_356 Depth=4
	s_or_b32 exec_lo, exec_lo, s72
	s_and_saveexec_b32 s72, s16
	s_cbranch_execz .LBB6_399
.LBB6_398:                              ;   in Loop: Header=BB6_356 Depth=4
	v_and_b32_sdwa v1, v63, v48 dst_sel:DWORD dst_unused:UNUSED_PAD src0_sel:DWORD src1_sel:BYTE_1
	v_and_b32_e32 v4, 7, v1
	v_bfe_u32 v29, v1, 3, 4
	v_ffbh_u32_e32 v5, v4
	v_cmp_eq_u32_e32 vcc_lo, 0, v29
	v_min_u32_e32 v5, 32, v5
	v_subrev_nc_u32_e32 v28, 28, v5
	v_sub_nc_u32_e32 v5, 29, v5
	v_lshlrev_b32_e32 v1, v28, v1
	v_lshlrev_b32_e32 v28, 16, v48
	v_cndmask_b32_e32 v5, v29, v5, vcc_lo
	v_and_b32_e32 v1, 7, v1
	v_lshl_add_u32 v5, v5, 23, 0x3b800000
	v_cndmask_b32_e32 v1, v4, v1, vcc_lo
	v_and_b32_e32 v4, 0x80000000, v28
	v_lshlrev_b32_e32 v1, 20, v1
	v_or3_b32 v1, v4, v5, v1
.LBB6_399:                              ;   in Loop: Header=BB6_356 Depth=4
	s_or_b32 exec_lo, exec_lo, s72
	s_waitcnt vmcnt(3)
	v_cmp_gt_i16_sdwa s72, v36, v61 src0_sel:BYTE_1 src1_sel:DWORD
	s_mov_b32 s16, 0
	s_and_saveexec_b32 s73, s72
	s_xor_b32 s72, exec_lo, s73
	s_cbranch_execz .LBB6_2668
; %bb.400:                              ;   in Loop: Header=BB6_356 Depth=4
	v_cmp_eq_u16_sdwa s74, v36, v62 src0_sel:BYTE_1 src1_sel:DWORD
	s_mov_b32 s16, -1
	s_and_saveexec_b32 s73, s74
; %bb.401:                              ;   in Loop: Header=BB6_356 Depth=4
	s_xor_b32 s16, exec_lo, -1
; %bb.402:                              ;   in Loop: Header=BB6_356 Depth=4
	s_or_b32 exec_lo, exec_lo, s73
	s_and_b32 s16, s16, exec_lo
	s_or_saveexec_b32 s72, s72
	v_mov_b32_e32 v4, 0x7f800001
	s_xor_b32 exec_lo, exec_lo, s72
	s_cbranch_execnz .LBB6_2669
.LBB6_403:                              ;   in Loop: Header=BB6_356 Depth=4
	s_or_b32 exec_lo, exec_lo, s72
	s_and_saveexec_b32 s72, s16
	s_cbranch_execz .LBB6_405
.LBB6_404:                              ;   in Loop: Header=BB6_356 Depth=4
	v_and_b32_sdwa v4, v63, v36 dst_sel:DWORD dst_unused:UNUSED_PAD src0_sel:DWORD src1_sel:BYTE_1
	v_and_b32_e32 v5, 7, v4
	v_bfe_u32 v30, v4, 3, 4
	v_ffbh_u32_e32 v28, v5
	v_cmp_eq_u32_e32 vcc_lo, 0, v30
	v_min_u32_e32 v28, 32, v28
	v_subrev_nc_u32_e32 v29, 28, v28
	v_sub_nc_u32_e32 v28, 29, v28
	v_lshlrev_b32_e32 v4, v29, v4
	v_lshlrev_b32_e32 v29, 16, v36
	v_cndmask_b32_e32 v28, v30, v28, vcc_lo
	v_and_b32_e32 v4, 7, v4
	v_lshl_add_u32 v28, v28, 23, 0x3b800000
	v_cndmask_b32_e32 v4, v5, v4, vcc_lo
	v_and_b32_e32 v5, 0x80000000, v29
	v_lshlrev_b32_e32 v4, 20, v4
	v_or3_b32 v4, v5, v28, v4
.LBB6_405:                              ;   in Loop: Header=BB6_356 Depth=4
	s_or_b32 exec_lo, exec_lo, s72
	v_max_f32_e32 v4, v4, v4
	v_max_f32_e32 v1, v1, v1
	s_mov_b32 s16, 0
	v_max_f32_e32 v1, v1, v4
.LBB6_406:                              ;   in Loop: Header=BB6_356 Depth=4
	s_and_b32 vcc_lo, exec_lo, s16
	s_cbranch_vccz .LBB6_420
; %bb.407:                              ;   in Loop: Header=BB6_356 Depth=4
	v_cmp_gt_i16_sdwa s72, v48, v61 src0_sel:BYTE_1 src1_sel:DWORD
	s_mov_b32 s16, 0
	s_and_saveexec_b32 s73, s72
	s_xor_b32 s72, exec_lo, s73
	s_cbranch_execz .LBB6_2670
; %bb.408:                              ;   in Loop: Header=BB6_356 Depth=4
	v_cmp_eq_u16_sdwa s74, v48, v62 src0_sel:BYTE_1 src1_sel:DWORD
	s_mov_b32 s16, -1
	s_and_saveexec_b32 s73, s74
; %bb.409:                              ;   in Loop: Header=BB6_356 Depth=4
	s_xor_b32 s16, exec_lo, -1
; %bb.410:                              ;   in Loop: Header=BB6_356 Depth=4
	s_or_b32 exec_lo, exec_lo, s73
	s_and_b32 s16, s16, exec_lo
	s_or_saveexec_b32 s72, s72
	v_mov_b32_e32 v1, 0x7f800001
	s_xor_b32 exec_lo, exec_lo, s72
	s_cbranch_execnz .LBB6_2671
.LBB6_411:                              ;   in Loop: Header=BB6_356 Depth=4
	s_or_b32 exec_lo, exec_lo, s72
	s_and_saveexec_b32 s72, s16
	s_cbranch_execz .LBB6_413
.LBB6_412:                              ;   in Loop: Header=BB6_356 Depth=4
	v_and_b32_sdwa v1, v63, v48 dst_sel:DWORD dst_unused:UNUSED_PAD src0_sel:DWORD src1_sel:BYTE_1
	v_and_b32_e32 v4, 7, v1
	v_bfe_u32 v29, v1, 3, 4
	v_ffbh_u32_e32 v5, v4
	v_cmp_eq_u32_e32 vcc_lo, 0, v29
	v_min_u32_e32 v5, 32, v5
	v_subrev_nc_u32_e32 v28, 28, v5
	v_sub_nc_u32_e32 v5, 29, v5
	v_lshlrev_b32_e32 v1, v28, v1
	v_lshlrev_b32_e32 v28, 16, v48
	v_cndmask_b32_e32 v5, v29, v5, vcc_lo
	v_and_b32_e32 v1, 7, v1
	v_lshl_add_u32 v5, v5, 23, 0x3b800000
	v_cndmask_b32_e32 v1, v4, v1, vcc_lo
	v_and_b32_e32 v4, 0x80000000, v28
	v_lshlrev_b32_e32 v1, 20, v1
	v_or3_b32 v1, v4, v5, v1
.LBB6_413:                              ;   in Loop: Header=BB6_356 Depth=4
	s_or_b32 exec_lo, exec_lo, s72
	s_waitcnt vmcnt(3)
	v_cmp_gt_i16_sdwa s72, v36, v61 src0_sel:BYTE_1 src1_sel:DWORD
	s_mov_b32 s16, 0
	s_and_saveexec_b32 s73, s72
	s_xor_b32 s72, exec_lo, s73
	s_cbranch_execz .LBB6_2672
; %bb.414:                              ;   in Loop: Header=BB6_356 Depth=4
	v_cmp_eq_u16_sdwa s74, v36, v62 src0_sel:BYTE_1 src1_sel:DWORD
	s_mov_b32 s16, -1
	s_and_saveexec_b32 s73, s74
; %bb.415:                              ;   in Loop: Header=BB6_356 Depth=4
	s_xor_b32 s16, exec_lo, -1
; %bb.416:                              ;   in Loop: Header=BB6_356 Depth=4
	s_or_b32 exec_lo, exec_lo, s73
	s_and_b32 s16, s16, exec_lo
	s_or_saveexec_b32 s72, s72
	v_mov_b32_e32 v4, 0x7f800001
	s_xor_b32 exec_lo, exec_lo, s72
	s_cbranch_execnz .LBB6_2673
.LBB6_417:                              ;   in Loop: Header=BB6_356 Depth=4
	s_or_b32 exec_lo, exec_lo, s72
	s_and_saveexec_b32 s72, s16
	s_cbranch_execz .LBB6_419
.LBB6_418:                              ;   in Loop: Header=BB6_356 Depth=4
	v_and_b32_sdwa v4, v63, v36 dst_sel:DWORD dst_unused:UNUSED_PAD src0_sel:DWORD src1_sel:BYTE_1
	v_and_b32_e32 v5, 7, v4
	v_bfe_u32 v30, v4, 3, 4
	v_ffbh_u32_e32 v28, v5
	v_cmp_eq_u32_e32 vcc_lo, 0, v30
	v_min_u32_e32 v28, 32, v28
	v_subrev_nc_u32_e32 v29, 28, v28
	v_sub_nc_u32_e32 v28, 29, v28
	v_lshlrev_b32_e32 v4, v29, v4
	v_lshlrev_b32_e32 v29, 16, v36
	v_cndmask_b32_e32 v28, v30, v28, vcc_lo
	v_and_b32_e32 v4, 7, v4
	v_lshl_add_u32 v28, v28, 23, 0x3b800000
	v_cndmask_b32_e32 v4, v5, v4, vcc_lo
	v_and_b32_e32 v5, 0x80000000, v29
	v_lshlrev_b32_e32 v4, 20, v4
	v_or3_b32 v4, v5, v28, v4
.LBB6_419:                              ;   in Loop: Header=BB6_356 Depth=4
	s_or_b32 exec_lo, exec_lo, s72
	v_max_f32_e32 v4, v4, v4
	v_max_f32_e32 v1, v1, v1
	v_min_f32_e32 v1, v1, v4
.LBB6_420:                              ;   in Loop: Header=BB6_356 Depth=4
	v_and_b32_e32 v4, 0x7f800000, v1
	v_mov_b32_e32 v109, 0x8000
	s_mov_b32 s72, exec_lo
	v_cmpx_ne_u32_e32 0x7f800000, v4
	s_cbranch_execz .LBB6_428
; %bb.421:                              ;   in Loop: Header=BB6_356 Depth=4
	v_mov_b32_e32 v109, 0
	s_mov_b32 s73, exec_lo
	v_cmpx_ne_u32_e32 0, v1
	s_cbranch_execz .LBB6_427
; %bb.422:                              ;   in Loop: Header=BB6_356 Depth=4
	v_bfe_u32 v4, v1, 23, 8
	v_and_b32_e32 v5, 0x7fffff, v1
	v_sub_nc_u32_e32 v28, 0x78, v4
	v_cmp_gt_u32_e32 vcc_lo, 0x79, v4
	v_or_b32_e32 v29, 0x800000, v5
	v_cndmask_b32_e32 v28, 0, v28, vcc_lo
	v_cmp_eq_u32_e32 vcc_lo, 0, v4
	v_add_nc_u32_e32 v4, 0xffffff89, v4
	v_cndmask_b32_e64 v28, v28, 0x77, vcc_lo
	v_cndmask_b32_e32 v5, v29, v5, vcc_lo
	v_cndmask_b32_e64 v4, v4, 0xffffff8a, vcc_lo
	v_lshl_add_u32 v29, 0x100000, v28, -1
	v_lshrrev_b32_e32 v30, v28, v5
	v_lshlrev_b32_e64 v52, v28, 0x80000
	v_add_nc_u32_e32 v28, v28, v4
	v_and_b32_e32 v5, v29, v5
	v_bfe_u32 v31, v30, 20, 1
	v_cmp_eq_u32_e64 s16, v5, v52
	v_add_nc_u32_e32 v29, -1, v31
	v_cndmask_b32_e64 v5, 0, v29, s16
	v_lshrrev_b32_e32 v29, 23, v30
	s_mov_b32 s16, exec_lo
	v_add_nc_u32_e32 v5, v5, v30
	v_xor_b32_e32 v29, 1, v29
	v_and_b32_e32 v4, 0xfffff, v5
	v_add_nc_u32_e32 v5, v4, v30
                                        ; implicit-def: $vgpr4
	v_cmpx_ne_u32_e64 v28, v29
	s_xor_b32 s16, exec_lo, s16
; %bb.423:                              ;   in Loop: Header=BB6_356 Depth=4
	v_cmp_lt_u32_e32 vcc_lo, 0xffffff, v5
	v_sub_nc_u32_e32 v4, v28, v29
	v_cndmask_b32_e64 v28, 0, 1, vcc_lo
	v_add_co_ci_u32_e64 v4, null, 0, v4, vcc_lo
	v_lshrrev_b32_e32 v5, v28, v5
; %bb.424:                              ;   in Loop: Header=BB6_356 Depth=4
	s_andn2_saveexec_b32 s16, s16
; %bb.425:                              ;   in Loop: Header=BB6_356 Depth=4
	v_bfe_u32 v4, v5, 23, 1
; %bb.426:                              ;   in Loop: Header=BB6_356 Depth=4
	s_or_b32 exec_lo, exec_lo, s16
	v_lshrrev_b32_e32 v5, 20, v5
	v_min_i32_e32 v28, 15, v4
	v_cmp_gt_i32_e32 vcc_lo, 16, v4
	v_and_b32_sdwa v1, v1, v62 dst_sel:DWORD dst_unused:UNUSED_PAD src0_sel:BYTE_3 src1_sel:DWORD
	v_lshlrev_b32_e32 v28, 3, v28
	v_cndmask_b32_e32 v5, 7, v5, vcc_lo
	v_and_b32_e32 v28, 0xf8, v28
	v_and_b32_e32 v29, 7, v5
	v_or_b32_e32 v4, v4, v5
	v_or3_b32 v1, v1, v28, v29
	v_cmp_ne_u32_e32 vcc_lo, 0, v4
	v_lshlrev_b32_e32 v1, 8, v1
	v_cndmask_b32_e32 v109, 0, v1, vcc_lo
.LBB6_427:                              ;   in Loop: Header=BB6_356 Depth=4
	s_or_b32 exec_lo, exec_lo, s73
.LBB6_428:                              ;   in Loop: Header=BB6_356 Depth=4
	s_or_b32 exec_lo, exec_lo, s72
	v_and_b32_sdwa v1, v48, v72 dst_sel:DWORD dst_unused:UNUSED_PAD src0_sel:WORD_1 src1_sel:DWORD
	s_and_b32 vcc_lo, exec_lo, s63
	s_mov_b32 s72, -1
                                        ; implicit-def: $vgpr4
	v_cmp_lt_i16_e64 s16, 0x7f, v1
	s_cbranch_vccz .LBB6_442
; %bb.429:                              ;   in Loop: Header=BB6_356 Depth=4
	s_mov_b32 s72, 0
	s_and_saveexec_b32 s73, s16
	s_xor_b32 s16, exec_lo, s73
	s_cbranch_execz .LBB6_2674
; %bb.430:                              ;   in Loop: Header=BB6_356 Depth=4
	s_mov_b32 s72, -1
	s_mov_b32 s73, exec_lo
	v_cmpx_eq_u16_e32 0x80, v1
; %bb.431:                              ;   in Loop: Header=BB6_356 Depth=4
	s_xor_b32 s72, exec_lo, -1
; %bb.432:                              ;   in Loop: Header=BB6_356 Depth=4
	s_or_b32 exec_lo, exec_lo, s73
	s_and_b32 s72, s72, exec_lo
	s_or_saveexec_b32 s16, s16
	v_mov_b32_e32 v4, 0x7f800001
	s_xor_b32 exec_lo, exec_lo, s16
	s_cbranch_execnz .LBB6_2675
.LBB6_433:                              ;   in Loop: Header=BB6_356 Depth=4
	s_or_b32 exec_lo, exec_lo, s16
	s_and_saveexec_b32 s16, s72
	s_cbranch_execz .LBB6_435
.LBB6_434:                              ;   in Loop: Header=BB6_356 Depth=4
	v_bfe_u32 v4, v48, 16, 3
	v_bfe_u32 v29, v48, 19, 4
	v_lshlrev_b32_sdwa v30, v73, v48 dst_sel:DWORD dst_unused:UNUSED_PAD src0_sel:DWORD src1_sel:WORD_1
	v_ffbh_u32_e32 v5, v4
	v_cmp_eq_u32_e32 vcc_lo, 0, v29
	v_min_u32_e32 v5, 32, v5
	v_subrev_nc_u32_e32 v28, 28, v5
	v_sub_nc_u32_e32 v5, 29, v5
	v_lshlrev_b32_sdwa v28, v28, v48 dst_sel:DWORD dst_unused:UNUSED_PAD src0_sel:DWORD src1_sel:WORD_1
	v_cndmask_b32_e32 v5, v29, v5, vcc_lo
	v_and_b32_e32 v28, 7, v28
	v_lshl_add_u32 v5, v5, 23, 0x3b800000
	v_cndmask_b32_e32 v4, v4, v28, vcc_lo
	v_and_b32_e32 v28, 0x80000000, v30
	v_lshlrev_b32_e32 v4, 20, v4
	v_or3_b32 v4, v28, v5, v4
.LBB6_435:                              ;   in Loop: Header=BB6_356 Depth=4
	s_or_b32 exec_lo, exec_lo, s16
	s_waitcnt vmcnt(3)
	v_and_b32_sdwa v28, v36, v72 dst_sel:DWORD dst_unused:UNUSED_PAD src0_sel:WORD_1 src1_sel:DWORD
	s_mov_b32 s16, 0
	s_mov_b32 s72, exec_lo
	v_cmpx_lt_i16_e32 0x7f, v28
	s_xor_b32 s72, exec_lo, s72
	s_cbranch_execz .LBB6_2676
; %bb.436:                              ;   in Loop: Header=BB6_356 Depth=4
	s_mov_b32 s16, -1
	s_mov_b32 s73, exec_lo
	v_cmpx_eq_u16_e32 0x80, v28
; %bb.437:                              ;   in Loop: Header=BB6_356 Depth=4
	s_xor_b32 s16, exec_lo, -1
; %bb.438:                              ;   in Loop: Header=BB6_356 Depth=4
	s_or_b32 exec_lo, exec_lo, s73
	s_and_b32 s16, s16, exec_lo
                                        ; implicit-def: $vgpr28
	s_or_saveexec_b32 s72, s72
	v_mov_b32_e32 v5, 0x7f800001
	s_xor_b32 exec_lo, exec_lo, s72
	s_cbranch_execnz .LBB6_2677
.LBB6_439:                              ;   in Loop: Header=BB6_356 Depth=4
	s_or_b32 exec_lo, exec_lo, s72
	s_and_saveexec_b32 s72, s16
	s_cbranch_execz .LBB6_441
.LBB6_440:                              ;   in Loop: Header=BB6_356 Depth=4
	v_bfe_u32 v5, v36, 16, 3
	v_bfe_u32 v30, v36, 19, 4
	v_lshlrev_b32_sdwa v31, v73, v36 dst_sel:DWORD dst_unused:UNUSED_PAD src0_sel:DWORD src1_sel:WORD_1
	v_ffbh_u32_e32 v28, v5
	v_cmp_eq_u32_e32 vcc_lo, 0, v30
	v_min_u32_e32 v28, 32, v28
	v_subrev_nc_u32_e32 v29, 28, v28
	v_sub_nc_u32_e32 v28, 29, v28
	v_lshlrev_b32_sdwa v29, v29, v36 dst_sel:DWORD dst_unused:UNUSED_PAD src0_sel:DWORD src1_sel:WORD_1
	v_cndmask_b32_e32 v28, v30, v28, vcc_lo
	v_and_b32_e32 v29, 7, v29
	v_lshl_add_u32 v28, v28, 23, 0x3b800000
	v_cndmask_b32_e32 v5, v5, v29, vcc_lo
	v_and_b32_e32 v29, 0x80000000, v31
	v_lshlrev_b32_e32 v5, 20, v5
	v_or3_b32 v5, v29, v28, v5
.LBB6_441:                              ;   in Loop: Header=BB6_356 Depth=4
	s_or_b32 exec_lo, exec_lo, s72
	v_max_f32_e32 v5, v5, v5
	v_max_f32_e32 v4, v4, v4
	s_mov_b32 s72, 0
	v_max_f32_e32 v4, v4, v5
.LBB6_442:                              ;   in Loop: Header=BB6_356 Depth=4
	s_and_b32 vcc_lo, exec_lo, s72
	s_cbranch_vccz .LBB6_456
; %bb.443:                              ;   in Loop: Header=BB6_356 Depth=4
	s_mov_b32 s16, 0
	s_mov_b32 s72, exec_lo
	v_cmpx_lt_i16_e32 0x7f, v1
	s_xor_b32 s72, exec_lo, s72
	s_cbranch_execz .LBB6_2678
; %bb.444:                              ;   in Loop: Header=BB6_356 Depth=4
	s_mov_b32 s16, -1
	s_mov_b32 s73, exec_lo
	v_cmpx_eq_u16_e32 0x80, v1
; %bb.445:                              ;   in Loop: Header=BB6_356 Depth=4
	s_xor_b32 s16, exec_lo, -1
; %bb.446:                              ;   in Loop: Header=BB6_356 Depth=4
	s_or_b32 exec_lo, exec_lo, s73
	s_and_b32 s16, s16, exec_lo
                                        ; implicit-def: $vgpr1
	s_or_saveexec_b32 s72, s72
	v_mov_b32_e32 v4, 0x7f800001
	s_xor_b32 exec_lo, exec_lo, s72
	s_cbranch_execnz .LBB6_2679
.LBB6_447:                              ;   in Loop: Header=BB6_356 Depth=4
	s_or_b32 exec_lo, exec_lo, s72
	s_and_saveexec_b32 s72, s16
	s_cbranch_execz .LBB6_449
.LBB6_448:                              ;   in Loop: Header=BB6_356 Depth=4
	v_bfe_u32 v1, v48, 16, 3
	v_bfe_u32 v28, v48, 19, 4
	v_lshlrev_b32_sdwa v29, v73, v48 dst_sel:DWORD dst_unused:UNUSED_PAD src0_sel:DWORD src1_sel:WORD_1
	v_ffbh_u32_e32 v4, v1
	v_cmp_eq_u32_e32 vcc_lo, 0, v28
	v_min_u32_e32 v4, 32, v4
	v_subrev_nc_u32_e32 v5, 28, v4
	v_sub_nc_u32_e32 v4, 29, v4
	v_lshlrev_b32_sdwa v5, v5, v48 dst_sel:DWORD dst_unused:UNUSED_PAD src0_sel:DWORD src1_sel:WORD_1
	v_cndmask_b32_e32 v4, v28, v4, vcc_lo
	v_and_b32_e32 v5, 7, v5
	v_lshl_add_u32 v4, v4, 23, 0x3b800000
	v_cndmask_b32_e32 v1, v1, v5, vcc_lo
	v_and_b32_e32 v5, 0x80000000, v29
	v_lshlrev_b32_e32 v1, 20, v1
	v_or3_b32 v4, v5, v4, v1
.LBB6_449:                              ;   in Loop: Header=BB6_356 Depth=4
	s_or_b32 exec_lo, exec_lo, s72
	s_waitcnt vmcnt(3)
	v_and_b32_sdwa v5, v36, v72 dst_sel:DWORD dst_unused:UNUSED_PAD src0_sel:WORD_1 src1_sel:DWORD
	s_mov_b32 s16, 0
	s_mov_b32 s72, exec_lo
	v_cmpx_lt_i16_e32 0x7f, v5
	s_xor_b32 s72, exec_lo, s72
	s_cbranch_execz .LBB6_2680
; %bb.450:                              ;   in Loop: Header=BB6_356 Depth=4
	s_mov_b32 s16, -1
	s_mov_b32 s73, exec_lo
	v_cmpx_eq_u16_e32 0x80, v5
; %bb.451:                              ;   in Loop: Header=BB6_356 Depth=4
	s_xor_b32 s16, exec_lo, -1
; %bb.452:                              ;   in Loop: Header=BB6_356 Depth=4
	s_or_b32 exec_lo, exec_lo, s73
	s_and_b32 s16, s16, exec_lo
                                        ; implicit-def: $vgpr5
	s_or_saveexec_b32 s72, s72
	v_mov_b32_e32 v1, 0x7f800001
	s_xor_b32 exec_lo, exec_lo, s72
	s_cbranch_execnz .LBB6_2681
.LBB6_453:                              ;   in Loop: Header=BB6_356 Depth=4
	s_or_b32 exec_lo, exec_lo, s72
	s_and_saveexec_b32 s72, s16
	s_cbranch_execz .LBB6_455
.LBB6_454:                              ;   in Loop: Header=BB6_356 Depth=4
	v_bfe_u32 v1, v36, 16, 3
	v_bfe_u32 v29, v36, 19, 4
	v_lshlrev_b32_sdwa v30, v73, v36 dst_sel:DWORD dst_unused:UNUSED_PAD src0_sel:DWORD src1_sel:WORD_1
	v_ffbh_u32_e32 v5, v1
	v_cmp_eq_u32_e32 vcc_lo, 0, v29
	v_min_u32_e32 v5, 32, v5
	v_subrev_nc_u32_e32 v28, 28, v5
	v_sub_nc_u32_e32 v5, 29, v5
	v_lshlrev_b32_sdwa v28, v28, v36 dst_sel:DWORD dst_unused:UNUSED_PAD src0_sel:DWORD src1_sel:WORD_1
	v_cndmask_b32_e32 v5, v29, v5, vcc_lo
	v_and_b32_e32 v28, 7, v28
	v_lshl_add_u32 v5, v5, 23, 0x3b800000
	v_cndmask_b32_e32 v1, v1, v28, vcc_lo
	v_and_b32_e32 v28, 0x80000000, v30
	v_lshlrev_b32_e32 v1, 20, v1
	v_or3_b32 v1, v28, v5, v1
.LBB6_455:                              ;   in Loop: Header=BB6_356 Depth=4
	s_or_b32 exec_lo, exec_lo, s72
	v_max_f32_e32 v1, v1, v1
	v_max_f32_e32 v4, v4, v4
	v_min_f32_e32 v4, v4, v1
.LBB6_456:                              ;   in Loop: Header=BB6_356 Depth=4
	v_and_b32_e32 v1, 0x7f800000, v4
	v_mov_b32_e32 v110, 0x80
	s_mov_b32 s72, exec_lo
	v_cmpx_ne_u32_e32 0x7f800000, v1
	s_cbranch_execz .LBB6_464
; %bb.457:                              ;   in Loop: Header=BB6_356 Depth=4
	v_mov_b32_e32 v110, 0
	s_mov_b32 s73, exec_lo
	v_cmpx_ne_u32_e32 0, v4
	s_cbranch_execz .LBB6_463
; %bb.458:                              ;   in Loop: Header=BB6_356 Depth=4
	v_bfe_u32 v1, v4, 23, 8
	v_and_b32_e32 v5, 0x7fffff, v4
	v_sub_nc_u32_e32 v28, 0x78, v1
	v_cmp_gt_u32_e32 vcc_lo, 0x79, v1
	v_or_b32_e32 v29, 0x800000, v5
	v_cndmask_b32_e32 v28, 0, v28, vcc_lo
	v_cmp_eq_u32_e32 vcc_lo, 0, v1
	v_add_nc_u32_e32 v1, 0xffffff89, v1
	v_cndmask_b32_e64 v28, v28, 0x77, vcc_lo
	v_cndmask_b32_e32 v5, v29, v5, vcc_lo
	v_cndmask_b32_e64 v1, v1, 0xffffff8a, vcc_lo
	v_lshl_add_u32 v29, 0x100000, v28, -1
	v_lshrrev_b32_e32 v30, v28, v5
	v_lshlrev_b32_e64 v52, v28, 0x80000
	v_add_nc_u32_e32 v28, v28, v1
	v_and_b32_e32 v5, v29, v5
	v_bfe_u32 v31, v30, 20, 1
	v_cmp_eq_u32_e64 s16, v5, v52
	v_add_nc_u32_e32 v29, -1, v31
	v_cndmask_b32_e64 v5, 0, v29, s16
	v_lshrrev_b32_e32 v29, 23, v30
	s_mov_b32 s16, exec_lo
	v_add_nc_u32_e32 v5, v5, v30
	v_xor_b32_e32 v29, 1, v29
	v_and_b32_e32 v1, 0xfffff, v5
	v_add_nc_u32_e32 v5, v1, v30
                                        ; implicit-def: $vgpr1
	v_cmpx_ne_u32_e64 v28, v29
	s_xor_b32 s16, exec_lo, s16
; %bb.459:                              ;   in Loop: Header=BB6_356 Depth=4
	v_cmp_lt_u32_e32 vcc_lo, 0xffffff, v5
	v_sub_nc_u32_e32 v1, v28, v29
	v_cndmask_b32_e64 v28, 0, 1, vcc_lo
	v_add_co_ci_u32_e64 v1, null, 0, v1, vcc_lo
	v_lshrrev_b32_e32 v5, v28, v5
; %bb.460:                              ;   in Loop: Header=BB6_356 Depth=4
	s_andn2_saveexec_b32 s16, s16
; %bb.461:                              ;   in Loop: Header=BB6_356 Depth=4
	v_bfe_u32 v1, v5, 23, 1
; %bb.462:                              ;   in Loop: Header=BB6_356 Depth=4
	s_or_b32 exec_lo, exec_lo, s16
	v_lshrrev_b32_e32 v5, 20, v5
	v_min_i32_e32 v28, 15, v1
	v_cmp_gt_i32_e32 vcc_lo, 16, v1
	v_and_b32_sdwa v4, v4, v62 dst_sel:DWORD dst_unused:UNUSED_PAD src0_sel:BYTE_3 src1_sel:DWORD
	v_lshlrev_b32_e32 v28, 3, v28
	v_cndmask_b32_e32 v5, 7, v5, vcc_lo
	v_and_b32_e32 v28, 0xf8, v28
	v_and_b32_e32 v29, 7, v5
	v_or_b32_e32 v1, v1, v5
	v_or3_b32 v4, v28, v4, v29
	v_cmp_ne_u32_e32 vcc_lo, 0, v1
	v_cndmask_b32_e32 v110, 0, v4, vcc_lo
.LBB6_463:                              ;   in Loop: Header=BB6_356 Depth=4
	s_or_b32 exec_lo, exec_lo, s73
.LBB6_464:                              ;   in Loop: Header=BB6_356 Depth=4
	s_or_b32 exec_lo, exec_lo, s72
	v_cmp_gt_i16_sdwa s72, v48, v61 src0_sel:BYTE_3 src1_sel:DWORD
	s_and_b32 vcc_lo, exec_lo, s63
	s_mov_b32 s16, -1
                                        ; implicit-def: $vgpr1
	s_cbranch_vccz .LBB6_478
; %bb.465:                              ;   in Loop: Header=BB6_356 Depth=4
	s_mov_b32 s16, 0
	s_and_saveexec_b32 s73, s72
	s_xor_b32 s72, exec_lo, s73
	s_cbranch_execz .LBB6_2682
; %bb.466:                              ;   in Loop: Header=BB6_356 Depth=4
	v_cmp_eq_u16_sdwa s74, v48, v62 src0_sel:BYTE_3 src1_sel:DWORD
	s_mov_b32 s16, -1
	s_and_saveexec_b32 s73, s74
; %bb.467:                              ;   in Loop: Header=BB6_356 Depth=4
	s_xor_b32 s16, exec_lo, -1
; %bb.468:                              ;   in Loop: Header=BB6_356 Depth=4
	s_or_b32 exec_lo, exec_lo, s73
	s_and_b32 s16, s16, exec_lo
	s_or_saveexec_b32 s72, s72
	v_mov_b32_e32 v1, 0x7f800001
	s_xor_b32 exec_lo, exec_lo, s72
	s_cbranch_execnz .LBB6_2683
.LBB6_469:                              ;   in Loop: Header=BB6_356 Depth=4
	s_or_b32 exec_lo, exec_lo, s72
	s_and_saveexec_b32 s72, s16
	s_cbranch_execz .LBB6_471
.LBB6_470:                              ;   in Loop: Header=BB6_356 Depth=4
	v_bfe_u32 v1, v48, 24, 3
	v_bfe_u32 v28, v48, 27, 4
	v_ffbh_u32_e32 v4, v1
	v_cmp_eq_u32_e32 vcc_lo, 0, v28
	v_min_u32_e32 v4, 32, v4
	v_subrev_nc_u32_e32 v5, 28, v4
	v_sub_nc_u32_e32 v4, 29, v4
	v_lshlrev_b32_sdwa v5, v5, v48 dst_sel:DWORD dst_unused:UNUSED_PAD src0_sel:DWORD src1_sel:BYTE_3
	v_cndmask_b32_e32 v4, v28, v4, vcc_lo
	v_and_b32_e32 v5, 7, v5
	v_lshl_add_u32 v4, v4, 23, 0x3b800000
	v_cndmask_b32_e32 v1, v1, v5, vcc_lo
	v_and_b32_e32 v5, 0x80000000, v48
	v_lshlrev_b32_e32 v1, 20, v1
	v_or3_b32 v1, v5, v4, v1
.LBB6_471:                              ;   in Loop: Header=BB6_356 Depth=4
	s_or_b32 exec_lo, exec_lo, s72
	s_waitcnt vmcnt(3)
	v_cmp_gt_i16_sdwa s72, v36, v61 src0_sel:BYTE_3 src1_sel:DWORD
	s_mov_b32 s16, 0
	s_and_saveexec_b32 s73, s72
	s_xor_b32 s72, exec_lo, s73
	s_cbranch_execz .LBB6_2684
; %bb.472:                              ;   in Loop: Header=BB6_356 Depth=4
	v_cmp_eq_u16_sdwa s74, v36, v62 src0_sel:BYTE_3 src1_sel:DWORD
	s_mov_b32 s16, -1
	s_and_saveexec_b32 s73, s74
; %bb.473:                              ;   in Loop: Header=BB6_356 Depth=4
	s_xor_b32 s16, exec_lo, -1
; %bb.474:                              ;   in Loop: Header=BB6_356 Depth=4
	s_or_b32 exec_lo, exec_lo, s73
	s_and_b32 s16, s16, exec_lo
	s_or_saveexec_b32 s72, s72
	v_mov_b32_e32 v4, 0x7f800001
	s_xor_b32 exec_lo, exec_lo, s72
	s_cbranch_execnz .LBB6_2685
.LBB6_475:                              ;   in Loop: Header=BB6_356 Depth=4
	s_or_b32 exec_lo, exec_lo, s72
	s_and_saveexec_b32 s72, s16
	s_cbranch_execz .LBB6_477
.LBB6_476:                              ;   in Loop: Header=BB6_356 Depth=4
	v_bfe_u32 v4, v36, 24, 3
	v_bfe_u32 v29, v36, 27, 4
	v_ffbh_u32_e32 v5, v4
	v_cmp_eq_u32_e32 vcc_lo, 0, v29
	v_min_u32_e32 v5, 32, v5
	v_subrev_nc_u32_e32 v28, 28, v5
	v_sub_nc_u32_e32 v5, 29, v5
	v_lshlrev_b32_sdwa v28, v28, v36 dst_sel:DWORD dst_unused:UNUSED_PAD src0_sel:DWORD src1_sel:BYTE_3
	v_cndmask_b32_e32 v5, v29, v5, vcc_lo
	v_and_b32_e32 v28, 7, v28
	v_lshl_add_u32 v5, v5, 23, 0x3b800000
	v_cndmask_b32_e32 v4, v4, v28, vcc_lo
	v_and_b32_e32 v28, 0x80000000, v36
	v_lshlrev_b32_e32 v4, 20, v4
	v_or3_b32 v4, v28, v5, v4
.LBB6_477:                              ;   in Loop: Header=BB6_356 Depth=4
	s_or_b32 exec_lo, exec_lo, s72
	v_max_f32_e32 v4, v4, v4
	v_max_f32_e32 v1, v1, v1
	s_mov_b32 s16, 0
	v_max_f32_e32 v1, v1, v4
.LBB6_478:                              ;   in Loop: Header=BB6_356 Depth=4
	s_and_b32 vcc_lo, exec_lo, s16
	s_cbranch_vccz .LBB6_492
; %bb.479:                              ;   in Loop: Header=BB6_356 Depth=4
	v_cmp_gt_i16_sdwa s72, v48, v61 src0_sel:BYTE_3 src1_sel:DWORD
	s_mov_b32 s16, 0
	s_and_saveexec_b32 s73, s72
	s_xor_b32 s72, exec_lo, s73
	s_cbranch_execz .LBB6_2686
; %bb.480:                              ;   in Loop: Header=BB6_356 Depth=4
	v_cmp_eq_u16_sdwa s74, v48, v62 src0_sel:BYTE_3 src1_sel:DWORD
	s_mov_b32 s16, -1
	s_and_saveexec_b32 s73, s74
; %bb.481:                              ;   in Loop: Header=BB6_356 Depth=4
	s_xor_b32 s16, exec_lo, -1
; %bb.482:                              ;   in Loop: Header=BB6_356 Depth=4
	s_or_b32 exec_lo, exec_lo, s73
	s_and_b32 s16, s16, exec_lo
	s_or_saveexec_b32 s72, s72
	v_mov_b32_e32 v1, 0x7f800001
	s_xor_b32 exec_lo, exec_lo, s72
	s_cbranch_execnz .LBB6_2687
.LBB6_483:                              ;   in Loop: Header=BB6_356 Depth=4
	s_or_b32 exec_lo, exec_lo, s72
	s_and_saveexec_b32 s72, s16
	s_cbranch_execz .LBB6_485
.LBB6_484:                              ;   in Loop: Header=BB6_356 Depth=4
	v_bfe_u32 v1, v48, 24, 3
	v_bfe_u32 v28, v48, 27, 4
	v_ffbh_u32_e32 v4, v1
	v_cmp_eq_u32_e32 vcc_lo, 0, v28
	v_min_u32_e32 v4, 32, v4
	v_subrev_nc_u32_e32 v5, 28, v4
	v_sub_nc_u32_e32 v4, 29, v4
	v_lshlrev_b32_sdwa v5, v5, v48 dst_sel:DWORD dst_unused:UNUSED_PAD src0_sel:DWORD src1_sel:BYTE_3
	v_cndmask_b32_e32 v4, v28, v4, vcc_lo
	v_and_b32_e32 v5, 7, v5
	v_lshl_add_u32 v4, v4, 23, 0x3b800000
	v_cndmask_b32_e32 v1, v1, v5, vcc_lo
	v_and_b32_e32 v5, 0x80000000, v48
	v_lshlrev_b32_e32 v1, 20, v1
	v_or3_b32 v1, v5, v4, v1
.LBB6_485:                              ;   in Loop: Header=BB6_356 Depth=4
	s_or_b32 exec_lo, exec_lo, s72
	s_waitcnt vmcnt(3)
	v_cmp_gt_i16_sdwa s72, v36, v61 src0_sel:BYTE_3 src1_sel:DWORD
	s_mov_b32 s16, 0
	s_and_saveexec_b32 s73, s72
	s_xor_b32 s72, exec_lo, s73
	s_cbranch_execz .LBB6_2688
; %bb.486:                              ;   in Loop: Header=BB6_356 Depth=4
	v_cmp_eq_u16_sdwa s74, v36, v62 src0_sel:BYTE_3 src1_sel:DWORD
	s_mov_b32 s16, -1
	s_and_saveexec_b32 s73, s74
; %bb.487:                              ;   in Loop: Header=BB6_356 Depth=4
	s_xor_b32 s16, exec_lo, -1
; %bb.488:                              ;   in Loop: Header=BB6_356 Depth=4
	s_or_b32 exec_lo, exec_lo, s73
	s_and_b32 s16, s16, exec_lo
	s_or_saveexec_b32 s72, s72
	v_mov_b32_e32 v4, 0x7f800001
	s_xor_b32 exec_lo, exec_lo, s72
	s_cbranch_execnz .LBB6_2689
.LBB6_489:                              ;   in Loop: Header=BB6_356 Depth=4
	s_or_b32 exec_lo, exec_lo, s72
	s_and_saveexec_b32 s72, s16
	s_cbranch_execz .LBB6_491
.LBB6_490:                              ;   in Loop: Header=BB6_356 Depth=4
	v_bfe_u32 v4, v36, 24, 3
	v_bfe_u32 v29, v36, 27, 4
	v_ffbh_u32_e32 v5, v4
	v_cmp_eq_u32_e32 vcc_lo, 0, v29
	v_min_u32_e32 v5, 32, v5
	v_subrev_nc_u32_e32 v28, 28, v5
	v_sub_nc_u32_e32 v5, 29, v5
	v_lshlrev_b32_sdwa v28, v28, v36 dst_sel:DWORD dst_unused:UNUSED_PAD src0_sel:DWORD src1_sel:BYTE_3
	v_cndmask_b32_e32 v5, v29, v5, vcc_lo
	v_and_b32_e32 v28, 7, v28
	v_lshl_add_u32 v5, v5, 23, 0x3b800000
	v_cndmask_b32_e32 v4, v4, v28, vcc_lo
	v_and_b32_e32 v28, 0x80000000, v36
	v_lshlrev_b32_e32 v4, 20, v4
	v_or3_b32 v4, v28, v5, v4
.LBB6_491:                              ;   in Loop: Header=BB6_356 Depth=4
	s_or_b32 exec_lo, exec_lo, s72
	v_max_f32_e32 v4, v4, v4
	v_max_f32_e32 v1, v1, v1
	v_min_f32_e32 v1, v1, v4
.LBB6_492:                              ;   in Loop: Header=BB6_356 Depth=4
	v_and_b32_e32 v4, 0x7f800000, v1
	s_waitcnt vmcnt(3)
	v_mov_b32_e32 v36, 0x8000
	s_mov_b32 s72, exec_lo
	v_cmpx_ne_u32_e32 0x7f800000, v4
	s_cbranch_execz .LBB6_500
; %bb.493:                              ;   in Loop: Header=BB6_356 Depth=4
	v_mov_b32_e32 v36, 0
	s_mov_b32 s73, exec_lo
	v_cmpx_ne_u32_e32 0, v1
	s_cbranch_execz .LBB6_499
; %bb.494:                              ;   in Loop: Header=BB6_356 Depth=4
	v_bfe_u32 v4, v1, 23, 8
	v_and_b32_e32 v5, 0x7fffff, v1
	v_sub_nc_u32_e32 v28, 0x78, v4
	v_cmp_gt_u32_e32 vcc_lo, 0x79, v4
	v_or_b32_e32 v29, 0x800000, v5
	v_cndmask_b32_e32 v28, 0, v28, vcc_lo
	v_cmp_eq_u32_e32 vcc_lo, 0, v4
	v_add_nc_u32_e32 v4, 0xffffff89, v4
	v_cndmask_b32_e64 v28, v28, 0x77, vcc_lo
	v_cndmask_b32_e32 v5, v29, v5, vcc_lo
	v_cndmask_b32_e64 v4, v4, 0xffffff8a, vcc_lo
	v_lshl_add_u32 v29, 0x100000, v28, -1
	v_lshrrev_b32_e32 v30, v28, v5
	v_lshlrev_b32_e64 v36, v28, 0x80000
	v_add_nc_u32_e32 v28, v28, v4
	v_and_b32_e32 v5, v29, v5
	v_bfe_u32 v31, v30, 20, 1
	v_cmp_eq_u32_e64 s16, v5, v36
	v_add_nc_u32_e32 v29, -1, v31
	v_cndmask_b32_e64 v5, 0, v29, s16
	v_lshrrev_b32_e32 v29, 23, v30
	s_mov_b32 s16, exec_lo
	v_add_nc_u32_e32 v5, v5, v30
	v_xor_b32_e32 v29, 1, v29
	v_and_b32_e32 v4, 0xfffff, v5
	v_add_nc_u32_e32 v5, v4, v30
                                        ; implicit-def: $vgpr4
	v_cmpx_ne_u32_e64 v28, v29
	s_xor_b32 s16, exec_lo, s16
; %bb.495:                              ;   in Loop: Header=BB6_356 Depth=4
	v_cmp_lt_u32_e32 vcc_lo, 0xffffff, v5
	v_sub_nc_u32_e32 v4, v28, v29
	v_cndmask_b32_e64 v28, 0, 1, vcc_lo
	v_add_co_ci_u32_e64 v4, null, 0, v4, vcc_lo
	v_lshrrev_b32_e32 v5, v28, v5
; %bb.496:                              ;   in Loop: Header=BB6_356 Depth=4
	s_andn2_saveexec_b32 s16, s16
; %bb.497:                              ;   in Loop: Header=BB6_356 Depth=4
	v_bfe_u32 v4, v5, 23, 1
; %bb.498:                              ;   in Loop: Header=BB6_356 Depth=4
	s_or_b32 exec_lo, exec_lo, s16
	v_lshrrev_b32_e32 v5, 20, v5
	v_min_i32_e32 v28, 15, v4
	v_cmp_gt_i32_e32 vcc_lo, 16, v4
	v_and_b32_sdwa v1, v1, v62 dst_sel:DWORD dst_unused:UNUSED_PAD src0_sel:BYTE_3 src1_sel:DWORD
	v_lshlrev_b32_e32 v28, 3, v28
	v_cndmask_b32_e32 v5, 7, v5, vcc_lo
	v_and_b32_e32 v28, 0xf8, v28
	v_and_b32_e32 v29, 7, v5
	v_or_b32_e32 v4, v4, v5
	v_or3_b32 v1, v1, v28, v29
	v_cmp_ne_u32_e32 vcc_lo, 0, v4
	v_lshlrev_b32_e32 v1, 8, v1
	v_cndmask_b32_e32 v36, 0, v1, vcc_lo
.LBB6_499:                              ;   in Loop: Header=BB6_356 Depth=4
	s_or_b32 exec_lo, exec_lo, s73
.LBB6_500:                              ;   in Loop: Header=BB6_356 Depth=4
	s_or_b32 exec_lo, exec_lo, s72
	v_cmp_gt_i16_sdwa s72, v49, v61 src0_sel:BYTE_0 src1_sel:DWORD
	s_and_b32 vcc_lo, exec_lo, s63
	s_mov_b32 s16, -1
                                        ; implicit-def: $vgpr1
	s_cbranch_vccz .LBB6_514
; %bb.501:                              ;   in Loop: Header=BB6_356 Depth=4
	s_mov_b32 s16, 0
	s_and_saveexec_b32 s73, s72
	s_xor_b32 s72, exec_lo, s73
	s_cbranch_execz .LBB6_2690
; %bb.502:                              ;   in Loop: Header=BB6_356 Depth=4
	v_cmp_eq_u16_sdwa s74, v49, v62 src0_sel:BYTE_0 src1_sel:DWORD
	s_mov_b32 s16, -1
	s_and_saveexec_b32 s73, s74
; %bb.503:                              ;   in Loop: Header=BB6_356 Depth=4
	s_xor_b32 s16, exec_lo, -1
; %bb.504:                              ;   in Loop: Header=BB6_356 Depth=4
	s_or_b32 exec_lo, exec_lo, s73
	s_and_b32 s16, s16, exec_lo
	s_or_saveexec_b32 s72, s72
	v_mov_b32_e32 v1, 0x7f800001
	s_xor_b32 exec_lo, exec_lo, s72
	s_cbranch_execnz .LBB6_2691
.LBB6_505:                              ;   in Loop: Header=BB6_356 Depth=4
	s_or_b32 exec_lo, exec_lo, s72
	s_and_saveexec_b32 s72, s16
	s_cbranch_execz .LBB6_507
.LBB6_506:                              ;   in Loop: Header=BB6_356 Depth=4
	v_and_b32_e32 v1, 7, v49
	v_bfe_u32 v28, v49, 3, 4
	v_lshlrev_b32_e32 v29, 24, v49
	v_ffbh_u32_e32 v4, v1
	v_cmp_eq_u32_e32 vcc_lo, 0, v28
	v_min_u32_e32 v4, 32, v4
	v_subrev_nc_u32_e32 v5, 28, v4
	v_sub_nc_u32_e32 v4, 29, v4
	v_lshlrev_b32_e32 v5, v5, v49
	v_cndmask_b32_e32 v4, v28, v4, vcc_lo
	v_and_b32_e32 v5, 7, v5
	v_lshl_add_u32 v4, v4, 23, 0x3b800000
	v_cndmask_b32_e32 v1, v1, v5, vcc_lo
	v_and_b32_e32 v5, 0x80000000, v29
	v_lshlrev_b32_e32 v1, 20, v1
	v_or3_b32 v1, v5, v4, v1
.LBB6_507:                              ;   in Loop: Header=BB6_356 Depth=4
	s_or_b32 exec_lo, exec_lo, s72
	v_cmp_gt_i16_sdwa s72, v37, v61 src0_sel:BYTE_0 src1_sel:DWORD
	s_mov_b32 s16, 0
	s_and_saveexec_b32 s73, s72
	s_xor_b32 s72, exec_lo, s73
	s_cbranch_execz .LBB6_2692
; %bb.508:                              ;   in Loop: Header=BB6_356 Depth=4
	v_cmp_eq_u16_sdwa s74, v37, v62 src0_sel:BYTE_0 src1_sel:DWORD
	s_mov_b32 s16, -1
	s_and_saveexec_b32 s73, s74
; %bb.509:                              ;   in Loop: Header=BB6_356 Depth=4
	s_xor_b32 s16, exec_lo, -1
; %bb.510:                              ;   in Loop: Header=BB6_356 Depth=4
	s_or_b32 exec_lo, exec_lo, s73
	s_and_b32 s16, s16, exec_lo
	s_or_saveexec_b32 s72, s72
	v_mov_b32_e32 v4, 0x7f800001
	s_xor_b32 exec_lo, exec_lo, s72
	s_cbranch_execnz .LBB6_2693
.LBB6_511:                              ;   in Loop: Header=BB6_356 Depth=4
	s_or_b32 exec_lo, exec_lo, s72
	s_and_saveexec_b32 s72, s16
	s_cbranch_execz .LBB6_513
.LBB6_512:                              ;   in Loop: Header=BB6_356 Depth=4
	v_and_b32_e32 v4, 7, v37
	v_bfe_u32 v29, v37, 3, 4
	v_lshlrev_b32_e32 v30, 24, v37
	v_ffbh_u32_e32 v5, v4
	v_cmp_eq_u32_e32 vcc_lo, 0, v29
	v_min_u32_e32 v5, 32, v5
	v_subrev_nc_u32_e32 v28, 28, v5
	v_sub_nc_u32_e32 v5, 29, v5
	v_lshlrev_b32_e32 v28, v28, v37
	v_cndmask_b32_e32 v5, v29, v5, vcc_lo
	v_and_b32_e32 v28, 7, v28
	v_lshl_add_u32 v5, v5, 23, 0x3b800000
	v_cndmask_b32_e32 v4, v4, v28, vcc_lo
	v_and_b32_e32 v28, 0x80000000, v30
	v_lshlrev_b32_e32 v4, 20, v4
	v_or3_b32 v4, v28, v5, v4
.LBB6_513:                              ;   in Loop: Header=BB6_356 Depth=4
	s_or_b32 exec_lo, exec_lo, s72
	v_max_f32_e32 v4, v4, v4
	v_max_f32_e32 v1, v1, v1
	s_mov_b32 s16, 0
	v_max_f32_e32 v1, v1, v4
.LBB6_514:                              ;   in Loop: Header=BB6_356 Depth=4
	s_and_b32 vcc_lo, exec_lo, s16
	s_cbranch_vccz .LBB6_528
; %bb.515:                              ;   in Loop: Header=BB6_356 Depth=4
	v_cmp_gt_i16_sdwa s72, v49, v61 src0_sel:BYTE_0 src1_sel:DWORD
	s_mov_b32 s16, 0
	s_and_saveexec_b32 s73, s72
	s_xor_b32 s72, exec_lo, s73
	s_cbranch_execz .LBB6_2694
; %bb.516:                              ;   in Loop: Header=BB6_356 Depth=4
	v_cmp_eq_u16_sdwa s74, v49, v62 src0_sel:BYTE_0 src1_sel:DWORD
	s_mov_b32 s16, -1
	s_and_saveexec_b32 s73, s74
; %bb.517:                              ;   in Loop: Header=BB6_356 Depth=4
	s_xor_b32 s16, exec_lo, -1
; %bb.518:                              ;   in Loop: Header=BB6_356 Depth=4
	s_or_b32 exec_lo, exec_lo, s73
	s_and_b32 s16, s16, exec_lo
	s_or_saveexec_b32 s72, s72
	v_mov_b32_e32 v1, 0x7f800001
	s_xor_b32 exec_lo, exec_lo, s72
	s_cbranch_execnz .LBB6_2695
.LBB6_519:                              ;   in Loop: Header=BB6_356 Depth=4
	s_or_b32 exec_lo, exec_lo, s72
	s_and_saveexec_b32 s72, s16
	s_cbranch_execz .LBB6_521
.LBB6_520:                              ;   in Loop: Header=BB6_356 Depth=4
	v_and_b32_e32 v1, 7, v49
	v_bfe_u32 v28, v49, 3, 4
	v_lshlrev_b32_e32 v29, 24, v49
	v_ffbh_u32_e32 v4, v1
	v_cmp_eq_u32_e32 vcc_lo, 0, v28
	v_min_u32_e32 v4, 32, v4
	v_subrev_nc_u32_e32 v5, 28, v4
	v_sub_nc_u32_e32 v4, 29, v4
	v_lshlrev_b32_e32 v5, v5, v49
	v_cndmask_b32_e32 v4, v28, v4, vcc_lo
	v_and_b32_e32 v5, 7, v5
	v_lshl_add_u32 v4, v4, 23, 0x3b800000
	v_cndmask_b32_e32 v1, v1, v5, vcc_lo
	v_and_b32_e32 v5, 0x80000000, v29
	v_lshlrev_b32_e32 v1, 20, v1
	v_or3_b32 v1, v5, v4, v1
.LBB6_521:                              ;   in Loop: Header=BB6_356 Depth=4
	s_or_b32 exec_lo, exec_lo, s72
	v_cmp_gt_i16_sdwa s72, v37, v61 src0_sel:BYTE_0 src1_sel:DWORD
	s_mov_b32 s16, 0
	s_and_saveexec_b32 s73, s72
	s_xor_b32 s72, exec_lo, s73
	s_cbranch_execz .LBB6_2696
; %bb.522:                              ;   in Loop: Header=BB6_356 Depth=4
	v_cmp_eq_u16_sdwa s74, v37, v62 src0_sel:BYTE_0 src1_sel:DWORD
	s_mov_b32 s16, -1
	s_and_saveexec_b32 s73, s74
; %bb.523:                              ;   in Loop: Header=BB6_356 Depth=4
	s_xor_b32 s16, exec_lo, -1
; %bb.524:                              ;   in Loop: Header=BB6_356 Depth=4
	s_or_b32 exec_lo, exec_lo, s73
	s_and_b32 s16, s16, exec_lo
	s_or_saveexec_b32 s72, s72
	v_mov_b32_e32 v4, 0x7f800001
	s_xor_b32 exec_lo, exec_lo, s72
	s_cbranch_execnz .LBB6_2697
.LBB6_525:                              ;   in Loop: Header=BB6_356 Depth=4
	s_or_b32 exec_lo, exec_lo, s72
	s_and_saveexec_b32 s72, s16
	s_cbranch_execz .LBB6_527
.LBB6_526:                              ;   in Loop: Header=BB6_356 Depth=4
	v_and_b32_e32 v4, 7, v37
	v_bfe_u32 v29, v37, 3, 4
	v_lshlrev_b32_e32 v30, 24, v37
	v_ffbh_u32_e32 v5, v4
	v_cmp_eq_u32_e32 vcc_lo, 0, v29
	v_min_u32_e32 v5, 32, v5
	v_subrev_nc_u32_e32 v28, 28, v5
	v_sub_nc_u32_e32 v5, 29, v5
	v_lshlrev_b32_e32 v28, v28, v37
	v_cndmask_b32_e32 v5, v29, v5, vcc_lo
	v_and_b32_e32 v28, 7, v28
	v_lshl_add_u32 v5, v5, 23, 0x3b800000
	v_cndmask_b32_e32 v4, v4, v28, vcc_lo
	v_and_b32_e32 v28, 0x80000000, v30
	v_lshlrev_b32_e32 v4, 20, v4
	v_or3_b32 v4, v28, v5, v4
.LBB6_527:                              ;   in Loop: Header=BB6_356 Depth=4
	s_or_b32 exec_lo, exec_lo, s72
	v_max_f32_e32 v4, v4, v4
	v_max_f32_e32 v1, v1, v1
	v_min_f32_e32 v1, v1, v4
.LBB6_528:                              ;   in Loop: Header=BB6_356 Depth=4
	v_and_b32_e32 v4, 0x7f800000, v1
	v_mov_b32_e32 v48, 0x80
	s_mov_b32 s72, exec_lo
	v_cmpx_ne_u32_e32 0x7f800000, v4
	s_cbranch_execz .LBB6_536
; %bb.529:                              ;   in Loop: Header=BB6_356 Depth=4
	v_mov_b32_e32 v48, 0
	s_mov_b32 s73, exec_lo
	v_cmpx_ne_u32_e32 0, v1
	s_cbranch_execz .LBB6_535
; %bb.530:                              ;   in Loop: Header=BB6_356 Depth=4
	v_bfe_u32 v4, v1, 23, 8
	v_and_b32_e32 v5, 0x7fffff, v1
	v_sub_nc_u32_e32 v28, 0x78, v4
	v_cmp_gt_u32_e32 vcc_lo, 0x79, v4
	v_or_b32_e32 v29, 0x800000, v5
	v_cndmask_b32_e32 v28, 0, v28, vcc_lo
	v_cmp_eq_u32_e32 vcc_lo, 0, v4
	v_add_nc_u32_e32 v4, 0xffffff89, v4
	v_cndmask_b32_e64 v28, v28, 0x77, vcc_lo
	v_cndmask_b32_e32 v5, v29, v5, vcc_lo
	v_cndmask_b32_e64 v4, v4, 0xffffff8a, vcc_lo
	v_lshl_add_u32 v29, 0x100000, v28, -1
	v_lshrrev_b32_e32 v30, v28, v5
	v_lshlrev_b32_e64 v48, v28, 0x80000
	v_add_nc_u32_e32 v28, v28, v4
	v_and_b32_e32 v5, v29, v5
	v_bfe_u32 v31, v30, 20, 1
	v_cmp_eq_u32_e64 s16, v5, v48
	v_add_nc_u32_e32 v29, -1, v31
	v_cndmask_b32_e64 v5, 0, v29, s16
	v_lshrrev_b32_e32 v29, 23, v30
	s_mov_b32 s16, exec_lo
	v_add_nc_u32_e32 v5, v5, v30
	v_xor_b32_e32 v29, 1, v29
	v_and_b32_e32 v4, 0xfffff, v5
	v_add_nc_u32_e32 v5, v4, v30
                                        ; implicit-def: $vgpr4
	v_cmpx_ne_u32_e64 v28, v29
	s_xor_b32 s16, exec_lo, s16
; %bb.531:                              ;   in Loop: Header=BB6_356 Depth=4
	v_cmp_lt_u32_e32 vcc_lo, 0xffffff, v5
	v_sub_nc_u32_e32 v4, v28, v29
	v_cndmask_b32_e64 v28, 0, 1, vcc_lo
	v_add_co_ci_u32_e64 v4, null, 0, v4, vcc_lo
	v_lshrrev_b32_e32 v5, v28, v5
; %bb.532:                              ;   in Loop: Header=BB6_356 Depth=4
	s_andn2_saveexec_b32 s16, s16
; %bb.533:                              ;   in Loop: Header=BB6_356 Depth=4
	v_bfe_u32 v4, v5, 23, 1
; %bb.534:                              ;   in Loop: Header=BB6_356 Depth=4
	s_or_b32 exec_lo, exec_lo, s16
	v_lshrrev_b32_e32 v5, 20, v5
	v_min_i32_e32 v28, 15, v4
	v_cmp_gt_i32_e32 vcc_lo, 16, v4
	v_and_b32_sdwa v1, v1, v62 dst_sel:DWORD dst_unused:UNUSED_PAD src0_sel:BYTE_3 src1_sel:DWORD
	v_lshlrev_b32_e32 v28, 3, v28
	v_cndmask_b32_e32 v5, 7, v5, vcc_lo
	v_and_b32_e32 v28, 0xf8, v28
	v_and_b32_e32 v29, 7, v5
	v_or_b32_e32 v4, v4, v5
	v_or3_b32 v1, v28, v1, v29
	v_cmp_ne_u32_e32 vcc_lo, 0, v4
	v_cndmask_b32_e32 v48, 0, v1, vcc_lo
.LBB6_535:                              ;   in Loop: Header=BB6_356 Depth=4
	s_or_b32 exec_lo, exec_lo, s73
.LBB6_536:                              ;   in Loop: Header=BB6_356 Depth=4
	s_or_b32 exec_lo, exec_lo, s72
	v_cmp_gt_i16_sdwa s72, v49, v61 src0_sel:BYTE_1 src1_sel:DWORD
	s_and_b32 vcc_lo, exec_lo, s63
	s_mov_b32 s16, -1
                                        ; implicit-def: $vgpr1
	s_cbranch_vccz .LBB6_550
; %bb.537:                              ;   in Loop: Header=BB6_356 Depth=4
	s_mov_b32 s16, 0
	s_and_saveexec_b32 s73, s72
	s_xor_b32 s72, exec_lo, s73
	s_cbranch_execz .LBB6_2698
; %bb.538:                              ;   in Loop: Header=BB6_356 Depth=4
	v_cmp_eq_u16_sdwa s74, v49, v62 src0_sel:BYTE_1 src1_sel:DWORD
	s_mov_b32 s16, -1
	s_and_saveexec_b32 s73, s74
; %bb.539:                              ;   in Loop: Header=BB6_356 Depth=4
	s_xor_b32 s16, exec_lo, -1
; %bb.540:                              ;   in Loop: Header=BB6_356 Depth=4
	s_or_b32 exec_lo, exec_lo, s73
	s_and_b32 s16, s16, exec_lo
	s_or_saveexec_b32 s72, s72
	v_mov_b32_e32 v1, 0x7f800001
	s_xor_b32 exec_lo, exec_lo, s72
	s_cbranch_execnz .LBB6_2699
.LBB6_541:                              ;   in Loop: Header=BB6_356 Depth=4
	s_or_b32 exec_lo, exec_lo, s72
	s_and_saveexec_b32 s72, s16
	s_cbranch_execz .LBB6_543
.LBB6_542:                              ;   in Loop: Header=BB6_356 Depth=4
	v_and_b32_sdwa v1, v63, v49 dst_sel:DWORD dst_unused:UNUSED_PAD src0_sel:DWORD src1_sel:BYTE_1
	v_and_b32_e32 v4, 7, v1
	v_bfe_u32 v29, v1, 3, 4
	v_ffbh_u32_e32 v5, v4
	v_cmp_eq_u32_e32 vcc_lo, 0, v29
	v_min_u32_e32 v5, 32, v5
	v_subrev_nc_u32_e32 v28, 28, v5
	v_sub_nc_u32_e32 v5, 29, v5
	v_lshlrev_b32_e32 v1, v28, v1
	v_lshlrev_b32_e32 v28, 16, v49
	v_cndmask_b32_e32 v5, v29, v5, vcc_lo
	v_and_b32_e32 v1, 7, v1
	v_lshl_add_u32 v5, v5, 23, 0x3b800000
	v_cndmask_b32_e32 v1, v4, v1, vcc_lo
	v_and_b32_e32 v4, 0x80000000, v28
	v_lshlrev_b32_e32 v1, 20, v1
	v_or3_b32 v1, v4, v5, v1
.LBB6_543:                              ;   in Loop: Header=BB6_356 Depth=4
	s_or_b32 exec_lo, exec_lo, s72
	v_cmp_gt_i16_sdwa s72, v37, v61 src0_sel:BYTE_1 src1_sel:DWORD
	s_mov_b32 s16, 0
	s_and_saveexec_b32 s73, s72
	s_xor_b32 s72, exec_lo, s73
	s_cbranch_execz .LBB6_2700
; %bb.544:                              ;   in Loop: Header=BB6_356 Depth=4
	v_cmp_eq_u16_sdwa s74, v37, v62 src0_sel:BYTE_1 src1_sel:DWORD
	s_mov_b32 s16, -1
	s_and_saveexec_b32 s73, s74
; %bb.545:                              ;   in Loop: Header=BB6_356 Depth=4
	s_xor_b32 s16, exec_lo, -1
; %bb.546:                              ;   in Loop: Header=BB6_356 Depth=4
	s_or_b32 exec_lo, exec_lo, s73
	s_and_b32 s16, s16, exec_lo
	s_or_saveexec_b32 s72, s72
	v_mov_b32_e32 v4, 0x7f800001
	s_xor_b32 exec_lo, exec_lo, s72
	s_cbranch_execnz .LBB6_2701
.LBB6_547:                              ;   in Loop: Header=BB6_356 Depth=4
	s_or_b32 exec_lo, exec_lo, s72
	s_and_saveexec_b32 s72, s16
	s_cbranch_execz .LBB6_549
.LBB6_548:                              ;   in Loop: Header=BB6_356 Depth=4
	v_and_b32_sdwa v4, v63, v37 dst_sel:DWORD dst_unused:UNUSED_PAD src0_sel:DWORD src1_sel:BYTE_1
	v_and_b32_e32 v5, 7, v4
	v_bfe_u32 v30, v4, 3, 4
	v_ffbh_u32_e32 v28, v5
	v_cmp_eq_u32_e32 vcc_lo, 0, v30
	v_min_u32_e32 v28, 32, v28
	v_subrev_nc_u32_e32 v29, 28, v28
	v_sub_nc_u32_e32 v28, 29, v28
	v_lshlrev_b32_e32 v4, v29, v4
	v_lshlrev_b32_e32 v29, 16, v37
	v_cndmask_b32_e32 v28, v30, v28, vcc_lo
	v_and_b32_e32 v4, 7, v4
	v_lshl_add_u32 v28, v28, 23, 0x3b800000
	v_cndmask_b32_e32 v4, v5, v4, vcc_lo
	v_and_b32_e32 v5, 0x80000000, v29
	v_lshlrev_b32_e32 v4, 20, v4
	v_or3_b32 v4, v5, v28, v4
.LBB6_549:                              ;   in Loop: Header=BB6_356 Depth=4
	s_or_b32 exec_lo, exec_lo, s72
	v_max_f32_e32 v4, v4, v4
	v_max_f32_e32 v1, v1, v1
	s_mov_b32 s16, 0
	v_max_f32_e32 v1, v1, v4
.LBB6_550:                              ;   in Loop: Header=BB6_356 Depth=4
	s_and_b32 vcc_lo, exec_lo, s16
	s_cbranch_vccz .LBB6_564
; %bb.551:                              ;   in Loop: Header=BB6_356 Depth=4
	v_cmp_gt_i16_sdwa s72, v49, v61 src0_sel:BYTE_1 src1_sel:DWORD
	s_mov_b32 s16, 0
	s_and_saveexec_b32 s73, s72
	s_xor_b32 s72, exec_lo, s73
	s_cbranch_execz .LBB6_2702
; %bb.552:                              ;   in Loop: Header=BB6_356 Depth=4
	v_cmp_eq_u16_sdwa s74, v49, v62 src0_sel:BYTE_1 src1_sel:DWORD
	s_mov_b32 s16, -1
	s_and_saveexec_b32 s73, s74
; %bb.553:                              ;   in Loop: Header=BB6_356 Depth=4
	s_xor_b32 s16, exec_lo, -1
; %bb.554:                              ;   in Loop: Header=BB6_356 Depth=4
	s_or_b32 exec_lo, exec_lo, s73
	s_and_b32 s16, s16, exec_lo
	s_or_saveexec_b32 s72, s72
	v_mov_b32_e32 v1, 0x7f800001
	s_xor_b32 exec_lo, exec_lo, s72
	s_cbranch_execnz .LBB6_2703
.LBB6_555:                              ;   in Loop: Header=BB6_356 Depth=4
	s_or_b32 exec_lo, exec_lo, s72
	s_and_saveexec_b32 s72, s16
	s_cbranch_execz .LBB6_557
.LBB6_556:                              ;   in Loop: Header=BB6_356 Depth=4
	v_and_b32_sdwa v1, v63, v49 dst_sel:DWORD dst_unused:UNUSED_PAD src0_sel:DWORD src1_sel:BYTE_1
	v_and_b32_e32 v4, 7, v1
	v_bfe_u32 v29, v1, 3, 4
	v_ffbh_u32_e32 v5, v4
	v_cmp_eq_u32_e32 vcc_lo, 0, v29
	v_min_u32_e32 v5, 32, v5
	v_subrev_nc_u32_e32 v28, 28, v5
	v_sub_nc_u32_e32 v5, 29, v5
	v_lshlrev_b32_e32 v1, v28, v1
	v_lshlrev_b32_e32 v28, 16, v49
	v_cndmask_b32_e32 v5, v29, v5, vcc_lo
	v_and_b32_e32 v1, 7, v1
	v_lshl_add_u32 v5, v5, 23, 0x3b800000
	v_cndmask_b32_e32 v1, v4, v1, vcc_lo
	v_and_b32_e32 v4, 0x80000000, v28
	v_lshlrev_b32_e32 v1, 20, v1
	v_or3_b32 v1, v4, v5, v1
.LBB6_557:                              ;   in Loop: Header=BB6_356 Depth=4
	s_or_b32 exec_lo, exec_lo, s72
	v_cmp_gt_i16_sdwa s72, v37, v61 src0_sel:BYTE_1 src1_sel:DWORD
	s_mov_b32 s16, 0
	s_and_saveexec_b32 s73, s72
	s_xor_b32 s72, exec_lo, s73
	s_cbranch_execz .LBB6_2704
; %bb.558:                              ;   in Loop: Header=BB6_356 Depth=4
	v_cmp_eq_u16_sdwa s74, v37, v62 src0_sel:BYTE_1 src1_sel:DWORD
	s_mov_b32 s16, -1
	s_and_saveexec_b32 s73, s74
; %bb.559:                              ;   in Loop: Header=BB6_356 Depth=4
	s_xor_b32 s16, exec_lo, -1
; %bb.560:                              ;   in Loop: Header=BB6_356 Depth=4
	s_or_b32 exec_lo, exec_lo, s73
	s_and_b32 s16, s16, exec_lo
	s_or_saveexec_b32 s72, s72
	v_mov_b32_e32 v4, 0x7f800001
	s_xor_b32 exec_lo, exec_lo, s72
	s_cbranch_execnz .LBB6_2705
.LBB6_561:                              ;   in Loop: Header=BB6_356 Depth=4
	s_or_b32 exec_lo, exec_lo, s72
	s_and_saveexec_b32 s72, s16
	s_cbranch_execz .LBB6_563
.LBB6_562:                              ;   in Loop: Header=BB6_356 Depth=4
	v_and_b32_sdwa v4, v63, v37 dst_sel:DWORD dst_unused:UNUSED_PAD src0_sel:DWORD src1_sel:BYTE_1
	v_and_b32_e32 v5, 7, v4
	v_bfe_u32 v30, v4, 3, 4
	v_ffbh_u32_e32 v28, v5
	v_cmp_eq_u32_e32 vcc_lo, 0, v30
	v_min_u32_e32 v28, 32, v28
	v_subrev_nc_u32_e32 v29, 28, v28
	v_sub_nc_u32_e32 v28, 29, v28
	v_lshlrev_b32_e32 v4, v29, v4
	v_lshlrev_b32_e32 v29, 16, v37
	v_cndmask_b32_e32 v28, v30, v28, vcc_lo
	v_and_b32_e32 v4, 7, v4
	v_lshl_add_u32 v28, v28, 23, 0x3b800000
	v_cndmask_b32_e32 v4, v5, v4, vcc_lo
	v_and_b32_e32 v5, 0x80000000, v29
	v_lshlrev_b32_e32 v4, 20, v4
	v_or3_b32 v4, v5, v28, v4
.LBB6_563:                              ;   in Loop: Header=BB6_356 Depth=4
	s_or_b32 exec_lo, exec_lo, s72
	v_max_f32_e32 v4, v4, v4
	v_max_f32_e32 v1, v1, v1
	v_min_f32_e32 v1, v1, v4
.LBB6_564:                              ;   in Loop: Header=BB6_356 Depth=4
	v_and_b32_e32 v4, 0x7f800000, v1
	v_mov_b32_e32 v111, 0x8000
	s_mov_b32 s72, exec_lo
	v_cmpx_ne_u32_e32 0x7f800000, v4
	s_cbranch_execz .LBB6_572
; %bb.565:                              ;   in Loop: Header=BB6_356 Depth=4
	v_mov_b32_e32 v111, 0
	s_mov_b32 s73, exec_lo
	v_cmpx_ne_u32_e32 0, v1
	s_cbranch_execz .LBB6_571
; %bb.566:                              ;   in Loop: Header=BB6_356 Depth=4
	v_bfe_u32 v5, v1, 23, 8
	v_and_b32_e32 v4, 0x7fffff, v1
	v_cmp_gt_u32_e64 s16, 0x79, v5
	v_sub_nc_u32_e32 v28, 0x78, v5
	v_cmp_eq_u32_e32 vcc_lo, 0, v5
	v_or_b32_e32 v29, 0x800000, v4
	v_cndmask_b32_e64 v28, 0, v28, s16
	v_cndmask_b32_e32 v4, v29, v4, vcc_lo
	v_cndmask_b32_e64 v28, v28, 0x77, vcc_lo
	v_lshl_add_u32 v29, 0x100000, v28, -1
	v_lshlrev_b32_e64 v30, v28, 0x80000
	v_and_b32_e32 v29, v29, v4
	v_cmp_eq_u32_e64 s16, v29, v30
	v_lshrrev_b32_e32 v29, v28, v4
	v_add_nc_u32_e32 v4, 0xffffff89, v5
	v_lshrrev_b32_e32 v5, 23, v29
	v_cndmask_b32_e64 v4, v4, 0xffffff8a, vcc_lo
	v_xor_b32_e32 v5, 1, v5
	v_add_nc_u32_e32 v4, v28, v4
	v_bfe_u32 v28, v29, 20, 1
	v_add_nc_u32_e32 v28, -1, v28
	v_cndmask_b32_e64 v28, 0, v28, s16
	s_mov_b32 s16, exec_lo
	v_add_nc_u32_e32 v28, v28, v29
	v_and_b32_e32 v28, 0xfffff, v28
	v_add_nc_u32_e32 v29, v28, v29
                                        ; implicit-def: $vgpr28
	v_cmpx_ne_u32_e64 v4, v5
	s_xor_b32 s16, exec_lo, s16
; %bb.567:                              ;   in Loop: Header=BB6_356 Depth=4
	v_cmp_lt_u32_e32 vcc_lo, 0xffffff, v29
	v_sub_nc_u32_e32 v4, v4, v5
	v_cndmask_b32_e64 v5, 0, 1, vcc_lo
	v_add_co_ci_u32_e64 v28, null, 0, v4, vcc_lo
	v_lshrrev_b32_e32 v29, v5, v29
; %bb.568:                              ;   in Loop: Header=BB6_356 Depth=4
	s_andn2_saveexec_b32 s16, s16
; %bb.569:                              ;   in Loop: Header=BB6_356 Depth=4
	v_bfe_u32 v28, v29, 23, 1
; %bb.570:                              ;   in Loop: Header=BB6_356 Depth=4
	s_or_b32 exec_lo, exec_lo, s16
	v_lshrrev_b32_e32 v4, 20, v29
	v_min_i32_e32 v5, 15, v28
	v_cmp_gt_i32_e32 vcc_lo, 16, v28
	v_and_b32_sdwa v1, v1, v62 dst_sel:DWORD dst_unused:UNUSED_PAD src0_sel:BYTE_3 src1_sel:DWORD
	v_lshlrev_b32_e32 v5, 3, v5
	v_cndmask_b32_e32 v4, 7, v4, vcc_lo
	v_and_b32_e32 v5, 0xf8, v5
	v_and_b32_e32 v29, 7, v4
	v_or_b32_e32 v4, v28, v4
	v_or3_b32 v1, v1, v5, v29
	v_cmp_ne_u32_e32 vcc_lo, 0, v4
	v_lshlrev_b32_e32 v1, 8, v1
	v_cndmask_b32_e32 v111, 0, v1, vcc_lo
.LBB6_571:                              ;   in Loop: Header=BB6_356 Depth=4
	s_or_b32 exec_lo, exec_lo, s73
.LBB6_572:                              ;   in Loop: Header=BB6_356 Depth=4
	s_or_b32 exec_lo, exec_lo, s72
	v_and_b32_sdwa v1, v49, v72 dst_sel:DWORD dst_unused:UNUSED_PAD src0_sel:WORD_1 src1_sel:DWORD
	s_and_b32 vcc_lo, exec_lo, s63
	s_mov_b32 s72, -1
                                        ; implicit-def: $vgpr4
	v_cmp_lt_i16_e64 s16, 0x7f, v1
	s_cbranch_vccz .LBB6_586
; %bb.573:                              ;   in Loop: Header=BB6_356 Depth=4
	s_mov_b32 s72, 0
	s_and_saveexec_b32 s73, s16
	s_xor_b32 s16, exec_lo, s73
	s_cbranch_execz .LBB6_2706
; %bb.574:                              ;   in Loop: Header=BB6_356 Depth=4
	s_mov_b32 s72, -1
	s_mov_b32 s73, exec_lo
	v_cmpx_eq_u16_e32 0x80, v1
; %bb.575:                              ;   in Loop: Header=BB6_356 Depth=4
	s_xor_b32 s72, exec_lo, -1
; %bb.576:                              ;   in Loop: Header=BB6_356 Depth=4
	s_or_b32 exec_lo, exec_lo, s73
	s_and_b32 s72, s72, exec_lo
	s_or_saveexec_b32 s16, s16
	v_mov_b32_e32 v4, 0x7f800001
	s_xor_b32 exec_lo, exec_lo, s16
	s_cbranch_execnz .LBB6_2707
.LBB6_577:                              ;   in Loop: Header=BB6_356 Depth=4
	s_or_b32 exec_lo, exec_lo, s16
	s_and_saveexec_b32 s16, s72
	s_cbranch_execz .LBB6_579
.LBB6_578:                              ;   in Loop: Header=BB6_356 Depth=4
	v_bfe_u32 v4, v49, 16, 3
	v_bfe_u32 v29, v49, 19, 4
	v_lshlrev_b32_sdwa v30, v73, v49 dst_sel:DWORD dst_unused:UNUSED_PAD src0_sel:DWORD src1_sel:WORD_1
	v_ffbh_u32_e32 v5, v4
	v_cmp_eq_u32_e32 vcc_lo, 0, v29
	v_min_u32_e32 v5, 32, v5
	v_subrev_nc_u32_e32 v28, 28, v5
	v_sub_nc_u32_e32 v5, 29, v5
	v_lshlrev_b32_sdwa v28, v28, v49 dst_sel:DWORD dst_unused:UNUSED_PAD src0_sel:DWORD src1_sel:WORD_1
	v_cndmask_b32_e32 v5, v29, v5, vcc_lo
	v_and_b32_e32 v28, 7, v28
	v_lshl_add_u32 v5, v5, 23, 0x3b800000
	v_cndmask_b32_e32 v4, v4, v28, vcc_lo
	v_and_b32_e32 v28, 0x80000000, v30
	v_lshlrev_b32_e32 v4, 20, v4
	v_or3_b32 v4, v28, v5, v4
.LBB6_579:                              ;   in Loop: Header=BB6_356 Depth=4
	s_or_b32 exec_lo, exec_lo, s16
	v_and_b32_sdwa v28, v37, v72 dst_sel:DWORD dst_unused:UNUSED_PAD src0_sel:WORD_1 src1_sel:DWORD
	s_mov_b32 s72, 0
	s_mov_b32 s16, exec_lo
	v_cmpx_lt_i16_e32 0x7f, v28
	s_xor_b32 s16, exec_lo, s16
	s_cbranch_execz .LBB6_2708
; %bb.580:                              ;   in Loop: Header=BB6_356 Depth=4
	s_mov_b32 s72, -1
	s_mov_b32 s73, exec_lo
	v_cmpx_eq_u16_e32 0x80, v28
; %bb.581:                              ;   in Loop: Header=BB6_356 Depth=4
	s_xor_b32 s72, exec_lo, -1
; %bb.582:                              ;   in Loop: Header=BB6_356 Depth=4
	s_or_b32 exec_lo, exec_lo, s73
	s_and_b32 s72, s72, exec_lo
                                        ; implicit-def: $vgpr28
	s_or_saveexec_b32 s16, s16
	v_mov_b32_e32 v5, 0x7f800001
	s_xor_b32 exec_lo, exec_lo, s16
	s_cbranch_execnz .LBB6_2709
.LBB6_583:                              ;   in Loop: Header=BB6_356 Depth=4
	s_or_b32 exec_lo, exec_lo, s16
	s_and_saveexec_b32 s16, s72
	s_cbranch_execz .LBB6_585
.LBB6_584:                              ;   in Loop: Header=BB6_356 Depth=4
	v_bfe_u32 v5, v37, 16, 3
	v_bfe_u32 v28, v37, 19, 4
	v_ffbh_u32_e32 v29, v5
	v_cmp_eq_u32_e32 vcc_lo, 0, v28
	v_min_u32_e32 v29, 32, v29
	v_subrev_nc_u32_e32 v30, 28, v29
	v_sub_nc_u32_e32 v29, 29, v29
	v_lshlrev_b32_sdwa v30, v30, v37 dst_sel:DWORD dst_unused:UNUSED_PAD src0_sel:DWORD src1_sel:WORD_1
	v_cndmask_b32_e32 v28, v28, v29, vcc_lo
	v_lshlrev_b32_sdwa v29, v73, v37 dst_sel:DWORD dst_unused:UNUSED_PAD src0_sel:DWORD src1_sel:WORD_1
	v_and_b32_e32 v30, 7, v30
	v_lshl_add_u32 v28, v28, 23, 0x3b800000
	v_and_b32_e32 v29, 0x80000000, v29
	v_cndmask_b32_e32 v5, v5, v30, vcc_lo
	v_lshlrev_b32_e32 v5, 20, v5
	v_or3_b32 v5, v29, v28, v5
.LBB6_585:                              ;   in Loop: Header=BB6_356 Depth=4
	s_or_b32 exec_lo, exec_lo, s16
	v_max_f32_e32 v5, v5, v5
	v_max_f32_e32 v4, v4, v4
	s_mov_b32 s72, 0
	v_max_f32_e32 v4, v4, v5
.LBB6_586:                              ;   in Loop: Header=BB6_356 Depth=4
	s_and_b32 vcc_lo, exec_lo, s72
	s_cbranch_vccz .LBB6_600
; %bb.587:                              ;   in Loop: Header=BB6_356 Depth=4
	s_mov_b32 s16, 0
	s_mov_b32 s72, exec_lo
	v_cmpx_lt_i16_e32 0x7f, v1
	s_xor_b32 s72, exec_lo, s72
	s_cbranch_execz .LBB6_2710
; %bb.588:                              ;   in Loop: Header=BB6_356 Depth=4
	s_mov_b32 s16, -1
	s_mov_b32 s73, exec_lo
	v_cmpx_eq_u16_e32 0x80, v1
; %bb.589:                              ;   in Loop: Header=BB6_356 Depth=4
	s_xor_b32 s16, exec_lo, -1
; %bb.590:                              ;   in Loop: Header=BB6_356 Depth=4
	s_or_b32 exec_lo, exec_lo, s73
	s_and_b32 s16, s16, exec_lo
                                        ; implicit-def: $vgpr1
	s_or_saveexec_b32 s72, s72
	v_mov_b32_e32 v4, 0x7f800001
	s_xor_b32 exec_lo, exec_lo, s72
	s_cbranch_execnz .LBB6_2711
.LBB6_591:                              ;   in Loop: Header=BB6_356 Depth=4
	s_or_b32 exec_lo, exec_lo, s72
	s_and_saveexec_b32 s72, s16
	s_cbranch_execz .LBB6_593
.LBB6_592:                              ;   in Loop: Header=BB6_356 Depth=4
	v_bfe_u32 v1, v49, 16, 3
	v_bfe_u32 v28, v49, 19, 4
	v_lshlrev_b32_sdwa v29, v73, v49 dst_sel:DWORD dst_unused:UNUSED_PAD src0_sel:DWORD src1_sel:WORD_1
	v_ffbh_u32_e32 v4, v1
	v_cmp_eq_u32_e32 vcc_lo, 0, v28
	v_min_u32_e32 v4, 32, v4
	v_subrev_nc_u32_e32 v5, 28, v4
	v_sub_nc_u32_e32 v4, 29, v4
	v_lshlrev_b32_sdwa v5, v5, v49 dst_sel:DWORD dst_unused:UNUSED_PAD src0_sel:DWORD src1_sel:WORD_1
	v_cndmask_b32_e32 v4, v28, v4, vcc_lo
	v_and_b32_e32 v5, 7, v5
	v_lshl_add_u32 v4, v4, 23, 0x3b800000
	v_cndmask_b32_e32 v1, v1, v5, vcc_lo
	v_and_b32_e32 v5, 0x80000000, v29
	v_lshlrev_b32_e32 v1, 20, v1
	v_or3_b32 v4, v5, v4, v1
.LBB6_593:                              ;   in Loop: Header=BB6_356 Depth=4
	s_or_b32 exec_lo, exec_lo, s72
	v_and_b32_sdwa v5, v37, v72 dst_sel:DWORD dst_unused:UNUSED_PAD src0_sel:WORD_1 src1_sel:DWORD
	s_mov_b32 s16, 0
	s_mov_b32 s72, exec_lo
	v_cmpx_lt_i16_e32 0x7f, v5
	s_xor_b32 s72, exec_lo, s72
	s_cbranch_execz .LBB6_2712
; %bb.594:                              ;   in Loop: Header=BB6_356 Depth=4
	s_mov_b32 s16, -1
	s_mov_b32 s73, exec_lo
	v_cmpx_eq_u16_e32 0x80, v5
; %bb.595:                              ;   in Loop: Header=BB6_356 Depth=4
	s_xor_b32 s16, exec_lo, -1
; %bb.596:                              ;   in Loop: Header=BB6_356 Depth=4
	s_or_b32 exec_lo, exec_lo, s73
	s_and_b32 s16, s16, exec_lo
                                        ; implicit-def: $vgpr5
	s_or_saveexec_b32 s72, s72
	v_mov_b32_e32 v1, 0x7f800001
	s_xor_b32 exec_lo, exec_lo, s72
	s_cbranch_execnz .LBB6_2713
.LBB6_597:                              ;   in Loop: Header=BB6_356 Depth=4
	s_or_b32 exec_lo, exec_lo, s72
	s_and_saveexec_b32 s72, s16
	s_cbranch_execz .LBB6_599
.LBB6_598:                              ;   in Loop: Header=BB6_356 Depth=4
	v_bfe_u32 v1, v37, 16, 3
	v_bfe_u32 v29, v37, 19, 4
	v_lshlrev_b32_sdwa v30, v73, v37 dst_sel:DWORD dst_unused:UNUSED_PAD src0_sel:DWORD src1_sel:WORD_1
	v_ffbh_u32_e32 v5, v1
	v_cmp_eq_u32_e32 vcc_lo, 0, v29
	v_min_u32_e32 v5, 32, v5
	v_subrev_nc_u32_e32 v28, 28, v5
	v_sub_nc_u32_e32 v5, 29, v5
	v_lshlrev_b32_sdwa v28, v28, v37 dst_sel:DWORD dst_unused:UNUSED_PAD src0_sel:DWORD src1_sel:WORD_1
	v_cndmask_b32_e32 v5, v29, v5, vcc_lo
	v_and_b32_e32 v28, 7, v28
	v_lshl_add_u32 v5, v5, 23, 0x3b800000
	v_cndmask_b32_e32 v1, v1, v28, vcc_lo
	v_and_b32_e32 v28, 0x80000000, v30
	v_lshlrev_b32_e32 v1, 20, v1
	v_or3_b32 v1, v28, v5, v1
.LBB6_599:                              ;   in Loop: Header=BB6_356 Depth=4
	s_or_b32 exec_lo, exec_lo, s72
	v_max_f32_e32 v1, v1, v1
	v_max_f32_e32 v4, v4, v4
	v_min_f32_e32 v4, v4, v1
.LBB6_600:                              ;   in Loop: Header=BB6_356 Depth=4
	v_and_b32_e32 v1, 0x7f800000, v4
	v_mov_b32_e32 v120, 0x80
	s_mov_b32 s72, exec_lo
	v_cmpx_ne_u32_e32 0x7f800000, v1
	s_cbranch_execz .LBB6_608
; %bb.601:                              ;   in Loop: Header=BB6_356 Depth=4
	v_mov_b32_e32 v120, 0
	s_mov_b32 s73, exec_lo
	v_cmpx_ne_u32_e32 0, v4
	s_cbranch_execz .LBB6_607
; %bb.602:                              ;   in Loop: Header=BB6_356 Depth=4
	v_bfe_u32 v5, v4, 23, 8
	v_and_b32_e32 v1, 0x7fffff, v4
	v_cmp_gt_u32_e64 s16, 0x79, v5
	v_sub_nc_u32_e32 v28, 0x78, v5
	v_cmp_eq_u32_e32 vcc_lo, 0, v5
	v_or_b32_e32 v29, 0x800000, v1
	v_cndmask_b32_e64 v28, 0, v28, s16
	v_cndmask_b32_e32 v1, v29, v1, vcc_lo
	v_cndmask_b32_e64 v28, v28, 0x77, vcc_lo
	v_lshl_add_u32 v29, 0x100000, v28, -1
	v_lshlrev_b32_e64 v30, v28, 0x80000
	v_and_b32_e32 v29, v29, v1
	v_cmp_eq_u32_e64 s16, v29, v30
	v_lshrrev_b32_e32 v29, v28, v1
	v_add_nc_u32_e32 v1, 0xffffff89, v5
	v_lshrrev_b32_e32 v5, 23, v29
	v_cndmask_b32_e64 v1, v1, 0xffffff8a, vcc_lo
	v_xor_b32_e32 v5, 1, v5
	v_add_nc_u32_e32 v1, v28, v1
	v_bfe_u32 v28, v29, 20, 1
	v_add_nc_u32_e32 v28, -1, v28
	v_cndmask_b32_e64 v28, 0, v28, s16
	s_mov_b32 s16, exec_lo
	v_add_nc_u32_e32 v28, v28, v29
	v_and_b32_e32 v28, 0xfffff, v28
	v_add_nc_u32_e32 v29, v28, v29
                                        ; implicit-def: $vgpr28
	v_cmpx_ne_u32_e64 v1, v5
	s_xor_b32 s16, exec_lo, s16
; %bb.603:                              ;   in Loop: Header=BB6_356 Depth=4
	v_cmp_lt_u32_e32 vcc_lo, 0xffffff, v29
	v_sub_nc_u32_e32 v1, v1, v5
	v_cndmask_b32_e64 v5, 0, 1, vcc_lo
	v_add_co_ci_u32_e64 v28, null, 0, v1, vcc_lo
	v_lshrrev_b32_e32 v29, v5, v29
; %bb.604:                              ;   in Loop: Header=BB6_356 Depth=4
	s_andn2_saveexec_b32 s16, s16
; %bb.605:                              ;   in Loop: Header=BB6_356 Depth=4
	v_bfe_u32 v28, v29, 23, 1
; %bb.606:                              ;   in Loop: Header=BB6_356 Depth=4
	s_or_b32 exec_lo, exec_lo, s16
	v_lshrrev_b32_e32 v1, 20, v29
	v_min_i32_e32 v5, 15, v28
	v_cmp_gt_i32_e32 vcc_lo, 16, v28
	v_and_b32_sdwa v4, v4, v62 dst_sel:DWORD dst_unused:UNUSED_PAD src0_sel:BYTE_3 src1_sel:DWORD
	v_lshlrev_b32_e32 v5, 3, v5
	v_cndmask_b32_e32 v1, 7, v1, vcc_lo
	v_and_b32_e32 v5, 0xf8, v5
	v_and_b32_e32 v29, 7, v1
	v_or_b32_e32 v1, v28, v1
	v_or3_b32 v4, v5, v4, v29
	v_cmp_ne_u32_e32 vcc_lo, 0, v1
	v_cndmask_b32_e32 v120, 0, v4, vcc_lo
.LBB6_607:                              ;   in Loop: Header=BB6_356 Depth=4
	s_or_b32 exec_lo, exec_lo, s73
.LBB6_608:                              ;   in Loop: Header=BB6_356 Depth=4
	s_or_b32 exec_lo, exec_lo, s72
	v_cmp_gt_i16_sdwa s72, v49, v61 src0_sel:BYTE_3 src1_sel:DWORD
	s_and_b32 vcc_lo, exec_lo, s63
	s_mov_b32 s16, -1
                                        ; implicit-def: $vgpr1
	s_cbranch_vccz .LBB6_622
; %bb.609:                              ;   in Loop: Header=BB6_356 Depth=4
	s_mov_b32 s16, 0
	s_and_saveexec_b32 s73, s72
	s_xor_b32 s72, exec_lo, s73
	s_cbranch_execz .LBB6_2714
; %bb.610:                              ;   in Loop: Header=BB6_356 Depth=4
	v_cmp_eq_u16_sdwa s74, v49, v62 src0_sel:BYTE_3 src1_sel:DWORD
	s_mov_b32 s16, -1
	s_and_saveexec_b32 s73, s74
; %bb.611:                              ;   in Loop: Header=BB6_356 Depth=4
	s_xor_b32 s16, exec_lo, -1
; %bb.612:                              ;   in Loop: Header=BB6_356 Depth=4
	s_or_b32 exec_lo, exec_lo, s73
	s_and_b32 s16, s16, exec_lo
	s_or_saveexec_b32 s72, s72
	v_mov_b32_e32 v1, 0x7f800001
	s_xor_b32 exec_lo, exec_lo, s72
	s_cbranch_execnz .LBB6_2715
.LBB6_613:                              ;   in Loop: Header=BB6_356 Depth=4
	s_or_b32 exec_lo, exec_lo, s72
	s_and_saveexec_b32 s72, s16
	s_cbranch_execz .LBB6_615
.LBB6_614:                              ;   in Loop: Header=BB6_356 Depth=4
	v_bfe_u32 v1, v49, 24, 3
	v_bfe_u32 v28, v49, 27, 4
	v_ffbh_u32_e32 v4, v1
	v_cmp_eq_u32_e32 vcc_lo, 0, v28
	v_min_u32_e32 v4, 32, v4
	v_subrev_nc_u32_e32 v5, 28, v4
	v_sub_nc_u32_e32 v4, 29, v4
	v_lshlrev_b32_sdwa v5, v5, v49 dst_sel:DWORD dst_unused:UNUSED_PAD src0_sel:DWORD src1_sel:BYTE_3
	v_cndmask_b32_e32 v4, v28, v4, vcc_lo
	v_and_b32_e32 v5, 7, v5
	v_lshl_add_u32 v4, v4, 23, 0x3b800000
	v_cndmask_b32_e32 v1, v1, v5, vcc_lo
	v_and_b32_e32 v5, 0x80000000, v49
	v_lshlrev_b32_e32 v1, 20, v1
	v_or3_b32 v1, v5, v4, v1
.LBB6_615:                              ;   in Loop: Header=BB6_356 Depth=4
	s_or_b32 exec_lo, exec_lo, s72
	v_cmp_gt_i16_sdwa s72, v37, v61 src0_sel:BYTE_3 src1_sel:DWORD
	s_mov_b32 s16, 0
	s_and_saveexec_b32 s73, s72
	s_xor_b32 s72, exec_lo, s73
	s_cbranch_execz .LBB6_2716
; %bb.616:                              ;   in Loop: Header=BB6_356 Depth=4
	v_cmp_eq_u16_sdwa s74, v37, v62 src0_sel:BYTE_3 src1_sel:DWORD
	s_mov_b32 s16, -1
	s_and_saveexec_b32 s73, s74
; %bb.617:                              ;   in Loop: Header=BB6_356 Depth=4
	s_xor_b32 s16, exec_lo, -1
; %bb.618:                              ;   in Loop: Header=BB6_356 Depth=4
	s_or_b32 exec_lo, exec_lo, s73
	s_and_b32 s16, s16, exec_lo
	s_or_saveexec_b32 s72, s72
	v_mov_b32_e32 v4, 0x7f800001
	s_xor_b32 exec_lo, exec_lo, s72
	s_cbranch_execnz .LBB6_2717
.LBB6_619:                              ;   in Loop: Header=BB6_356 Depth=4
	s_or_b32 exec_lo, exec_lo, s72
	s_and_saveexec_b32 s72, s16
	s_cbranch_execz .LBB6_621
.LBB6_620:                              ;   in Loop: Header=BB6_356 Depth=4
	v_bfe_u32 v4, v37, 24, 3
	v_bfe_u32 v29, v37, 27, 4
	v_ffbh_u32_e32 v5, v4
	v_cmp_eq_u32_e32 vcc_lo, 0, v29
	v_min_u32_e32 v5, 32, v5
	v_subrev_nc_u32_e32 v28, 28, v5
	v_sub_nc_u32_e32 v5, 29, v5
	v_lshlrev_b32_sdwa v28, v28, v37 dst_sel:DWORD dst_unused:UNUSED_PAD src0_sel:DWORD src1_sel:BYTE_3
	v_cndmask_b32_e32 v5, v29, v5, vcc_lo
	v_and_b32_e32 v28, 7, v28
	v_lshl_add_u32 v5, v5, 23, 0x3b800000
	v_cndmask_b32_e32 v4, v4, v28, vcc_lo
	v_and_b32_e32 v28, 0x80000000, v37
	v_lshlrev_b32_e32 v4, 20, v4
	v_or3_b32 v4, v28, v5, v4
.LBB6_621:                              ;   in Loop: Header=BB6_356 Depth=4
	s_or_b32 exec_lo, exec_lo, s72
	v_max_f32_e32 v4, v4, v4
	v_max_f32_e32 v1, v1, v1
	s_mov_b32 s16, 0
	v_max_f32_e32 v1, v1, v4
.LBB6_622:                              ;   in Loop: Header=BB6_356 Depth=4
	s_and_b32 vcc_lo, exec_lo, s16
	s_cbranch_vccz .LBB6_636
; %bb.623:                              ;   in Loop: Header=BB6_356 Depth=4
	v_cmp_gt_i16_sdwa s72, v49, v61 src0_sel:BYTE_3 src1_sel:DWORD
	s_mov_b32 s16, 0
	s_and_saveexec_b32 s73, s72
	s_xor_b32 s72, exec_lo, s73
	s_cbranch_execz .LBB6_2718
; %bb.624:                              ;   in Loop: Header=BB6_356 Depth=4
	v_cmp_eq_u16_sdwa s74, v49, v62 src0_sel:BYTE_3 src1_sel:DWORD
	s_mov_b32 s16, -1
	s_and_saveexec_b32 s73, s74
; %bb.625:                              ;   in Loop: Header=BB6_356 Depth=4
	s_xor_b32 s16, exec_lo, -1
; %bb.626:                              ;   in Loop: Header=BB6_356 Depth=4
	s_or_b32 exec_lo, exec_lo, s73
	s_and_b32 s16, s16, exec_lo
	s_or_saveexec_b32 s72, s72
	v_mov_b32_e32 v1, 0x7f800001
	s_xor_b32 exec_lo, exec_lo, s72
	s_cbranch_execnz .LBB6_2719
.LBB6_627:                              ;   in Loop: Header=BB6_356 Depth=4
	s_or_b32 exec_lo, exec_lo, s72
	s_and_saveexec_b32 s72, s16
	s_cbranch_execz .LBB6_629
.LBB6_628:                              ;   in Loop: Header=BB6_356 Depth=4
	v_bfe_u32 v1, v49, 24, 3
	v_bfe_u32 v28, v49, 27, 4
	v_ffbh_u32_e32 v4, v1
	v_cmp_eq_u32_e32 vcc_lo, 0, v28
	v_min_u32_e32 v4, 32, v4
	v_subrev_nc_u32_e32 v5, 28, v4
	v_sub_nc_u32_e32 v4, 29, v4
	v_lshlrev_b32_sdwa v5, v5, v49 dst_sel:DWORD dst_unused:UNUSED_PAD src0_sel:DWORD src1_sel:BYTE_3
	v_cndmask_b32_e32 v4, v28, v4, vcc_lo
	v_and_b32_e32 v5, 7, v5
	v_lshl_add_u32 v4, v4, 23, 0x3b800000
	v_cndmask_b32_e32 v1, v1, v5, vcc_lo
	v_and_b32_e32 v5, 0x80000000, v49
	v_lshlrev_b32_e32 v1, 20, v1
	v_or3_b32 v1, v5, v4, v1
.LBB6_629:                              ;   in Loop: Header=BB6_356 Depth=4
	s_or_b32 exec_lo, exec_lo, s72
	v_cmp_gt_i16_sdwa s72, v37, v61 src0_sel:BYTE_3 src1_sel:DWORD
	s_mov_b32 s16, 0
	s_and_saveexec_b32 s73, s72
	s_xor_b32 s72, exec_lo, s73
	s_cbranch_execz .LBB6_2720
; %bb.630:                              ;   in Loop: Header=BB6_356 Depth=4
	v_cmp_eq_u16_sdwa s74, v37, v62 src0_sel:BYTE_3 src1_sel:DWORD
	s_mov_b32 s16, -1
	s_and_saveexec_b32 s73, s74
; %bb.631:                              ;   in Loop: Header=BB6_356 Depth=4
	s_xor_b32 s16, exec_lo, -1
; %bb.632:                              ;   in Loop: Header=BB6_356 Depth=4
	s_or_b32 exec_lo, exec_lo, s73
	s_and_b32 s16, s16, exec_lo
	s_or_saveexec_b32 s72, s72
	v_mov_b32_e32 v4, 0x7f800001
	s_xor_b32 exec_lo, exec_lo, s72
	s_cbranch_execnz .LBB6_2721
.LBB6_633:                              ;   in Loop: Header=BB6_356 Depth=4
	s_or_b32 exec_lo, exec_lo, s72
	s_and_saveexec_b32 s72, s16
	s_cbranch_execz .LBB6_635
.LBB6_634:                              ;   in Loop: Header=BB6_356 Depth=4
	v_bfe_u32 v4, v37, 24, 3
	v_bfe_u32 v29, v37, 27, 4
	v_ffbh_u32_e32 v5, v4
	v_cmp_eq_u32_e32 vcc_lo, 0, v29
	v_min_u32_e32 v5, 32, v5
	v_subrev_nc_u32_e32 v28, 28, v5
	v_sub_nc_u32_e32 v5, 29, v5
	v_lshlrev_b32_sdwa v28, v28, v37 dst_sel:DWORD dst_unused:UNUSED_PAD src0_sel:DWORD src1_sel:BYTE_3
	v_cndmask_b32_e32 v5, v29, v5, vcc_lo
	v_and_b32_e32 v28, 7, v28
	v_lshl_add_u32 v5, v5, 23, 0x3b800000
	v_cndmask_b32_e32 v4, v4, v28, vcc_lo
	v_and_b32_e32 v28, 0x80000000, v37
	v_lshlrev_b32_e32 v4, 20, v4
	v_or3_b32 v4, v28, v5, v4
.LBB6_635:                              ;   in Loop: Header=BB6_356 Depth=4
	s_or_b32 exec_lo, exec_lo, s72
	v_max_f32_e32 v4, v4, v4
	v_max_f32_e32 v1, v1, v1
	v_min_f32_e32 v1, v1, v4
.LBB6_636:                              ;   in Loop: Header=BB6_356 Depth=4
	v_and_b32_e32 v4, 0x7f800000, v1
	v_mov_b32_e32 v37, 0x8000
	s_mov_b32 s72, exec_lo
	v_cmpx_ne_u32_e32 0x7f800000, v4
	s_cbranch_execz .LBB6_644
; %bb.637:                              ;   in Loop: Header=BB6_356 Depth=4
	v_mov_b32_e32 v37, 0
	s_mov_b32 s73, exec_lo
	v_cmpx_ne_u32_e32 0, v1
	s_cbranch_execz .LBB6_643
; %bb.638:                              ;   in Loop: Header=BB6_356 Depth=4
	v_bfe_u32 v5, v1, 23, 8
	v_and_b32_e32 v4, 0x7fffff, v1
	v_cmp_gt_u32_e64 s16, 0x79, v5
	v_sub_nc_u32_e32 v28, 0x78, v5
	v_cmp_eq_u32_e32 vcc_lo, 0, v5
	v_or_b32_e32 v29, 0x800000, v4
	v_cndmask_b32_e64 v28, 0, v28, s16
	v_cndmask_b32_e32 v4, v29, v4, vcc_lo
	v_cndmask_b32_e64 v28, v28, 0x77, vcc_lo
	v_lshl_add_u32 v29, 0x100000, v28, -1
	v_lshlrev_b32_e64 v30, v28, 0x80000
	v_and_b32_e32 v29, v29, v4
	v_cmp_eq_u32_e64 s16, v29, v30
	v_lshrrev_b32_e32 v29, v28, v4
	v_add_nc_u32_e32 v4, 0xffffff89, v5
	v_lshrrev_b32_e32 v5, 23, v29
	v_cndmask_b32_e64 v4, v4, 0xffffff8a, vcc_lo
	v_xor_b32_e32 v5, 1, v5
	v_add_nc_u32_e32 v4, v28, v4
	v_bfe_u32 v28, v29, 20, 1
	v_add_nc_u32_e32 v28, -1, v28
	v_cndmask_b32_e64 v28, 0, v28, s16
	s_mov_b32 s16, exec_lo
	v_add_nc_u32_e32 v28, v28, v29
	v_and_b32_e32 v28, 0xfffff, v28
	v_add_nc_u32_e32 v29, v28, v29
                                        ; implicit-def: $vgpr28
	v_cmpx_ne_u32_e64 v4, v5
	s_xor_b32 s16, exec_lo, s16
; %bb.639:                              ;   in Loop: Header=BB6_356 Depth=4
	v_cmp_lt_u32_e32 vcc_lo, 0xffffff, v29
	v_sub_nc_u32_e32 v4, v4, v5
	v_cndmask_b32_e64 v5, 0, 1, vcc_lo
	v_add_co_ci_u32_e64 v28, null, 0, v4, vcc_lo
	v_lshrrev_b32_e32 v29, v5, v29
; %bb.640:                              ;   in Loop: Header=BB6_356 Depth=4
	s_andn2_saveexec_b32 s16, s16
; %bb.641:                              ;   in Loop: Header=BB6_356 Depth=4
	v_bfe_u32 v28, v29, 23, 1
; %bb.642:                              ;   in Loop: Header=BB6_356 Depth=4
	s_or_b32 exec_lo, exec_lo, s16
	v_lshrrev_b32_e32 v4, 20, v29
	v_min_i32_e32 v5, 15, v28
	v_cmp_gt_i32_e32 vcc_lo, 16, v28
	v_and_b32_sdwa v1, v1, v62 dst_sel:DWORD dst_unused:UNUSED_PAD src0_sel:BYTE_3 src1_sel:DWORD
	v_lshlrev_b32_e32 v5, 3, v5
	v_cndmask_b32_e32 v4, 7, v4, vcc_lo
	v_and_b32_e32 v5, 0xf8, v5
	v_and_b32_e32 v29, 7, v4
	v_or_b32_e32 v4, v28, v4
	v_or3_b32 v1, v1, v5, v29
	v_cmp_ne_u32_e32 vcc_lo, 0, v4
	v_lshlrev_b32_e32 v1, 8, v1
	v_cndmask_b32_e32 v37, 0, v1, vcc_lo
.LBB6_643:                              ;   in Loop: Header=BB6_356 Depth=4
	s_or_b32 exec_lo, exec_lo, s73
.LBB6_644:                              ;   in Loop: Header=BB6_356 Depth=4
	s_or_b32 exec_lo, exec_lo, s72
	v_cmp_gt_i16_sdwa s72, v50, v61 src0_sel:BYTE_0 src1_sel:DWORD
	s_and_b32 vcc_lo, exec_lo, s63
	s_mov_b32 s16, -1
                                        ; implicit-def: $vgpr1
	s_cbranch_vccz .LBB6_658
; %bb.645:                              ;   in Loop: Header=BB6_356 Depth=4
	s_mov_b32 s16, 0
	s_and_saveexec_b32 s73, s72
	s_xor_b32 s72, exec_lo, s73
	s_cbranch_execz .LBB6_2722
; %bb.646:                              ;   in Loop: Header=BB6_356 Depth=4
	v_cmp_eq_u16_sdwa s74, v50, v62 src0_sel:BYTE_0 src1_sel:DWORD
	s_mov_b32 s16, -1
	s_and_saveexec_b32 s73, s74
; %bb.647:                              ;   in Loop: Header=BB6_356 Depth=4
	s_xor_b32 s16, exec_lo, -1
; %bb.648:                              ;   in Loop: Header=BB6_356 Depth=4
	s_or_b32 exec_lo, exec_lo, s73
	s_and_b32 s16, s16, exec_lo
	s_or_saveexec_b32 s72, s72
	v_mov_b32_e32 v1, 0x7f800001
	s_xor_b32 exec_lo, exec_lo, s72
	s_cbranch_execnz .LBB6_2723
.LBB6_649:                              ;   in Loop: Header=BB6_356 Depth=4
	s_or_b32 exec_lo, exec_lo, s72
	s_and_saveexec_b32 s72, s16
	s_cbranch_execz .LBB6_651
.LBB6_650:                              ;   in Loop: Header=BB6_356 Depth=4
	v_and_b32_e32 v1, 7, v50
	v_bfe_u32 v28, v50, 3, 4
	v_lshlrev_b32_e32 v29, 24, v50
	v_ffbh_u32_e32 v4, v1
	v_cmp_eq_u32_e32 vcc_lo, 0, v28
	v_min_u32_e32 v4, 32, v4
	v_subrev_nc_u32_e32 v5, 28, v4
	v_sub_nc_u32_e32 v4, 29, v4
	v_lshlrev_b32_e32 v5, v5, v50
	v_cndmask_b32_e32 v4, v28, v4, vcc_lo
	v_and_b32_e32 v5, 7, v5
	v_lshl_add_u32 v4, v4, 23, 0x3b800000
	v_cndmask_b32_e32 v1, v1, v5, vcc_lo
	v_and_b32_e32 v5, 0x80000000, v29
	v_lshlrev_b32_e32 v1, 20, v1
	v_or3_b32 v1, v5, v4, v1
.LBB6_651:                              ;   in Loop: Header=BB6_356 Depth=4
	s_or_b32 exec_lo, exec_lo, s72
	v_cmp_gt_i16_sdwa s72, v38, v61 src0_sel:BYTE_0 src1_sel:DWORD
	s_mov_b32 s16, 0
	s_and_saveexec_b32 s73, s72
	s_xor_b32 s72, exec_lo, s73
	s_cbranch_execz .LBB6_2724
; %bb.652:                              ;   in Loop: Header=BB6_356 Depth=4
	v_cmp_eq_u16_sdwa s74, v38, v62 src0_sel:BYTE_0 src1_sel:DWORD
	s_mov_b32 s16, -1
	s_and_saveexec_b32 s73, s74
; %bb.653:                              ;   in Loop: Header=BB6_356 Depth=4
	s_xor_b32 s16, exec_lo, -1
; %bb.654:                              ;   in Loop: Header=BB6_356 Depth=4
	s_or_b32 exec_lo, exec_lo, s73
	s_and_b32 s16, s16, exec_lo
	s_or_saveexec_b32 s72, s72
	v_mov_b32_e32 v4, 0x7f800001
	s_xor_b32 exec_lo, exec_lo, s72
	s_cbranch_execnz .LBB6_2725
.LBB6_655:                              ;   in Loop: Header=BB6_356 Depth=4
	s_or_b32 exec_lo, exec_lo, s72
	s_and_saveexec_b32 s72, s16
	s_cbranch_execz .LBB6_657
.LBB6_656:                              ;   in Loop: Header=BB6_356 Depth=4
	v_and_b32_e32 v4, 7, v38
	v_bfe_u32 v29, v38, 3, 4
	v_lshlrev_b32_e32 v30, 24, v38
	v_ffbh_u32_e32 v5, v4
	v_cmp_eq_u32_e32 vcc_lo, 0, v29
	v_min_u32_e32 v5, 32, v5
	v_subrev_nc_u32_e32 v28, 28, v5
	v_sub_nc_u32_e32 v5, 29, v5
	v_lshlrev_b32_e32 v28, v28, v38
	v_cndmask_b32_e32 v5, v29, v5, vcc_lo
	v_and_b32_e32 v28, 7, v28
	v_lshl_add_u32 v5, v5, 23, 0x3b800000
	v_cndmask_b32_e32 v4, v4, v28, vcc_lo
	v_and_b32_e32 v28, 0x80000000, v30
	v_lshlrev_b32_e32 v4, 20, v4
	v_or3_b32 v4, v28, v5, v4
.LBB6_657:                              ;   in Loop: Header=BB6_356 Depth=4
	s_or_b32 exec_lo, exec_lo, s72
	v_max_f32_e32 v4, v4, v4
	v_max_f32_e32 v1, v1, v1
	s_mov_b32 s16, 0
	v_max_f32_e32 v1, v1, v4
.LBB6_658:                              ;   in Loop: Header=BB6_356 Depth=4
	s_and_b32 vcc_lo, exec_lo, s16
	s_cbranch_vccz .LBB6_672
; %bb.659:                              ;   in Loop: Header=BB6_356 Depth=4
	v_cmp_gt_i16_sdwa s72, v50, v61 src0_sel:BYTE_0 src1_sel:DWORD
	s_mov_b32 s16, 0
	s_and_saveexec_b32 s73, s72
	s_xor_b32 s72, exec_lo, s73
	s_cbranch_execz .LBB6_2726
; %bb.660:                              ;   in Loop: Header=BB6_356 Depth=4
	v_cmp_eq_u16_sdwa s74, v50, v62 src0_sel:BYTE_0 src1_sel:DWORD
	s_mov_b32 s16, -1
	s_and_saveexec_b32 s73, s74
; %bb.661:                              ;   in Loop: Header=BB6_356 Depth=4
	s_xor_b32 s16, exec_lo, -1
; %bb.662:                              ;   in Loop: Header=BB6_356 Depth=4
	s_or_b32 exec_lo, exec_lo, s73
	s_and_b32 s16, s16, exec_lo
	s_or_saveexec_b32 s72, s72
	v_mov_b32_e32 v1, 0x7f800001
	s_xor_b32 exec_lo, exec_lo, s72
	s_cbranch_execnz .LBB6_2727
.LBB6_663:                              ;   in Loop: Header=BB6_356 Depth=4
	s_or_b32 exec_lo, exec_lo, s72
	s_and_saveexec_b32 s72, s16
	s_cbranch_execz .LBB6_665
.LBB6_664:                              ;   in Loop: Header=BB6_356 Depth=4
	v_and_b32_e32 v1, 7, v50
	v_bfe_u32 v28, v50, 3, 4
	v_lshlrev_b32_e32 v29, 24, v50
	v_ffbh_u32_e32 v4, v1
	v_cmp_eq_u32_e32 vcc_lo, 0, v28
	v_min_u32_e32 v4, 32, v4
	v_subrev_nc_u32_e32 v5, 28, v4
	v_sub_nc_u32_e32 v4, 29, v4
	v_lshlrev_b32_e32 v5, v5, v50
	v_cndmask_b32_e32 v4, v28, v4, vcc_lo
	v_and_b32_e32 v5, 7, v5
	v_lshl_add_u32 v4, v4, 23, 0x3b800000
	v_cndmask_b32_e32 v1, v1, v5, vcc_lo
	v_and_b32_e32 v5, 0x80000000, v29
	v_lshlrev_b32_e32 v1, 20, v1
	v_or3_b32 v1, v5, v4, v1
.LBB6_665:                              ;   in Loop: Header=BB6_356 Depth=4
	s_or_b32 exec_lo, exec_lo, s72
	v_cmp_gt_i16_sdwa s72, v38, v61 src0_sel:BYTE_0 src1_sel:DWORD
	s_mov_b32 s16, 0
	s_and_saveexec_b32 s73, s72
	s_xor_b32 s72, exec_lo, s73
	s_cbranch_execz .LBB6_2728
; %bb.666:                              ;   in Loop: Header=BB6_356 Depth=4
	v_cmp_eq_u16_sdwa s74, v38, v62 src0_sel:BYTE_0 src1_sel:DWORD
	s_mov_b32 s16, -1
	s_and_saveexec_b32 s73, s74
; %bb.667:                              ;   in Loop: Header=BB6_356 Depth=4
	s_xor_b32 s16, exec_lo, -1
; %bb.668:                              ;   in Loop: Header=BB6_356 Depth=4
	s_or_b32 exec_lo, exec_lo, s73
	s_and_b32 s16, s16, exec_lo
	s_or_saveexec_b32 s72, s72
	v_mov_b32_e32 v4, 0x7f800001
	s_xor_b32 exec_lo, exec_lo, s72
	s_cbranch_execnz .LBB6_2729
.LBB6_669:                              ;   in Loop: Header=BB6_356 Depth=4
	s_or_b32 exec_lo, exec_lo, s72
	s_and_saveexec_b32 s72, s16
	s_cbranch_execz .LBB6_671
.LBB6_670:                              ;   in Loop: Header=BB6_356 Depth=4
	v_and_b32_e32 v4, 7, v38
	v_bfe_u32 v29, v38, 3, 4
	v_lshlrev_b32_e32 v30, 24, v38
	v_ffbh_u32_e32 v5, v4
	v_cmp_eq_u32_e32 vcc_lo, 0, v29
	v_min_u32_e32 v5, 32, v5
	v_subrev_nc_u32_e32 v28, 28, v5
	v_sub_nc_u32_e32 v5, 29, v5
	v_lshlrev_b32_e32 v28, v28, v38
	v_cndmask_b32_e32 v5, v29, v5, vcc_lo
	v_and_b32_e32 v28, 7, v28
	v_lshl_add_u32 v5, v5, 23, 0x3b800000
	v_cndmask_b32_e32 v4, v4, v28, vcc_lo
	v_and_b32_e32 v28, 0x80000000, v30
	v_lshlrev_b32_e32 v4, 20, v4
	v_or3_b32 v4, v28, v5, v4
.LBB6_671:                              ;   in Loop: Header=BB6_356 Depth=4
	s_or_b32 exec_lo, exec_lo, s72
	v_max_f32_e32 v4, v4, v4
	v_max_f32_e32 v1, v1, v1
	v_min_f32_e32 v1, v1, v4
.LBB6_672:                              ;   in Loop: Header=BB6_356 Depth=4
	v_and_b32_e32 v4, 0x7f800000, v1
	v_mov_b32_e32 v49, 0x80
	s_mov_b32 s72, exec_lo
	v_cmpx_ne_u32_e32 0x7f800000, v4
	s_cbranch_execz .LBB6_680
; %bb.673:                              ;   in Loop: Header=BB6_356 Depth=4
	v_mov_b32_e32 v49, 0
	s_mov_b32 s73, exec_lo
	v_cmpx_ne_u32_e32 0, v1
	s_cbranch_execz .LBB6_679
; %bb.674:                              ;   in Loop: Header=BB6_356 Depth=4
	v_bfe_u32 v5, v1, 23, 8
	v_and_b32_e32 v4, 0x7fffff, v1
	v_cmp_gt_u32_e64 s16, 0x79, v5
	v_sub_nc_u32_e32 v28, 0x78, v5
	v_cmp_eq_u32_e32 vcc_lo, 0, v5
	v_or_b32_e32 v29, 0x800000, v4
	v_cndmask_b32_e64 v28, 0, v28, s16
	v_cndmask_b32_e32 v4, v29, v4, vcc_lo
	v_cndmask_b32_e64 v28, v28, 0x77, vcc_lo
	v_lshl_add_u32 v29, 0x100000, v28, -1
	v_lshlrev_b32_e64 v30, v28, 0x80000
	v_and_b32_e32 v29, v29, v4
	v_cmp_eq_u32_e64 s16, v29, v30
	v_lshrrev_b32_e32 v29, v28, v4
	v_add_nc_u32_e32 v4, 0xffffff89, v5
	v_lshrrev_b32_e32 v5, 23, v29
	v_cndmask_b32_e64 v4, v4, 0xffffff8a, vcc_lo
	v_xor_b32_e32 v5, 1, v5
	v_add_nc_u32_e32 v4, v28, v4
	v_bfe_u32 v28, v29, 20, 1
	v_add_nc_u32_e32 v28, -1, v28
	v_cndmask_b32_e64 v28, 0, v28, s16
	s_mov_b32 s16, exec_lo
	v_add_nc_u32_e32 v28, v28, v29
	v_and_b32_e32 v28, 0xfffff, v28
	v_add_nc_u32_e32 v29, v28, v29
                                        ; implicit-def: $vgpr28
	v_cmpx_ne_u32_e64 v4, v5
	s_xor_b32 s16, exec_lo, s16
; %bb.675:                              ;   in Loop: Header=BB6_356 Depth=4
	v_cmp_lt_u32_e32 vcc_lo, 0xffffff, v29
	v_sub_nc_u32_e32 v4, v4, v5
	v_cndmask_b32_e64 v5, 0, 1, vcc_lo
	v_add_co_ci_u32_e64 v28, null, 0, v4, vcc_lo
	v_lshrrev_b32_e32 v29, v5, v29
; %bb.676:                              ;   in Loop: Header=BB6_356 Depth=4
	s_andn2_saveexec_b32 s16, s16
; %bb.677:                              ;   in Loop: Header=BB6_356 Depth=4
	v_bfe_u32 v28, v29, 23, 1
; %bb.678:                              ;   in Loop: Header=BB6_356 Depth=4
	s_or_b32 exec_lo, exec_lo, s16
	v_lshrrev_b32_e32 v4, 20, v29
	v_min_i32_e32 v5, 15, v28
	v_cmp_gt_i32_e32 vcc_lo, 16, v28
	v_and_b32_sdwa v1, v1, v62 dst_sel:DWORD dst_unused:UNUSED_PAD src0_sel:BYTE_3 src1_sel:DWORD
	v_lshlrev_b32_e32 v5, 3, v5
	v_cndmask_b32_e32 v4, 7, v4, vcc_lo
	v_and_b32_e32 v5, 0xf8, v5
	v_and_b32_e32 v29, 7, v4
	v_or_b32_e32 v4, v28, v4
	v_or3_b32 v1, v5, v1, v29
	v_cmp_ne_u32_e32 vcc_lo, 0, v4
	v_cndmask_b32_e32 v49, 0, v1, vcc_lo
.LBB6_679:                              ;   in Loop: Header=BB6_356 Depth=4
	s_or_b32 exec_lo, exec_lo, s73
.LBB6_680:                              ;   in Loop: Header=BB6_356 Depth=4
	s_or_b32 exec_lo, exec_lo, s72
	v_cmp_gt_i16_sdwa s72, v50, v61 src0_sel:BYTE_1 src1_sel:DWORD
	s_and_b32 vcc_lo, exec_lo, s63
	s_mov_b32 s16, -1
                                        ; implicit-def: $vgpr1
	s_cbranch_vccz .LBB6_694
; %bb.681:                              ;   in Loop: Header=BB6_356 Depth=4
	s_mov_b32 s16, 0
	s_and_saveexec_b32 s73, s72
	s_xor_b32 s72, exec_lo, s73
	s_cbranch_execz .LBB6_2730
; %bb.682:                              ;   in Loop: Header=BB6_356 Depth=4
	v_cmp_eq_u16_sdwa s74, v50, v62 src0_sel:BYTE_1 src1_sel:DWORD
	s_mov_b32 s16, -1
	s_and_saveexec_b32 s73, s74
; %bb.683:                              ;   in Loop: Header=BB6_356 Depth=4
	s_xor_b32 s16, exec_lo, -1
; %bb.684:                              ;   in Loop: Header=BB6_356 Depth=4
	s_or_b32 exec_lo, exec_lo, s73
	s_and_b32 s16, s16, exec_lo
	s_or_saveexec_b32 s72, s72
	v_mov_b32_e32 v1, 0x7f800001
	s_xor_b32 exec_lo, exec_lo, s72
	s_cbranch_execnz .LBB6_2731
.LBB6_685:                              ;   in Loop: Header=BB6_356 Depth=4
	s_or_b32 exec_lo, exec_lo, s72
	s_and_saveexec_b32 s72, s16
	s_cbranch_execz .LBB6_687
.LBB6_686:                              ;   in Loop: Header=BB6_356 Depth=4
	v_and_b32_sdwa v1, v63, v50 dst_sel:DWORD dst_unused:UNUSED_PAD src0_sel:DWORD src1_sel:BYTE_1
	v_and_b32_e32 v4, 7, v1
	v_bfe_u32 v29, v1, 3, 4
	v_ffbh_u32_e32 v5, v4
	v_cmp_eq_u32_e32 vcc_lo, 0, v29
	v_min_u32_e32 v5, 32, v5
	v_subrev_nc_u32_e32 v28, 28, v5
	v_sub_nc_u32_e32 v5, 29, v5
	v_lshlrev_b32_e32 v1, v28, v1
	v_lshlrev_b32_e32 v28, 16, v50
	v_cndmask_b32_e32 v5, v29, v5, vcc_lo
	v_and_b32_e32 v1, 7, v1
	v_lshl_add_u32 v5, v5, 23, 0x3b800000
	v_cndmask_b32_e32 v1, v4, v1, vcc_lo
	v_and_b32_e32 v4, 0x80000000, v28
	v_lshlrev_b32_e32 v1, 20, v1
	v_or3_b32 v1, v4, v5, v1
.LBB6_687:                              ;   in Loop: Header=BB6_356 Depth=4
	s_or_b32 exec_lo, exec_lo, s72
	v_cmp_gt_i16_sdwa s16, v38, v61 src0_sel:BYTE_1 src1_sel:DWORD
	s_mov_b32 s72, 0
	s_and_saveexec_b32 s73, s16
	s_xor_b32 s16, exec_lo, s73
	s_cbranch_execz .LBB6_2732
; %bb.688:                              ;   in Loop: Header=BB6_356 Depth=4
	v_cmp_eq_u16_sdwa s74, v38, v62 src0_sel:BYTE_1 src1_sel:DWORD
	s_mov_b32 s72, -1
	s_and_saveexec_b32 s73, s74
; %bb.689:                              ;   in Loop: Header=BB6_356 Depth=4
	s_xor_b32 s72, exec_lo, -1
; %bb.690:                              ;   in Loop: Header=BB6_356 Depth=4
	s_or_b32 exec_lo, exec_lo, s73
	s_and_b32 s72, s72, exec_lo
	s_or_saveexec_b32 s16, s16
	v_mov_b32_e32 v4, 0x7f800001
	s_xor_b32 exec_lo, exec_lo, s16
	s_cbranch_execnz .LBB6_2733
.LBB6_691:                              ;   in Loop: Header=BB6_356 Depth=4
	s_or_b32 exec_lo, exec_lo, s16
	s_and_saveexec_b32 s16, s72
	s_cbranch_execz .LBB6_693
.LBB6_692:                              ;   in Loop: Header=BB6_356 Depth=4
	v_and_b32_sdwa v4, v63, v38 dst_sel:DWORD dst_unused:UNUSED_PAD src0_sel:DWORD src1_sel:BYTE_1
	v_and_b32_e32 v5, 7, v4
	v_bfe_u32 v30, v4, 3, 4
	v_ffbh_u32_e32 v28, v5
	v_cmp_eq_u32_e32 vcc_lo, 0, v30
	v_min_u32_e32 v28, 32, v28
	v_subrev_nc_u32_e32 v29, 28, v28
	v_sub_nc_u32_e32 v28, 29, v28
	v_lshlrev_b32_e32 v4, v29, v4
	v_lshlrev_b32_e32 v29, 16, v38
	v_cndmask_b32_e32 v28, v30, v28, vcc_lo
	v_and_b32_e32 v4, 7, v4
	v_lshl_add_u32 v28, v28, 23, 0x3b800000
	v_cndmask_b32_e32 v4, v5, v4, vcc_lo
	v_and_b32_e32 v5, 0x80000000, v29
	v_lshlrev_b32_e32 v4, 20, v4
	v_or3_b32 v4, v5, v28, v4
.LBB6_693:                              ;   in Loop: Header=BB6_356 Depth=4
	s_or_b32 exec_lo, exec_lo, s16
	v_max_f32_e32 v4, v4, v4
	v_max_f32_e32 v1, v1, v1
	s_mov_b32 s16, 0
	v_max_f32_e32 v1, v1, v4
.LBB6_694:                              ;   in Loop: Header=BB6_356 Depth=4
	s_and_b32 vcc_lo, exec_lo, s16
	s_cbranch_vccz .LBB6_708
; %bb.695:                              ;   in Loop: Header=BB6_356 Depth=4
	v_cmp_gt_i16_sdwa s72, v50, v61 src0_sel:BYTE_1 src1_sel:DWORD
	s_mov_b32 s16, 0
	s_and_saveexec_b32 s73, s72
	s_xor_b32 s72, exec_lo, s73
	s_cbranch_execz .LBB6_2734
; %bb.696:                              ;   in Loop: Header=BB6_356 Depth=4
	v_cmp_eq_u16_sdwa s74, v50, v62 src0_sel:BYTE_1 src1_sel:DWORD
	s_mov_b32 s16, -1
	s_and_saveexec_b32 s73, s74
; %bb.697:                              ;   in Loop: Header=BB6_356 Depth=4
	s_xor_b32 s16, exec_lo, -1
; %bb.698:                              ;   in Loop: Header=BB6_356 Depth=4
	s_or_b32 exec_lo, exec_lo, s73
	s_and_b32 s16, s16, exec_lo
	s_or_saveexec_b32 s72, s72
	v_mov_b32_e32 v1, 0x7f800001
	s_xor_b32 exec_lo, exec_lo, s72
	s_cbranch_execnz .LBB6_2735
.LBB6_699:                              ;   in Loop: Header=BB6_356 Depth=4
	s_or_b32 exec_lo, exec_lo, s72
	s_and_saveexec_b32 s72, s16
	s_cbranch_execz .LBB6_701
.LBB6_700:                              ;   in Loop: Header=BB6_356 Depth=4
	v_and_b32_sdwa v1, v63, v50 dst_sel:DWORD dst_unused:UNUSED_PAD src0_sel:DWORD src1_sel:BYTE_1
	v_and_b32_e32 v4, 7, v1
	v_bfe_u32 v29, v1, 3, 4
	v_ffbh_u32_e32 v5, v4
	v_cmp_eq_u32_e32 vcc_lo, 0, v29
	v_min_u32_e32 v5, 32, v5
	v_subrev_nc_u32_e32 v28, 28, v5
	v_sub_nc_u32_e32 v5, 29, v5
	v_lshlrev_b32_e32 v1, v28, v1
	v_lshlrev_b32_e32 v28, 16, v50
	v_cndmask_b32_e32 v5, v29, v5, vcc_lo
	v_and_b32_e32 v1, 7, v1
	v_lshl_add_u32 v5, v5, 23, 0x3b800000
	v_cndmask_b32_e32 v1, v4, v1, vcc_lo
	v_and_b32_e32 v4, 0x80000000, v28
	v_lshlrev_b32_e32 v1, 20, v1
	v_or3_b32 v1, v4, v5, v1
.LBB6_701:                              ;   in Loop: Header=BB6_356 Depth=4
	s_or_b32 exec_lo, exec_lo, s72
	v_cmp_gt_i16_sdwa s16, v38, v61 src0_sel:BYTE_1 src1_sel:DWORD
	s_mov_b32 s72, 0
	s_and_saveexec_b32 s73, s16
	s_xor_b32 s16, exec_lo, s73
	s_cbranch_execz .LBB6_2736
; %bb.702:                              ;   in Loop: Header=BB6_356 Depth=4
	v_cmp_eq_u16_sdwa s74, v38, v62 src0_sel:BYTE_1 src1_sel:DWORD
	s_mov_b32 s72, -1
	s_and_saveexec_b32 s73, s74
; %bb.703:                              ;   in Loop: Header=BB6_356 Depth=4
	s_xor_b32 s72, exec_lo, -1
; %bb.704:                              ;   in Loop: Header=BB6_356 Depth=4
	s_or_b32 exec_lo, exec_lo, s73
	s_and_b32 s72, s72, exec_lo
	s_or_saveexec_b32 s16, s16
	v_mov_b32_e32 v4, 0x7f800001
	s_xor_b32 exec_lo, exec_lo, s16
	s_cbranch_execnz .LBB6_2737
.LBB6_705:                              ;   in Loop: Header=BB6_356 Depth=4
	s_or_b32 exec_lo, exec_lo, s16
	s_and_saveexec_b32 s16, s72
	s_cbranch_execz .LBB6_707
.LBB6_706:                              ;   in Loop: Header=BB6_356 Depth=4
	v_and_b32_sdwa v4, v63, v38 dst_sel:DWORD dst_unused:UNUSED_PAD src0_sel:DWORD src1_sel:BYTE_1
	v_and_b32_e32 v5, 7, v4
	v_bfe_u32 v30, v4, 3, 4
	v_ffbh_u32_e32 v28, v5
	v_cmp_eq_u32_e32 vcc_lo, 0, v30
	v_min_u32_e32 v28, 32, v28
	v_subrev_nc_u32_e32 v29, 28, v28
	v_sub_nc_u32_e32 v28, 29, v28
	v_lshlrev_b32_e32 v4, v29, v4
	v_lshlrev_b32_e32 v29, 16, v38
	v_cndmask_b32_e32 v28, v30, v28, vcc_lo
	v_and_b32_e32 v4, 7, v4
	v_lshl_add_u32 v28, v28, 23, 0x3b800000
	v_cndmask_b32_e32 v4, v5, v4, vcc_lo
	v_and_b32_e32 v5, 0x80000000, v29
	v_lshlrev_b32_e32 v4, 20, v4
	v_or3_b32 v4, v5, v28, v4
.LBB6_707:                              ;   in Loop: Header=BB6_356 Depth=4
	s_or_b32 exec_lo, exec_lo, s16
	v_max_f32_e32 v4, v4, v4
	v_max_f32_e32 v1, v1, v1
	v_min_f32_e32 v1, v1, v4
.LBB6_708:                              ;   in Loop: Header=BB6_356 Depth=4
	v_and_b32_e32 v4, 0x7f800000, v1
	v_mov_b32_e32 v121, 0x8000
	s_mov_b32 s72, exec_lo
	v_cmpx_ne_u32_e32 0x7f800000, v4
	s_cbranch_execz .LBB6_716
; %bb.709:                              ;   in Loop: Header=BB6_356 Depth=4
	v_mov_b32_e32 v121, 0
	s_mov_b32 s73, exec_lo
	v_cmpx_ne_u32_e32 0, v1
	s_cbranch_execz .LBB6_715
; %bb.710:                              ;   in Loop: Header=BB6_356 Depth=4
	v_bfe_u32 v5, v1, 23, 8
	v_and_b32_e32 v4, 0x7fffff, v1
	v_cmp_gt_u32_e64 s16, 0x79, v5
	v_sub_nc_u32_e32 v28, 0x78, v5
	v_cmp_eq_u32_e32 vcc_lo, 0, v5
	v_or_b32_e32 v29, 0x800000, v4
	v_cndmask_b32_e64 v28, 0, v28, s16
	v_cndmask_b32_e32 v4, v29, v4, vcc_lo
	v_cndmask_b32_e64 v28, v28, 0x77, vcc_lo
	v_lshl_add_u32 v29, 0x100000, v28, -1
	v_lshlrev_b32_e64 v30, v28, 0x80000
	v_and_b32_e32 v29, v29, v4
	v_cmp_eq_u32_e64 s16, v29, v30
	v_lshrrev_b32_e32 v29, v28, v4
	v_add_nc_u32_e32 v4, 0xffffff89, v5
	v_lshrrev_b32_e32 v5, 23, v29
	v_cndmask_b32_e64 v4, v4, 0xffffff8a, vcc_lo
	v_xor_b32_e32 v5, 1, v5
	v_add_nc_u32_e32 v4, v28, v4
	v_bfe_u32 v28, v29, 20, 1
	v_add_nc_u32_e32 v28, -1, v28
	v_cndmask_b32_e64 v28, 0, v28, s16
	s_mov_b32 s16, exec_lo
	v_add_nc_u32_e32 v28, v28, v29
	v_and_b32_e32 v28, 0xfffff, v28
	v_add_nc_u32_e32 v29, v28, v29
                                        ; implicit-def: $vgpr28
	v_cmpx_ne_u32_e64 v4, v5
	s_xor_b32 s16, exec_lo, s16
; %bb.711:                              ;   in Loop: Header=BB6_356 Depth=4
	v_cmp_lt_u32_e32 vcc_lo, 0xffffff, v29
	v_sub_nc_u32_e32 v4, v4, v5
	v_cndmask_b32_e64 v5, 0, 1, vcc_lo
	v_add_co_ci_u32_e64 v28, null, 0, v4, vcc_lo
	v_lshrrev_b32_e32 v29, v5, v29
; %bb.712:                              ;   in Loop: Header=BB6_356 Depth=4
	s_andn2_saveexec_b32 s16, s16
; %bb.713:                              ;   in Loop: Header=BB6_356 Depth=4
	v_bfe_u32 v28, v29, 23, 1
; %bb.714:                              ;   in Loop: Header=BB6_356 Depth=4
	s_or_b32 exec_lo, exec_lo, s16
	v_lshrrev_b32_e32 v4, 20, v29
	v_min_i32_e32 v5, 15, v28
	v_cmp_gt_i32_e32 vcc_lo, 16, v28
	v_and_b32_sdwa v1, v1, v62 dst_sel:DWORD dst_unused:UNUSED_PAD src0_sel:BYTE_3 src1_sel:DWORD
	v_lshlrev_b32_e32 v5, 3, v5
	v_cndmask_b32_e32 v4, 7, v4, vcc_lo
	v_and_b32_e32 v5, 0xf8, v5
	v_and_b32_e32 v29, 7, v4
	v_or_b32_e32 v4, v28, v4
	v_or3_b32 v1, v1, v5, v29
	v_cmp_ne_u32_e32 vcc_lo, 0, v4
	v_lshlrev_b32_e32 v1, 8, v1
	v_cndmask_b32_e32 v121, 0, v1, vcc_lo
.LBB6_715:                              ;   in Loop: Header=BB6_356 Depth=4
	s_or_b32 exec_lo, exec_lo, s73
.LBB6_716:                              ;   in Loop: Header=BB6_356 Depth=4
	s_or_b32 exec_lo, exec_lo, s72
	v_and_b32_sdwa v1, v50, v72 dst_sel:DWORD dst_unused:UNUSED_PAD src0_sel:WORD_1 src1_sel:DWORD
	s_and_b32 vcc_lo, exec_lo, s63
	s_mov_b32 s72, -1
                                        ; implicit-def: $vgpr4
	v_cmp_lt_i16_e64 s16, 0x7f, v1
	s_cbranch_vccz .LBB6_730
; %bb.717:                              ;   in Loop: Header=BB6_356 Depth=4
	s_mov_b32 s72, 0
	s_and_saveexec_b32 s73, s16
	s_xor_b32 s16, exec_lo, s73
	s_cbranch_execz .LBB6_2738
; %bb.718:                              ;   in Loop: Header=BB6_356 Depth=4
	s_mov_b32 s72, -1
	s_mov_b32 s73, exec_lo
	v_cmpx_eq_u16_e32 0x80, v1
; %bb.719:                              ;   in Loop: Header=BB6_356 Depth=4
	s_xor_b32 s72, exec_lo, -1
; %bb.720:                              ;   in Loop: Header=BB6_356 Depth=4
	s_or_b32 exec_lo, exec_lo, s73
	s_and_b32 s72, s72, exec_lo
	s_or_saveexec_b32 s16, s16
	v_mov_b32_e32 v4, 0x7f800001
	s_xor_b32 exec_lo, exec_lo, s16
	s_cbranch_execnz .LBB6_2739
.LBB6_721:                              ;   in Loop: Header=BB6_356 Depth=4
	s_or_b32 exec_lo, exec_lo, s16
	s_and_saveexec_b32 s16, s72
	s_cbranch_execz .LBB6_723
.LBB6_722:                              ;   in Loop: Header=BB6_356 Depth=4
	v_bfe_u32 v4, v50, 16, 3
	v_bfe_u32 v5, v50, 19, 4
	v_ffbh_u32_e32 v28, v4
	v_cmp_eq_u32_e32 vcc_lo, 0, v5
	v_min_u32_e32 v28, 32, v28
	v_subrev_nc_u32_e32 v29, 28, v28
	v_sub_nc_u32_e32 v28, 29, v28
	v_lshlrev_b32_sdwa v29, v29, v50 dst_sel:DWORD dst_unused:UNUSED_PAD src0_sel:DWORD src1_sel:WORD_1
	v_cndmask_b32_e32 v5, v5, v28, vcc_lo
	v_lshlrev_b32_sdwa v28, v73, v50 dst_sel:DWORD dst_unused:UNUSED_PAD src0_sel:DWORD src1_sel:WORD_1
	v_and_b32_e32 v29, 7, v29
	v_lshl_add_u32 v5, v5, 23, 0x3b800000
	v_and_b32_e32 v28, 0x80000000, v28
	v_cndmask_b32_e32 v4, v4, v29, vcc_lo
	v_lshlrev_b32_e32 v4, 20, v4
	v_or3_b32 v4, v28, v5, v4
.LBB6_723:                              ;   in Loop: Header=BB6_356 Depth=4
	s_or_b32 exec_lo, exec_lo, s16
	v_and_b32_sdwa v28, v38, v72 dst_sel:DWORD dst_unused:UNUSED_PAD src0_sel:WORD_1 src1_sel:DWORD
	s_mov_b32 s72, 0
	s_mov_b32 s16, exec_lo
	v_cmpx_lt_i16_e32 0x7f, v28
	s_xor_b32 s16, exec_lo, s16
	s_cbranch_execz .LBB6_2740
; %bb.724:                              ;   in Loop: Header=BB6_356 Depth=4
	s_mov_b32 s72, -1
	s_mov_b32 s73, exec_lo
	v_cmpx_eq_u16_e32 0x80, v28
; %bb.725:                              ;   in Loop: Header=BB6_356 Depth=4
	s_xor_b32 s72, exec_lo, -1
; %bb.726:                              ;   in Loop: Header=BB6_356 Depth=4
	s_or_b32 exec_lo, exec_lo, s73
	s_and_b32 s72, s72, exec_lo
                                        ; implicit-def: $vgpr28
	s_or_saveexec_b32 s16, s16
	v_mov_b32_e32 v5, 0x7f800001
	s_xor_b32 exec_lo, exec_lo, s16
	s_cbranch_execnz .LBB6_2741
.LBB6_727:                              ;   in Loop: Header=BB6_356 Depth=4
	s_or_b32 exec_lo, exec_lo, s16
	s_and_saveexec_b32 s16, s72
	s_cbranch_execz .LBB6_729
.LBB6_728:                              ;   in Loop: Header=BB6_356 Depth=4
	v_bfe_u32 v5, v38, 16, 3
	v_bfe_u32 v28, v38, 19, 4
	v_ffbh_u32_e32 v29, v5
	v_cmp_eq_u32_e32 vcc_lo, 0, v28
	v_min_u32_e32 v29, 32, v29
	v_subrev_nc_u32_e32 v30, 28, v29
	v_sub_nc_u32_e32 v29, 29, v29
	v_lshlrev_b32_sdwa v30, v30, v38 dst_sel:DWORD dst_unused:UNUSED_PAD src0_sel:DWORD src1_sel:WORD_1
	v_cndmask_b32_e32 v28, v28, v29, vcc_lo
	v_lshlrev_b32_sdwa v29, v73, v38 dst_sel:DWORD dst_unused:UNUSED_PAD src0_sel:DWORD src1_sel:WORD_1
	v_and_b32_e32 v30, 7, v30
	v_lshl_add_u32 v28, v28, 23, 0x3b800000
	v_and_b32_e32 v29, 0x80000000, v29
	v_cndmask_b32_e32 v5, v5, v30, vcc_lo
	v_lshlrev_b32_e32 v5, 20, v5
	v_or3_b32 v5, v29, v28, v5
.LBB6_729:                              ;   in Loop: Header=BB6_356 Depth=4
	s_or_b32 exec_lo, exec_lo, s16
	v_max_f32_e32 v5, v5, v5
	v_max_f32_e32 v4, v4, v4
	s_mov_b32 s72, 0
	v_max_f32_e32 v4, v4, v5
.LBB6_730:                              ;   in Loop: Header=BB6_356 Depth=4
	s_and_b32 vcc_lo, exec_lo, s72
	s_cbranch_vccz .LBB6_744
; %bb.731:                              ;   in Loop: Header=BB6_356 Depth=4
	s_mov_b32 s72, 0
	s_mov_b32 s16, exec_lo
	v_cmpx_lt_i16_e32 0x7f, v1
	s_xor_b32 s16, exec_lo, s16
	s_cbranch_execz .LBB6_2742
; %bb.732:                              ;   in Loop: Header=BB6_356 Depth=4
	s_mov_b32 s72, -1
	s_mov_b32 s73, exec_lo
	v_cmpx_eq_u16_e32 0x80, v1
; %bb.733:                              ;   in Loop: Header=BB6_356 Depth=4
	s_xor_b32 s72, exec_lo, -1
; %bb.734:                              ;   in Loop: Header=BB6_356 Depth=4
	s_or_b32 exec_lo, exec_lo, s73
	s_and_b32 s72, s72, exec_lo
                                        ; implicit-def: $vgpr1
	s_or_saveexec_b32 s16, s16
	v_mov_b32_e32 v4, 0x7f800001
	s_xor_b32 exec_lo, exec_lo, s16
	s_cbranch_execnz .LBB6_2743
.LBB6_735:                              ;   in Loop: Header=BB6_356 Depth=4
	s_or_b32 exec_lo, exec_lo, s16
	s_and_saveexec_b32 s16, s72
	s_cbranch_execz .LBB6_737
.LBB6_736:                              ;   in Loop: Header=BB6_356 Depth=4
	v_bfe_u32 v1, v50, 16, 3
	v_bfe_u32 v4, v50, 19, 4
	v_ffbh_u32_e32 v5, v1
	v_cmp_eq_u32_e32 vcc_lo, 0, v4
	v_min_u32_e32 v5, 32, v5
	v_subrev_nc_u32_e32 v28, 28, v5
	v_sub_nc_u32_e32 v5, 29, v5
	v_lshlrev_b32_sdwa v28, v28, v50 dst_sel:DWORD dst_unused:UNUSED_PAD src0_sel:DWORD src1_sel:WORD_1
	v_cndmask_b32_e32 v4, v4, v5, vcc_lo
	v_lshlrev_b32_sdwa v5, v73, v50 dst_sel:DWORD dst_unused:UNUSED_PAD src0_sel:DWORD src1_sel:WORD_1
	v_and_b32_e32 v28, 7, v28
	v_lshl_add_u32 v4, v4, 23, 0x3b800000
	v_and_b32_e32 v5, 0x80000000, v5
	v_cndmask_b32_e32 v1, v1, v28, vcc_lo
	v_lshlrev_b32_e32 v1, 20, v1
	v_or3_b32 v4, v5, v4, v1
.LBB6_737:                              ;   in Loop: Header=BB6_356 Depth=4
	s_or_b32 exec_lo, exec_lo, s16
	v_and_b32_sdwa v5, v38, v72 dst_sel:DWORD dst_unused:UNUSED_PAD src0_sel:WORD_1 src1_sel:DWORD
	s_mov_b32 s72, 0
	s_mov_b32 s16, exec_lo
	v_cmpx_lt_i16_e32 0x7f, v5
	s_xor_b32 s16, exec_lo, s16
	s_cbranch_execz .LBB6_2744
; %bb.738:                              ;   in Loop: Header=BB6_356 Depth=4
	s_mov_b32 s72, -1
	s_mov_b32 s73, exec_lo
	v_cmpx_eq_u16_e32 0x80, v5
; %bb.739:                              ;   in Loop: Header=BB6_356 Depth=4
	s_xor_b32 s72, exec_lo, -1
; %bb.740:                              ;   in Loop: Header=BB6_356 Depth=4
	s_or_b32 exec_lo, exec_lo, s73
	s_and_b32 s72, s72, exec_lo
                                        ; implicit-def: $vgpr5
	s_or_saveexec_b32 s16, s16
	v_mov_b32_e32 v1, 0x7f800001
	s_xor_b32 exec_lo, exec_lo, s16
	s_cbranch_execnz .LBB6_2745
.LBB6_741:                              ;   in Loop: Header=BB6_356 Depth=4
	s_or_b32 exec_lo, exec_lo, s16
	s_and_saveexec_b32 s16, s72
	s_cbranch_execz .LBB6_743
.LBB6_742:                              ;   in Loop: Header=BB6_356 Depth=4
	v_bfe_u32 v1, v38, 16, 3
	v_bfe_u32 v5, v38, 19, 4
	v_ffbh_u32_e32 v28, v1
	v_cmp_eq_u32_e32 vcc_lo, 0, v5
	v_min_u32_e32 v28, 32, v28
	v_subrev_nc_u32_e32 v29, 28, v28
	v_sub_nc_u32_e32 v28, 29, v28
	v_lshlrev_b32_sdwa v29, v29, v38 dst_sel:DWORD dst_unused:UNUSED_PAD src0_sel:DWORD src1_sel:WORD_1
	v_cndmask_b32_e32 v5, v5, v28, vcc_lo
	v_lshlrev_b32_sdwa v28, v73, v38 dst_sel:DWORD dst_unused:UNUSED_PAD src0_sel:DWORD src1_sel:WORD_1
	v_and_b32_e32 v29, 7, v29
	v_lshl_add_u32 v5, v5, 23, 0x3b800000
	v_and_b32_e32 v28, 0x80000000, v28
	v_cndmask_b32_e32 v1, v1, v29, vcc_lo
	v_lshlrev_b32_e32 v1, 20, v1
	v_or3_b32 v1, v28, v5, v1
.LBB6_743:                              ;   in Loop: Header=BB6_356 Depth=4
	s_or_b32 exec_lo, exec_lo, s16
	v_max_f32_e32 v1, v1, v1
	v_max_f32_e32 v4, v4, v4
	v_min_f32_e32 v4, v4, v1
.LBB6_744:                              ;   in Loop: Header=BB6_356 Depth=4
	v_and_b32_e32 v1, 0x7f800000, v4
	v_mov_b32_e32 v122, 0x80
	s_mov_b32 s72, exec_lo
	v_cmpx_ne_u32_e32 0x7f800000, v1
	s_cbranch_execz .LBB6_752
; %bb.745:                              ;   in Loop: Header=BB6_356 Depth=4
	v_mov_b32_e32 v122, 0
	s_mov_b32 s73, exec_lo
	v_cmpx_ne_u32_e32 0, v4
	s_cbranch_execz .LBB6_751
; %bb.746:                              ;   in Loop: Header=BB6_356 Depth=4
	v_bfe_u32 v5, v4, 23, 8
	v_and_b32_e32 v1, 0x7fffff, v4
	v_cmp_gt_u32_e64 s16, 0x79, v5
	v_sub_nc_u32_e32 v28, 0x78, v5
	v_cmp_eq_u32_e32 vcc_lo, 0, v5
	v_or_b32_e32 v29, 0x800000, v1
	v_cndmask_b32_e64 v28, 0, v28, s16
	v_cndmask_b32_e32 v1, v29, v1, vcc_lo
	v_cndmask_b32_e64 v28, v28, 0x77, vcc_lo
	v_lshl_add_u32 v29, 0x100000, v28, -1
	v_lshlrev_b32_e64 v30, v28, 0x80000
	v_and_b32_e32 v29, v29, v1
	v_cmp_eq_u32_e64 s16, v29, v30
	v_lshrrev_b32_e32 v29, v28, v1
	v_add_nc_u32_e32 v1, 0xffffff89, v5
	v_lshrrev_b32_e32 v5, 23, v29
	v_cndmask_b32_e64 v1, v1, 0xffffff8a, vcc_lo
	v_xor_b32_e32 v5, 1, v5
	v_add_nc_u32_e32 v1, v28, v1
	v_bfe_u32 v28, v29, 20, 1
	v_add_nc_u32_e32 v28, -1, v28
	v_cndmask_b32_e64 v28, 0, v28, s16
	s_mov_b32 s16, exec_lo
	v_add_nc_u32_e32 v28, v28, v29
	v_and_b32_e32 v28, 0xfffff, v28
	v_add_nc_u32_e32 v28, v28, v29
                                        ; implicit-def: $vgpr29
	v_cmpx_ne_u32_e64 v1, v5
	s_xor_b32 s16, exec_lo, s16
; %bb.747:                              ;   in Loop: Header=BB6_356 Depth=4
	v_cmp_lt_u32_e32 vcc_lo, 0xffffff, v28
	v_sub_nc_u32_e32 v1, v1, v5
	v_cndmask_b32_e64 v5, 0, 1, vcc_lo
	v_add_co_ci_u32_e64 v29, null, 0, v1, vcc_lo
	v_lshrrev_b32_e32 v28, v5, v28
; %bb.748:                              ;   in Loop: Header=BB6_356 Depth=4
	s_andn2_saveexec_b32 s16, s16
; %bb.749:                              ;   in Loop: Header=BB6_356 Depth=4
	v_bfe_u32 v29, v28, 23, 1
; %bb.750:                              ;   in Loop: Header=BB6_356 Depth=4
	s_or_b32 exec_lo, exec_lo, s16
	v_and_b32_sdwa v1, v4, v62 dst_sel:DWORD dst_unused:UNUSED_PAD src0_sel:BYTE_3 src1_sel:DWORD
	v_lshrrev_b32_e32 v4, 20, v28
	v_min_i32_e32 v5, 15, v29
	v_cmp_gt_i32_e32 vcc_lo, 16, v29
	v_lshlrev_b32_e32 v5, 3, v5
	v_cndmask_b32_e32 v4, 7, v4, vcc_lo
	v_and_b32_e32 v5, 0xf8, v5
	v_or_b32_e32 v28, v29, v4
	v_and_b32_e32 v4, 7, v4
	v_cmp_ne_u32_e32 vcc_lo, 0, v28
	v_or3_b32 v1, v5, v1, v4
	v_cndmask_b32_e32 v122, 0, v1, vcc_lo
.LBB6_751:                              ;   in Loop: Header=BB6_356 Depth=4
	s_or_b32 exec_lo, exec_lo, s73
.LBB6_752:                              ;   in Loop: Header=BB6_356 Depth=4
	s_or_b32 exec_lo, exec_lo, s72
	v_cmp_gt_i16_sdwa s73, v50, v61 src0_sel:BYTE_3 src1_sel:DWORD
	s_and_b32 vcc_lo, exec_lo, s63
	s_mov_b32 s16, -1
                                        ; implicit-def: $vgpr1
	s_cbranch_vccz .LBB6_766
; %bb.753:                              ;   in Loop: Header=BB6_356 Depth=4
	s_mov_b32 s72, 0
	s_and_saveexec_b32 s16, s73
	s_xor_b32 s16, exec_lo, s16
	s_cbranch_execz .LBB6_2746
; %bb.754:                              ;   in Loop: Header=BB6_356 Depth=4
	v_cmp_eq_u16_sdwa s74, v50, v62 src0_sel:BYTE_3 src1_sel:DWORD
	s_mov_b32 s72, -1
	s_and_saveexec_b32 s73, s74
; %bb.755:                              ;   in Loop: Header=BB6_356 Depth=4
	s_xor_b32 s72, exec_lo, -1
; %bb.756:                              ;   in Loop: Header=BB6_356 Depth=4
	s_or_b32 exec_lo, exec_lo, s73
	s_and_b32 s72, s72, exec_lo
	s_or_saveexec_b32 s16, s16
	v_mov_b32_e32 v1, 0x7f800001
	s_xor_b32 exec_lo, exec_lo, s16
	s_cbranch_execnz .LBB6_2747
.LBB6_757:                              ;   in Loop: Header=BB6_356 Depth=4
	s_or_b32 exec_lo, exec_lo, s16
	s_and_saveexec_b32 s16, s72
	s_cbranch_execz .LBB6_759
.LBB6_758:                              ;   in Loop: Header=BB6_356 Depth=4
	v_bfe_u32 v1, v50, 24, 3
	v_bfe_u32 v28, v50, 27, 4
	v_ffbh_u32_e32 v4, v1
	v_cmp_eq_u32_e32 vcc_lo, 0, v28
	v_min_u32_e32 v4, 32, v4
	v_subrev_nc_u32_e32 v5, 28, v4
	v_sub_nc_u32_e32 v4, 29, v4
	v_lshlrev_b32_sdwa v5, v5, v50 dst_sel:DWORD dst_unused:UNUSED_PAD src0_sel:DWORD src1_sel:BYTE_3
	v_cndmask_b32_e32 v4, v28, v4, vcc_lo
	v_and_b32_e32 v5, 7, v5
	v_lshl_add_u32 v4, v4, 23, 0x3b800000
	v_cndmask_b32_e32 v1, v1, v5, vcc_lo
	v_and_b32_e32 v5, 0x80000000, v50
	v_lshlrev_b32_e32 v1, 20, v1
	v_or3_b32 v1, v5, v4, v1
.LBB6_759:                              ;   in Loop: Header=BB6_356 Depth=4
	s_or_b32 exec_lo, exec_lo, s16
	v_cmp_gt_i16_sdwa s16, v38, v61 src0_sel:BYTE_3 src1_sel:DWORD
	s_mov_b32 s72, 0
	s_and_saveexec_b32 s73, s16
	s_xor_b32 s16, exec_lo, s73
	s_cbranch_execz .LBB6_2748
; %bb.760:                              ;   in Loop: Header=BB6_356 Depth=4
	v_cmp_eq_u16_sdwa s74, v38, v62 src0_sel:BYTE_3 src1_sel:DWORD
	s_mov_b32 s72, -1
	s_and_saveexec_b32 s73, s74
; %bb.761:                              ;   in Loop: Header=BB6_356 Depth=4
	s_xor_b32 s72, exec_lo, -1
; %bb.762:                              ;   in Loop: Header=BB6_356 Depth=4
	s_or_b32 exec_lo, exec_lo, s73
	s_and_b32 s72, s72, exec_lo
	s_or_saveexec_b32 s16, s16
	v_mov_b32_e32 v4, 0x7f800001
	s_xor_b32 exec_lo, exec_lo, s16
	s_cbranch_execnz .LBB6_2749
.LBB6_763:                              ;   in Loop: Header=BB6_356 Depth=4
	s_or_b32 exec_lo, exec_lo, s16
	s_and_saveexec_b32 s16, s72
	s_cbranch_execz .LBB6_765
.LBB6_764:                              ;   in Loop: Header=BB6_356 Depth=4
	v_bfe_u32 v4, v38, 24, 3
	v_bfe_u32 v29, v38, 27, 4
	v_ffbh_u32_e32 v5, v4
	v_cmp_eq_u32_e32 vcc_lo, 0, v29
	v_min_u32_e32 v5, 32, v5
	v_subrev_nc_u32_e32 v28, 28, v5
	v_sub_nc_u32_e32 v5, 29, v5
	v_lshlrev_b32_sdwa v28, v28, v38 dst_sel:DWORD dst_unused:UNUSED_PAD src0_sel:DWORD src1_sel:BYTE_3
	v_cndmask_b32_e32 v5, v29, v5, vcc_lo
	v_and_b32_e32 v28, 7, v28
	v_lshl_add_u32 v5, v5, 23, 0x3b800000
	v_cndmask_b32_e32 v4, v4, v28, vcc_lo
	v_and_b32_e32 v28, 0x80000000, v38
	v_lshlrev_b32_e32 v4, 20, v4
	v_or3_b32 v4, v28, v5, v4
.LBB6_765:                              ;   in Loop: Header=BB6_356 Depth=4
	s_or_b32 exec_lo, exec_lo, s16
	v_max_f32_e32 v4, v4, v4
	v_max_f32_e32 v1, v1, v1
	s_mov_b32 s16, 0
	v_max_f32_e32 v1, v1, v4
.LBB6_766:                              ;   in Loop: Header=BB6_356 Depth=4
	s_and_b32 vcc_lo, exec_lo, s16
	s_cbranch_vccz .LBB6_780
; %bb.767:                              ;   in Loop: Header=BB6_356 Depth=4
	v_cmp_gt_i16_sdwa s16, v50, v61 src0_sel:BYTE_3 src1_sel:DWORD
	s_mov_b32 s72, 0
	s_and_saveexec_b32 s73, s16
	s_xor_b32 s16, exec_lo, s73
	s_cbranch_execz .LBB6_2750
; %bb.768:                              ;   in Loop: Header=BB6_356 Depth=4
	v_cmp_eq_u16_sdwa s74, v50, v62 src0_sel:BYTE_3 src1_sel:DWORD
	s_mov_b32 s72, -1
	s_and_saveexec_b32 s73, s74
; %bb.769:                              ;   in Loop: Header=BB6_356 Depth=4
	s_xor_b32 s72, exec_lo, -1
; %bb.770:                              ;   in Loop: Header=BB6_356 Depth=4
	s_or_b32 exec_lo, exec_lo, s73
	s_and_b32 s72, s72, exec_lo
	s_or_saveexec_b32 s16, s16
	v_mov_b32_e32 v1, 0x7f800001
	s_xor_b32 exec_lo, exec_lo, s16
	s_cbranch_execnz .LBB6_2751
.LBB6_771:                              ;   in Loop: Header=BB6_356 Depth=4
	s_or_b32 exec_lo, exec_lo, s16
	s_and_saveexec_b32 s16, s72
	s_cbranch_execz .LBB6_773
.LBB6_772:                              ;   in Loop: Header=BB6_356 Depth=4
	v_bfe_u32 v1, v50, 24, 3
	v_bfe_u32 v28, v50, 27, 4
	v_ffbh_u32_e32 v4, v1
	v_cmp_eq_u32_e32 vcc_lo, 0, v28
	v_min_u32_e32 v4, 32, v4
	v_subrev_nc_u32_e32 v5, 28, v4
	v_sub_nc_u32_e32 v4, 29, v4
	v_lshlrev_b32_sdwa v5, v5, v50 dst_sel:DWORD dst_unused:UNUSED_PAD src0_sel:DWORD src1_sel:BYTE_3
	v_cndmask_b32_e32 v4, v28, v4, vcc_lo
	v_and_b32_e32 v5, 7, v5
	v_lshl_add_u32 v4, v4, 23, 0x3b800000
	v_cndmask_b32_e32 v1, v1, v5, vcc_lo
	v_and_b32_e32 v5, 0x80000000, v50
	v_lshlrev_b32_e32 v1, 20, v1
	v_or3_b32 v1, v5, v4, v1
.LBB6_773:                              ;   in Loop: Header=BB6_356 Depth=4
	s_or_b32 exec_lo, exec_lo, s16
	v_cmp_gt_i16_sdwa s16, v38, v61 src0_sel:BYTE_3 src1_sel:DWORD
	s_mov_b32 s72, 0
	s_and_saveexec_b32 s73, s16
	s_xor_b32 s16, exec_lo, s73
	s_cbranch_execz .LBB6_2752
; %bb.774:                              ;   in Loop: Header=BB6_356 Depth=4
	v_cmp_eq_u16_sdwa s74, v38, v62 src0_sel:BYTE_3 src1_sel:DWORD
	s_mov_b32 s72, -1
	s_and_saveexec_b32 s73, s74
; %bb.775:                              ;   in Loop: Header=BB6_356 Depth=4
	s_xor_b32 s72, exec_lo, -1
; %bb.776:                              ;   in Loop: Header=BB6_356 Depth=4
	s_or_b32 exec_lo, exec_lo, s73
	s_and_b32 s72, s72, exec_lo
	s_or_saveexec_b32 s16, s16
	v_mov_b32_e32 v4, 0x7f800001
	s_xor_b32 exec_lo, exec_lo, s16
	s_cbranch_execnz .LBB6_2753
.LBB6_777:                              ;   in Loop: Header=BB6_356 Depth=4
	s_or_b32 exec_lo, exec_lo, s16
	s_and_saveexec_b32 s16, s72
	s_cbranch_execz .LBB6_779
.LBB6_778:                              ;   in Loop: Header=BB6_356 Depth=4
	v_bfe_u32 v4, v38, 24, 3
	v_bfe_u32 v29, v38, 27, 4
	v_ffbh_u32_e32 v5, v4
	v_cmp_eq_u32_e32 vcc_lo, 0, v29
	v_min_u32_e32 v5, 32, v5
	v_subrev_nc_u32_e32 v28, 28, v5
	v_sub_nc_u32_e32 v5, 29, v5
	v_lshlrev_b32_sdwa v28, v28, v38 dst_sel:DWORD dst_unused:UNUSED_PAD src0_sel:DWORD src1_sel:BYTE_3
	v_cndmask_b32_e32 v5, v29, v5, vcc_lo
	v_and_b32_e32 v28, 7, v28
	v_lshl_add_u32 v5, v5, 23, 0x3b800000
	v_cndmask_b32_e32 v4, v4, v28, vcc_lo
	v_and_b32_e32 v28, 0x80000000, v38
	v_lshlrev_b32_e32 v4, 20, v4
	v_or3_b32 v4, v28, v5, v4
.LBB6_779:                              ;   in Loop: Header=BB6_356 Depth=4
	s_or_b32 exec_lo, exec_lo, s16
	v_max_f32_e32 v4, v4, v4
	v_max_f32_e32 v1, v1, v1
	v_min_f32_e32 v1, v1, v4
.LBB6_780:                              ;   in Loop: Header=BB6_356 Depth=4
	v_and_b32_e32 v4, 0x7f800000, v1
	v_mov_b32_e32 v38, 0x8000
	s_mov_b32 s72, exec_lo
	v_cmpx_ne_u32_e32 0x7f800000, v4
	s_cbranch_execz .LBB6_788
; %bb.781:                              ;   in Loop: Header=BB6_356 Depth=4
	v_mov_b32_e32 v38, 0
	s_mov_b32 s73, exec_lo
	v_cmpx_ne_u32_e32 0, v1
	s_cbranch_execz .LBB6_787
; %bb.782:                              ;   in Loop: Header=BB6_356 Depth=4
	v_bfe_u32 v5, v1, 23, 8
	v_and_b32_e32 v4, 0x7fffff, v1
	v_cmp_gt_u32_e64 s16, 0x79, v5
	v_sub_nc_u32_e32 v28, 0x78, v5
	v_cmp_eq_u32_e32 vcc_lo, 0, v5
	v_or_b32_e32 v29, 0x800000, v4
	v_cndmask_b32_e64 v28, 0, v28, s16
	v_cndmask_b32_e32 v4, v29, v4, vcc_lo
	v_cndmask_b32_e64 v28, v28, 0x77, vcc_lo
	v_lshl_add_u32 v29, 0x100000, v28, -1
	v_lshlrev_b32_e64 v30, v28, 0x80000
	v_and_b32_e32 v29, v29, v4
	v_cmp_eq_u32_e64 s16, v29, v30
	v_lshrrev_b32_e32 v29, v28, v4
	v_add_nc_u32_e32 v4, 0xffffff89, v5
	v_lshrrev_b32_e32 v5, 23, v29
	v_cndmask_b32_e64 v4, v4, 0xffffff8a, vcc_lo
	v_xor_b32_e32 v5, 1, v5
	v_add_nc_u32_e32 v4, v28, v4
	v_bfe_u32 v28, v29, 20, 1
	v_add_nc_u32_e32 v28, -1, v28
	v_cndmask_b32_e64 v28, 0, v28, s16
	s_mov_b32 s16, exec_lo
	v_add_nc_u32_e32 v28, v28, v29
	v_and_b32_e32 v28, 0xfffff, v28
	v_add_nc_u32_e32 v29, v28, v29
                                        ; implicit-def: $vgpr28
	v_cmpx_ne_u32_e64 v4, v5
	s_xor_b32 s16, exec_lo, s16
; %bb.783:                              ;   in Loop: Header=BB6_356 Depth=4
	v_cmp_lt_u32_e32 vcc_lo, 0xffffff, v29
	v_sub_nc_u32_e32 v4, v4, v5
	v_cndmask_b32_e64 v5, 0, 1, vcc_lo
	v_add_co_ci_u32_e64 v28, null, 0, v4, vcc_lo
	v_lshrrev_b32_e32 v29, v5, v29
; %bb.784:                              ;   in Loop: Header=BB6_356 Depth=4
	s_andn2_saveexec_b32 s16, s16
; %bb.785:                              ;   in Loop: Header=BB6_356 Depth=4
	v_bfe_u32 v28, v29, 23, 1
; %bb.786:                              ;   in Loop: Header=BB6_356 Depth=4
	s_or_b32 exec_lo, exec_lo, s16
	v_lshrrev_b32_e32 v4, 20, v29
	v_min_i32_e32 v5, 15, v28
	v_cmp_gt_i32_e32 vcc_lo, 16, v28
	v_and_b32_sdwa v1, v1, v62 dst_sel:DWORD dst_unused:UNUSED_PAD src0_sel:BYTE_3 src1_sel:DWORD
	v_lshlrev_b32_e32 v5, 3, v5
	v_cndmask_b32_e32 v4, 7, v4, vcc_lo
	v_and_b32_e32 v5, 0xf8, v5
	v_and_b32_e32 v29, 7, v4
	v_or_b32_e32 v4, v28, v4
	v_or3_b32 v1, v1, v5, v29
	v_cmp_ne_u32_e32 vcc_lo, 0, v4
	v_lshlrev_b32_e32 v1, 8, v1
	v_cndmask_b32_e32 v38, 0, v1, vcc_lo
.LBB6_787:                              ;   in Loop: Header=BB6_356 Depth=4
	s_or_b32 exec_lo, exec_lo, s73
.LBB6_788:                              ;   in Loop: Header=BB6_356 Depth=4
	s_or_b32 exec_lo, exec_lo, s72
	v_cmp_gt_i16_sdwa s73, v51, v61 src0_sel:BYTE_0 src1_sel:DWORD
	s_and_b32 vcc_lo, exec_lo, s63
	s_mov_b32 s16, -1
                                        ; implicit-def: $vgpr1
	s_cbranch_vccz .LBB6_802
; %bb.789:                              ;   in Loop: Header=BB6_356 Depth=4
	s_mov_b32 s72, 0
	s_and_saveexec_b32 s16, s73
	s_xor_b32 s16, exec_lo, s16
	s_cbranch_execz .LBB6_2754
; %bb.790:                              ;   in Loop: Header=BB6_356 Depth=4
	v_cmp_eq_u16_sdwa s74, v51, v62 src0_sel:BYTE_0 src1_sel:DWORD
	s_mov_b32 s72, -1
	s_and_saveexec_b32 s73, s74
; %bb.791:                              ;   in Loop: Header=BB6_356 Depth=4
	s_xor_b32 s72, exec_lo, -1
; %bb.792:                              ;   in Loop: Header=BB6_356 Depth=4
	s_or_b32 exec_lo, exec_lo, s73
	s_and_b32 s72, s72, exec_lo
	s_or_saveexec_b32 s16, s16
	v_mov_b32_e32 v1, 0x7f800001
	s_xor_b32 exec_lo, exec_lo, s16
	s_cbranch_execnz .LBB6_2755
.LBB6_793:                              ;   in Loop: Header=BB6_356 Depth=4
	s_or_b32 exec_lo, exec_lo, s16
	s_and_saveexec_b32 s16, s72
	s_cbranch_execz .LBB6_795
.LBB6_794:                              ;   in Loop: Header=BB6_356 Depth=4
	v_and_b32_e32 v1, 7, v51
	v_bfe_u32 v4, v51, 3, 4
	v_ffbh_u32_e32 v5, v1
	v_cmp_eq_u32_e32 vcc_lo, 0, v4
	v_min_u32_e32 v5, 32, v5
	v_subrev_nc_u32_e32 v28, 28, v5
	v_sub_nc_u32_e32 v5, 29, v5
	v_lshlrev_b32_e32 v28, v28, v51
	v_cndmask_b32_e32 v4, v4, v5, vcc_lo
	v_lshlrev_b32_e32 v5, 24, v51
	v_and_b32_e32 v28, 7, v28
	v_lshl_add_u32 v4, v4, 23, 0x3b800000
	v_and_b32_e32 v5, 0x80000000, v5
	v_cndmask_b32_e32 v1, v1, v28, vcc_lo
	v_lshlrev_b32_e32 v1, 20, v1
	v_or3_b32 v1, v5, v4, v1
.LBB6_795:                              ;   in Loop: Header=BB6_356 Depth=4
	s_or_b32 exec_lo, exec_lo, s16
	v_cmp_gt_i16_sdwa s16, v39, v61 src0_sel:BYTE_0 src1_sel:DWORD
	s_mov_b32 s72, 0
	s_and_saveexec_b32 s73, s16
	s_xor_b32 s16, exec_lo, s73
	s_cbranch_execz .LBB6_2756
; %bb.796:                              ;   in Loop: Header=BB6_356 Depth=4
	v_cmp_eq_u16_sdwa s74, v39, v62 src0_sel:BYTE_0 src1_sel:DWORD
	s_mov_b32 s72, -1
	s_and_saveexec_b32 s73, s74
; %bb.797:                              ;   in Loop: Header=BB6_356 Depth=4
	s_xor_b32 s72, exec_lo, -1
; %bb.798:                              ;   in Loop: Header=BB6_356 Depth=4
	s_or_b32 exec_lo, exec_lo, s73
	s_and_b32 s72, s72, exec_lo
	s_or_saveexec_b32 s16, s16
	v_mov_b32_e32 v4, 0x7f800001
	s_xor_b32 exec_lo, exec_lo, s16
	s_cbranch_execnz .LBB6_2757
.LBB6_799:                              ;   in Loop: Header=BB6_356 Depth=4
	s_or_b32 exec_lo, exec_lo, s16
	s_and_saveexec_b32 s16, s72
	s_cbranch_execz .LBB6_801
.LBB6_800:                              ;   in Loop: Header=BB6_356 Depth=4
	v_and_b32_e32 v4, 7, v39
	v_bfe_u32 v5, v39, 3, 4
	v_ffbh_u32_e32 v28, v4
	v_cmp_eq_u32_e32 vcc_lo, 0, v5
	v_min_u32_e32 v28, 32, v28
	v_subrev_nc_u32_e32 v29, 28, v28
	v_sub_nc_u32_e32 v28, 29, v28
	v_lshlrev_b32_e32 v29, v29, v39
	v_cndmask_b32_e32 v5, v5, v28, vcc_lo
	v_lshlrev_b32_e32 v28, 24, v39
	v_and_b32_e32 v29, 7, v29
	v_lshl_add_u32 v5, v5, 23, 0x3b800000
	v_and_b32_e32 v28, 0x80000000, v28
	v_cndmask_b32_e32 v4, v4, v29, vcc_lo
	v_lshlrev_b32_e32 v4, 20, v4
	v_or3_b32 v4, v28, v5, v4
.LBB6_801:                              ;   in Loop: Header=BB6_356 Depth=4
	s_or_b32 exec_lo, exec_lo, s16
	v_max_f32_e32 v4, v4, v4
	v_max_f32_e32 v1, v1, v1
	s_mov_b32 s16, 0
	v_max_f32_e32 v1, v1, v4
.LBB6_802:                              ;   in Loop: Header=BB6_356 Depth=4
	s_and_b32 vcc_lo, exec_lo, s16
	s_cbranch_vccz .LBB6_816
; %bb.803:                              ;   in Loop: Header=BB6_356 Depth=4
	v_cmp_gt_i16_sdwa s16, v51, v61 src0_sel:BYTE_0 src1_sel:DWORD
	s_mov_b32 s72, 0
	s_and_saveexec_b32 s73, s16
	s_xor_b32 s16, exec_lo, s73
	s_cbranch_execz .LBB6_2758
; %bb.804:                              ;   in Loop: Header=BB6_356 Depth=4
	v_cmp_eq_u16_sdwa s74, v51, v62 src0_sel:BYTE_0 src1_sel:DWORD
	s_mov_b32 s72, -1
	s_and_saveexec_b32 s73, s74
; %bb.805:                              ;   in Loop: Header=BB6_356 Depth=4
	s_xor_b32 s72, exec_lo, -1
; %bb.806:                              ;   in Loop: Header=BB6_356 Depth=4
	s_or_b32 exec_lo, exec_lo, s73
	s_and_b32 s72, s72, exec_lo
	s_or_saveexec_b32 s16, s16
	v_mov_b32_e32 v1, 0x7f800001
	s_xor_b32 exec_lo, exec_lo, s16
	s_cbranch_execnz .LBB6_2759
.LBB6_807:                              ;   in Loop: Header=BB6_356 Depth=4
	s_or_b32 exec_lo, exec_lo, s16
	s_and_saveexec_b32 s16, s72
	s_cbranch_execz .LBB6_809
.LBB6_808:                              ;   in Loop: Header=BB6_356 Depth=4
	v_and_b32_e32 v1, 7, v51
	v_bfe_u32 v4, v51, 3, 4
	v_ffbh_u32_e32 v5, v1
	v_cmp_eq_u32_e32 vcc_lo, 0, v4
	v_min_u32_e32 v5, 32, v5
	v_subrev_nc_u32_e32 v28, 28, v5
	v_sub_nc_u32_e32 v5, 29, v5
	v_lshlrev_b32_e32 v28, v28, v51
	v_cndmask_b32_e32 v4, v4, v5, vcc_lo
	v_lshlrev_b32_e32 v5, 24, v51
	v_and_b32_e32 v28, 7, v28
	v_lshl_add_u32 v4, v4, 23, 0x3b800000
	v_and_b32_e32 v5, 0x80000000, v5
	v_cndmask_b32_e32 v1, v1, v28, vcc_lo
	v_lshlrev_b32_e32 v1, 20, v1
	v_or3_b32 v1, v5, v4, v1
.LBB6_809:                              ;   in Loop: Header=BB6_356 Depth=4
	s_or_b32 exec_lo, exec_lo, s16
	v_cmp_gt_i16_sdwa s16, v39, v61 src0_sel:BYTE_0 src1_sel:DWORD
	s_mov_b32 s72, 0
	s_and_saveexec_b32 s73, s16
	s_xor_b32 s16, exec_lo, s73
	s_cbranch_execz .LBB6_2760
; %bb.810:                              ;   in Loop: Header=BB6_356 Depth=4
	v_cmp_eq_u16_sdwa s74, v39, v62 src0_sel:BYTE_0 src1_sel:DWORD
	s_mov_b32 s72, -1
	s_and_saveexec_b32 s73, s74
; %bb.811:                              ;   in Loop: Header=BB6_356 Depth=4
	s_xor_b32 s72, exec_lo, -1
; %bb.812:                              ;   in Loop: Header=BB6_356 Depth=4
	s_or_b32 exec_lo, exec_lo, s73
	s_and_b32 s72, s72, exec_lo
	s_or_saveexec_b32 s16, s16
	v_mov_b32_e32 v4, 0x7f800001
	s_xor_b32 exec_lo, exec_lo, s16
	s_cbranch_execnz .LBB6_2761
.LBB6_813:                              ;   in Loop: Header=BB6_356 Depth=4
	s_or_b32 exec_lo, exec_lo, s16
	s_and_saveexec_b32 s16, s72
	s_cbranch_execz .LBB6_815
.LBB6_814:                              ;   in Loop: Header=BB6_356 Depth=4
	v_and_b32_e32 v4, 7, v39
	v_bfe_u32 v5, v39, 3, 4
	v_ffbh_u32_e32 v28, v4
	v_cmp_eq_u32_e32 vcc_lo, 0, v5
	v_min_u32_e32 v28, 32, v28
	v_subrev_nc_u32_e32 v29, 28, v28
	v_sub_nc_u32_e32 v28, 29, v28
	v_lshlrev_b32_e32 v29, v29, v39
	v_cndmask_b32_e32 v5, v5, v28, vcc_lo
	v_lshlrev_b32_e32 v28, 24, v39
	v_and_b32_e32 v29, 7, v29
	v_lshl_add_u32 v5, v5, 23, 0x3b800000
	v_and_b32_e32 v28, 0x80000000, v28
	v_cndmask_b32_e32 v4, v4, v29, vcc_lo
	v_lshlrev_b32_e32 v4, 20, v4
	v_or3_b32 v4, v28, v5, v4
.LBB6_815:                              ;   in Loop: Header=BB6_356 Depth=4
	s_or_b32 exec_lo, exec_lo, s16
	v_max_f32_e32 v4, v4, v4
	v_max_f32_e32 v1, v1, v1
	v_min_f32_e32 v1, v1, v4
.LBB6_816:                              ;   in Loop: Header=BB6_356 Depth=4
	v_and_b32_e32 v4, 0x7f800000, v1
	v_mov_b32_e32 v50, 0x80
	s_mov_b32 s72, exec_lo
	v_cmpx_ne_u32_e32 0x7f800000, v4
	s_cbranch_execz .LBB6_824
; %bb.817:                              ;   in Loop: Header=BB6_356 Depth=4
	v_mov_b32_e32 v50, 0
	s_mov_b32 s73, exec_lo
	v_cmpx_ne_u32_e32 0, v1
	s_cbranch_execz .LBB6_823
; %bb.818:                              ;   in Loop: Header=BB6_356 Depth=4
	v_bfe_u32 v5, v1, 23, 8
	v_and_b32_e32 v4, 0x7fffff, v1
	v_cmp_gt_u32_e64 s16, 0x79, v5
	v_sub_nc_u32_e32 v28, 0x78, v5
	v_cmp_eq_u32_e32 vcc_lo, 0, v5
	v_or_b32_e32 v29, 0x800000, v4
	v_cndmask_b32_e64 v28, 0, v28, s16
	v_cndmask_b32_e32 v4, v29, v4, vcc_lo
	v_cndmask_b32_e64 v28, v28, 0x77, vcc_lo
	v_lshl_add_u32 v29, 0x100000, v28, -1
	v_lshlrev_b32_e64 v30, v28, 0x80000
	v_and_b32_e32 v29, v29, v4
	v_cmp_eq_u32_e64 s16, v29, v30
	v_lshrrev_b32_e32 v29, v28, v4
	v_add_nc_u32_e32 v4, 0xffffff89, v5
	v_lshrrev_b32_e32 v5, 23, v29
	v_cndmask_b32_e64 v4, v4, 0xffffff8a, vcc_lo
	v_xor_b32_e32 v5, 1, v5
	v_add_nc_u32_e32 v4, v28, v4
	v_bfe_u32 v28, v29, 20, 1
	v_add_nc_u32_e32 v28, -1, v28
	v_cndmask_b32_e64 v28, 0, v28, s16
	s_mov_b32 s16, exec_lo
	v_add_nc_u32_e32 v28, v28, v29
	v_and_b32_e32 v28, 0xfffff, v28
	v_add_nc_u32_e32 v28, v28, v29
                                        ; implicit-def: $vgpr29
	v_cmpx_ne_u32_e64 v4, v5
	s_xor_b32 s16, exec_lo, s16
; %bb.819:                              ;   in Loop: Header=BB6_356 Depth=4
	v_cmp_lt_u32_e32 vcc_lo, 0xffffff, v28
	v_sub_nc_u32_e32 v4, v4, v5
	v_cndmask_b32_e64 v5, 0, 1, vcc_lo
	v_add_co_ci_u32_e64 v29, null, 0, v4, vcc_lo
	v_lshrrev_b32_e32 v28, v5, v28
; %bb.820:                              ;   in Loop: Header=BB6_356 Depth=4
	s_andn2_saveexec_b32 s16, s16
; %bb.821:                              ;   in Loop: Header=BB6_356 Depth=4
	v_bfe_u32 v29, v28, 23, 1
; %bb.822:                              ;   in Loop: Header=BB6_356 Depth=4
	s_or_b32 exec_lo, exec_lo, s16
	v_lshrrev_b32_e32 v4, 20, v28
	v_min_i32_e32 v5, 15, v29
	v_cmp_gt_i32_e32 vcc_lo, 16, v29
	v_and_b32_sdwa v1, v1, v62 dst_sel:DWORD dst_unused:UNUSED_PAD src0_sel:BYTE_3 src1_sel:DWORD
	v_lshlrev_b32_e32 v5, 3, v5
	v_cndmask_b32_e32 v4, 7, v4, vcc_lo
	v_and_b32_e32 v5, 0xf8, v5
	v_or_b32_e32 v28, v29, v4
	v_and_b32_e32 v4, 7, v4
	v_cmp_ne_u32_e32 vcc_lo, 0, v28
	v_or3_b32 v1, v5, v1, v4
	v_cndmask_b32_e32 v50, 0, v1, vcc_lo
.LBB6_823:                              ;   in Loop: Header=BB6_356 Depth=4
	s_or_b32 exec_lo, exec_lo, s73
.LBB6_824:                              ;   in Loop: Header=BB6_356 Depth=4
	s_or_b32 exec_lo, exec_lo, s72
	v_cmp_gt_i16_sdwa s73, v51, v61 src0_sel:BYTE_1 src1_sel:DWORD
	s_and_b32 vcc_lo, exec_lo, s63
	s_mov_b32 s16, -1
                                        ; implicit-def: $vgpr1
	s_cbranch_vccz .LBB6_838
; %bb.825:                              ;   in Loop: Header=BB6_356 Depth=4
	s_mov_b32 s72, 0
	s_and_saveexec_b32 s16, s73
	s_xor_b32 s16, exec_lo, s16
	s_cbranch_execz .LBB6_2762
; %bb.826:                              ;   in Loop: Header=BB6_356 Depth=4
	v_cmp_eq_u16_sdwa s74, v51, v62 src0_sel:BYTE_1 src1_sel:DWORD
	s_mov_b32 s72, -1
	s_and_saveexec_b32 s73, s74
; %bb.827:                              ;   in Loop: Header=BB6_356 Depth=4
	s_xor_b32 s72, exec_lo, -1
; %bb.828:                              ;   in Loop: Header=BB6_356 Depth=4
	s_or_b32 exec_lo, exec_lo, s73
	s_and_b32 s72, s72, exec_lo
	s_or_saveexec_b32 s16, s16
	v_mov_b32_e32 v1, 0x7f800001
	s_xor_b32 exec_lo, exec_lo, s16
	s_cbranch_execnz .LBB6_2763
.LBB6_829:                              ;   in Loop: Header=BB6_356 Depth=4
	s_or_b32 exec_lo, exec_lo, s16
	s_and_saveexec_b32 s16, s72
	s_cbranch_execz .LBB6_831
.LBB6_830:                              ;   in Loop: Header=BB6_356 Depth=4
	v_and_b32_sdwa v1, v63, v51 dst_sel:DWORD dst_unused:UNUSED_PAD src0_sel:DWORD src1_sel:BYTE_1
	v_and_b32_e32 v4, 7, v1
	v_bfe_u32 v29, v1, 3, 4
	v_ffbh_u32_e32 v5, v4
	v_cmp_eq_u32_e32 vcc_lo, 0, v29
	v_min_u32_e32 v5, 32, v5
	v_subrev_nc_u32_e32 v28, 28, v5
	v_sub_nc_u32_e32 v5, 29, v5
	v_lshlrev_b32_e32 v1, v28, v1
	v_lshlrev_b32_e32 v28, 16, v51
	v_cndmask_b32_e32 v5, v29, v5, vcc_lo
	v_and_b32_e32 v1, 7, v1
	v_lshl_add_u32 v5, v5, 23, 0x3b800000
	v_cndmask_b32_e32 v1, v4, v1, vcc_lo
	v_and_b32_e32 v4, 0x80000000, v28
	v_lshlrev_b32_e32 v1, 20, v1
	v_or3_b32 v1, v4, v5, v1
.LBB6_831:                              ;   in Loop: Header=BB6_356 Depth=4
	s_or_b32 exec_lo, exec_lo, s16
	v_cmp_gt_i16_sdwa s16, v39, v61 src0_sel:BYTE_1 src1_sel:DWORD
	s_mov_b32 s72, 0
	s_and_saveexec_b32 s73, s16
	s_xor_b32 s16, exec_lo, s73
	s_cbranch_execz .LBB6_2764
; %bb.832:                              ;   in Loop: Header=BB6_356 Depth=4
	v_cmp_eq_u16_sdwa s74, v39, v62 src0_sel:BYTE_1 src1_sel:DWORD
	s_mov_b32 s72, -1
	s_and_saveexec_b32 s73, s74
; %bb.833:                              ;   in Loop: Header=BB6_356 Depth=4
	s_xor_b32 s72, exec_lo, -1
; %bb.834:                              ;   in Loop: Header=BB6_356 Depth=4
	s_or_b32 exec_lo, exec_lo, s73
	s_and_b32 s72, s72, exec_lo
	s_or_saveexec_b32 s16, s16
	v_mov_b32_e32 v4, 0x7f800001
	s_xor_b32 exec_lo, exec_lo, s16
	s_cbranch_execnz .LBB6_2765
.LBB6_835:                              ;   in Loop: Header=BB6_356 Depth=4
	s_or_b32 exec_lo, exec_lo, s16
	s_and_saveexec_b32 s16, s72
	s_cbranch_execz .LBB6_837
.LBB6_836:                              ;   in Loop: Header=BB6_356 Depth=4
	v_and_b32_sdwa v4, v63, v39 dst_sel:DWORD dst_unused:UNUSED_PAD src0_sel:DWORD src1_sel:BYTE_1
	v_and_b32_e32 v5, 7, v4
	v_bfe_u32 v30, v4, 3, 4
	v_ffbh_u32_e32 v28, v5
	v_cmp_eq_u32_e32 vcc_lo, 0, v30
	v_min_u32_e32 v28, 32, v28
	v_subrev_nc_u32_e32 v29, 28, v28
	v_sub_nc_u32_e32 v28, 29, v28
	v_lshlrev_b32_e32 v4, v29, v4
	v_lshlrev_b32_e32 v29, 16, v39
	v_cndmask_b32_e32 v28, v30, v28, vcc_lo
	v_and_b32_e32 v4, 7, v4
	v_lshl_add_u32 v28, v28, 23, 0x3b800000
	v_cndmask_b32_e32 v4, v5, v4, vcc_lo
	v_and_b32_e32 v5, 0x80000000, v29
	v_lshlrev_b32_e32 v4, 20, v4
	v_or3_b32 v4, v5, v28, v4
.LBB6_837:                              ;   in Loop: Header=BB6_356 Depth=4
	s_or_b32 exec_lo, exec_lo, s16
	v_max_f32_e32 v4, v4, v4
	v_max_f32_e32 v1, v1, v1
	s_mov_b32 s16, 0
	v_max_f32_e32 v1, v1, v4
.LBB6_838:                              ;   in Loop: Header=BB6_356 Depth=4
	s_and_b32 vcc_lo, exec_lo, s16
	s_cbranch_vccz .LBB6_852
; %bb.839:                              ;   in Loop: Header=BB6_356 Depth=4
	v_cmp_gt_i16_sdwa s16, v51, v61 src0_sel:BYTE_1 src1_sel:DWORD
	s_mov_b32 s72, 0
	s_and_saveexec_b32 s73, s16
	s_xor_b32 s16, exec_lo, s73
	s_cbranch_execz .LBB6_2766
; %bb.840:                              ;   in Loop: Header=BB6_356 Depth=4
	v_cmp_eq_u16_sdwa s74, v51, v62 src0_sel:BYTE_1 src1_sel:DWORD
	s_mov_b32 s72, -1
	s_and_saveexec_b32 s73, s74
; %bb.841:                              ;   in Loop: Header=BB6_356 Depth=4
	s_xor_b32 s72, exec_lo, -1
; %bb.842:                              ;   in Loop: Header=BB6_356 Depth=4
	s_or_b32 exec_lo, exec_lo, s73
	s_and_b32 s72, s72, exec_lo
	s_or_saveexec_b32 s16, s16
	v_mov_b32_e32 v1, 0x7f800001
	s_xor_b32 exec_lo, exec_lo, s16
	s_cbranch_execnz .LBB6_2767
.LBB6_843:                              ;   in Loop: Header=BB6_356 Depth=4
	s_or_b32 exec_lo, exec_lo, s16
	s_and_saveexec_b32 s16, s72
	s_cbranch_execz .LBB6_845
.LBB6_844:                              ;   in Loop: Header=BB6_356 Depth=4
	v_and_b32_sdwa v1, v63, v51 dst_sel:DWORD dst_unused:UNUSED_PAD src0_sel:DWORD src1_sel:BYTE_1
	v_and_b32_e32 v4, 7, v1
	v_bfe_u32 v29, v1, 3, 4
	v_ffbh_u32_e32 v5, v4
	v_cmp_eq_u32_e32 vcc_lo, 0, v29
	v_min_u32_e32 v5, 32, v5
	v_subrev_nc_u32_e32 v28, 28, v5
	v_sub_nc_u32_e32 v5, 29, v5
	v_lshlrev_b32_e32 v1, v28, v1
	v_lshlrev_b32_e32 v28, 16, v51
	v_cndmask_b32_e32 v5, v29, v5, vcc_lo
	v_and_b32_e32 v1, 7, v1
	v_lshl_add_u32 v5, v5, 23, 0x3b800000
	v_cndmask_b32_e32 v1, v4, v1, vcc_lo
	v_and_b32_e32 v4, 0x80000000, v28
	v_lshlrev_b32_e32 v1, 20, v1
	v_or3_b32 v1, v4, v5, v1
.LBB6_845:                              ;   in Loop: Header=BB6_356 Depth=4
	s_or_b32 exec_lo, exec_lo, s16
	v_cmp_gt_i16_sdwa s16, v39, v61 src0_sel:BYTE_1 src1_sel:DWORD
	s_mov_b32 s72, 0
	s_and_saveexec_b32 s73, s16
	s_xor_b32 s16, exec_lo, s73
	s_cbranch_execz .LBB6_2768
; %bb.846:                              ;   in Loop: Header=BB6_356 Depth=4
	v_cmp_eq_u16_sdwa s74, v39, v62 src0_sel:BYTE_1 src1_sel:DWORD
	s_mov_b32 s72, -1
	s_and_saveexec_b32 s73, s74
; %bb.847:                              ;   in Loop: Header=BB6_356 Depth=4
	s_xor_b32 s72, exec_lo, -1
; %bb.848:                              ;   in Loop: Header=BB6_356 Depth=4
	s_or_b32 exec_lo, exec_lo, s73
	s_and_b32 s72, s72, exec_lo
	s_or_saveexec_b32 s16, s16
	v_mov_b32_e32 v4, 0x7f800001
	s_xor_b32 exec_lo, exec_lo, s16
	s_cbranch_execnz .LBB6_2769
.LBB6_849:                              ;   in Loop: Header=BB6_356 Depth=4
	s_or_b32 exec_lo, exec_lo, s16
	s_and_saveexec_b32 s16, s72
	s_cbranch_execz .LBB6_851
.LBB6_850:                              ;   in Loop: Header=BB6_356 Depth=4
	v_and_b32_sdwa v4, v63, v39 dst_sel:DWORD dst_unused:UNUSED_PAD src0_sel:DWORD src1_sel:BYTE_1
	v_and_b32_e32 v5, 7, v4
	v_bfe_u32 v30, v4, 3, 4
	v_ffbh_u32_e32 v28, v5
	v_cmp_eq_u32_e32 vcc_lo, 0, v30
	v_min_u32_e32 v28, 32, v28
	v_subrev_nc_u32_e32 v29, 28, v28
	v_sub_nc_u32_e32 v28, 29, v28
	v_lshlrev_b32_e32 v4, v29, v4
	v_lshlrev_b32_e32 v29, 16, v39
	v_cndmask_b32_e32 v28, v30, v28, vcc_lo
	v_and_b32_e32 v4, 7, v4
	v_lshl_add_u32 v28, v28, 23, 0x3b800000
	v_cndmask_b32_e32 v4, v5, v4, vcc_lo
	v_and_b32_e32 v5, 0x80000000, v29
	v_lshlrev_b32_e32 v4, 20, v4
	v_or3_b32 v4, v5, v28, v4
.LBB6_851:                              ;   in Loop: Header=BB6_356 Depth=4
	s_or_b32 exec_lo, exec_lo, s16
	v_max_f32_e32 v4, v4, v4
	v_max_f32_e32 v1, v1, v1
	v_min_f32_e32 v1, v1, v4
.LBB6_852:                              ;   in Loop: Header=BB6_356 Depth=4
	v_and_b32_e32 v4, 0x7f800000, v1
	v_mov_b32_e32 v52, 0x8000
	s_mov_b32 s72, exec_lo
	v_cmpx_ne_u32_e32 0x7f800000, v4
	s_cbranch_execz .LBB6_860
; %bb.853:                              ;   in Loop: Header=BB6_356 Depth=4
	v_mov_b32_e32 v52, 0
	s_mov_b32 s73, exec_lo
	v_cmpx_ne_u32_e32 0, v1
	s_cbranch_execz .LBB6_859
; %bb.854:                              ;   in Loop: Header=BB6_356 Depth=4
	v_bfe_u32 v5, v1, 23, 8
	v_and_b32_e32 v4, 0x7fffff, v1
	v_cmp_gt_u32_e64 s16, 0x79, v5
	v_sub_nc_u32_e32 v28, 0x78, v5
	v_cmp_eq_u32_e32 vcc_lo, 0, v5
	v_or_b32_e32 v29, 0x800000, v4
	v_cndmask_b32_e64 v28, 0, v28, s16
	v_cndmask_b32_e32 v4, v29, v4, vcc_lo
	v_cndmask_b32_e64 v28, v28, 0x77, vcc_lo
	v_lshl_add_u32 v29, 0x100000, v28, -1
	v_lshlrev_b32_e64 v30, v28, 0x80000
	v_and_b32_e32 v29, v29, v4
	v_cmp_eq_u32_e64 s16, v29, v30
	v_lshrrev_b32_e32 v29, v28, v4
	v_add_nc_u32_e32 v4, 0xffffff89, v5
	v_lshrrev_b32_e32 v5, 23, v29
	v_cndmask_b32_e64 v4, v4, 0xffffff8a, vcc_lo
	v_xor_b32_e32 v5, 1, v5
	v_add_nc_u32_e32 v4, v28, v4
	v_bfe_u32 v28, v29, 20, 1
	v_add_nc_u32_e32 v28, -1, v28
	v_cndmask_b32_e64 v28, 0, v28, s16
	s_mov_b32 s16, exec_lo
	v_add_nc_u32_e32 v28, v28, v29
	v_and_b32_e32 v28, 0xfffff, v28
	v_add_nc_u32_e32 v28, v28, v29
                                        ; implicit-def: $vgpr29
	v_cmpx_ne_u32_e64 v4, v5
	s_xor_b32 s16, exec_lo, s16
; %bb.855:                              ;   in Loop: Header=BB6_356 Depth=4
	v_cmp_lt_u32_e32 vcc_lo, 0xffffff, v28
	v_sub_nc_u32_e32 v4, v4, v5
	v_cndmask_b32_e64 v5, 0, 1, vcc_lo
	v_add_co_ci_u32_e64 v29, null, 0, v4, vcc_lo
	v_lshrrev_b32_e32 v28, v5, v28
; %bb.856:                              ;   in Loop: Header=BB6_356 Depth=4
	s_andn2_saveexec_b32 s16, s16
; %bb.857:                              ;   in Loop: Header=BB6_356 Depth=4
	v_bfe_u32 v29, v28, 23, 1
; %bb.858:                              ;   in Loop: Header=BB6_356 Depth=4
	s_or_b32 exec_lo, exec_lo, s16
	v_lshrrev_b32_e32 v4, 20, v28
	v_min_i32_e32 v5, 15, v29
	v_cmp_gt_i32_e32 vcc_lo, 16, v29
	v_and_b32_sdwa v1, v1, v62 dst_sel:DWORD dst_unused:UNUSED_PAD src0_sel:BYTE_3 src1_sel:DWORD
	v_lshlrev_b32_e32 v5, 3, v5
	v_cndmask_b32_e32 v4, 7, v4, vcc_lo
	v_and_b32_e32 v5, 0xf8, v5
	v_or_b32_e32 v28, v29, v4
	v_and_b32_e32 v4, 7, v4
	v_cmp_ne_u32_e32 vcc_lo, 0, v28
	v_or3_b32 v1, v1, v5, v4
	v_lshlrev_b32_e32 v1, 8, v1
	v_cndmask_b32_e32 v52, 0, v1, vcc_lo
.LBB6_859:                              ;   in Loop: Header=BB6_356 Depth=4
	s_or_b32 exec_lo, exec_lo, s73
.LBB6_860:                              ;   in Loop: Header=BB6_356 Depth=4
	s_or_b32 exec_lo, exec_lo, s72
	v_and_b32_sdwa v1, v51, v72 dst_sel:DWORD dst_unused:UNUSED_PAD src0_sel:WORD_1 src1_sel:DWORD
	s_and_b32 vcc_lo, exec_lo, s63
	s_mov_b32 s72, -1
                                        ; implicit-def: $vgpr4
	v_cmp_lt_i16_e64 s16, 0x7f, v1
	s_cbranch_vccz .LBB6_874
; %bb.861:                              ;   in Loop: Header=BB6_356 Depth=4
	s_mov_b32 s72, 0
	s_and_saveexec_b32 s73, s16
	s_xor_b32 s16, exec_lo, s73
	s_cbranch_execz .LBB6_2770
; %bb.862:                              ;   in Loop: Header=BB6_356 Depth=4
	s_mov_b32 s72, -1
	s_mov_b32 s73, exec_lo
	v_cmpx_eq_u16_e32 0x80, v1
; %bb.863:                              ;   in Loop: Header=BB6_356 Depth=4
	s_xor_b32 s72, exec_lo, -1
; %bb.864:                              ;   in Loop: Header=BB6_356 Depth=4
	s_or_b32 exec_lo, exec_lo, s73
	s_and_b32 s72, s72, exec_lo
	s_or_saveexec_b32 s16, s16
	v_mov_b32_e32 v4, 0x7f800001
	s_xor_b32 exec_lo, exec_lo, s16
	s_cbranch_execnz .LBB6_2771
.LBB6_865:                              ;   in Loop: Header=BB6_356 Depth=4
	s_or_b32 exec_lo, exec_lo, s16
	s_and_saveexec_b32 s16, s72
	s_cbranch_execz .LBB6_867
.LBB6_866:                              ;   in Loop: Header=BB6_356 Depth=4
	v_bfe_u32 v4, v51, 16, 3
	v_bfe_u32 v5, v51, 19, 4
	v_ffbh_u32_e32 v28, v4
	v_cmp_eq_u32_e32 vcc_lo, 0, v5
	v_min_u32_e32 v28, 32, v28
	v_subrev_nc_u32_e32 v29, 28, v28
	v_sub_nc_u32_e32 v28, 29, v28
	v_lshlrev_b32_sdwa v29, v29, v51 dst_sel:DWORD dst_unused:UNUSED_PAD src0_sel:DWORD src1_sel:WORD_1
	v_cndmask_b32_e32 v5, v5, v28, vcc_lo
	v_lshlrev_b32_sdwa v28, v73, v51 dst_sel:DWORD dst_unused:UNUSED_PAD src0_sel:DWORD src1_sel:WORD_1
	v_and_b32_e32 v29, 7, v29
	v_lshl_add_u32 v5, v5, 23, 0x3b800000
	v_and_b32_e32 v28, 0x80000000, v28
	v_cndmask_b32_e32 v4, v4, v29, vcc_lo
	v_lshlrev_b32_e32 v4, 20, v4
	v_or3_b32 v4, v28, v5, v4
.LBB6_867:                              ;   in Loop: Header=BB6_356 Depth=4
	s_or_b32 exec_lo, exec_lo, s16
	v_and_b32_sdwa v28, v39, v72 dst_sel:DWORD dst_unused:UNUSED_PAD src0_sel:WORD_1 src1_sel:DWORD
	s_mov_b32 s72, 0
	s_mov_b32 s16, exec_lo
	v_cmpx_lt_i16_e32 0x7f, v28
	s_xor_b32 s16, exec_lo, s16
	s_cbranch_execz .LBB6_2772
; %bb.868:                              ;   in Loop: Header=BB6_356 Depth=4
	s_mov_b32 s72, -1
	s_mov_b32 s73, exec_lo
	v_cmpx_eq_u16_e32 0x80, v28
; %bb.869:                              ;   in Loop: Header=BB6_356 Depth=4
	s_xor_b32 s72, exec_lo, -1
; %bb.870:                              ;   in Loop: Header=BB6_356 Depth=4
	s_or_b32 exec_lo, exec_lo, s73
	s_and_b32 s72, s72, exec_lo
                                        ; implicit-def: $vgpr28
	s_or_saveexec_b32 s16, s16
	v_mov_b32_e32 v5, 0x7f800001
	s_xor_b32 exec_lo, exec_lo, s16
	s_cbranch_execnz .LBB6_2773
.LBB6_871:                              ;   in Loop: Header=BB6_356 Depth=4
	s_or_b32 exec_lo, exec_lo, s16
	s_and_saveexec_b32 s16, s72
	s_cbranch_execz .LBB6_873
.LBB6_872:                              ;   in Loop: Header=BB6_356 Depth=4
	v_bfe_u32 v5, v39, 16, 3
	v_bfe_u32 v28, v39, 19, 4
	v_ffbh_u32_e32 v29, v5
	v_cmp_eq_u32_e32 vcc_lo, 0, v28
	v_min_u32_e32 v29, 32, v29
	v_subrev_nc_u32_e32 v30, 28, v29
	v_sub_nc_u32_e32 v29, 29, v29
	v_lshlrev_b32_sdwa v30, v30, v39 dst_sel:DWORD dst_unused:UNUSED_PAD src0_sel:DWORD src1_sel:WORD_1
	v_cndmask_b32_e32 v28, v28, v29, vcc_lo
	v_lshlrev_b32_sdwa v29, v73, v39 dst_sel:DWORD dst_unused:UNUSED_PAD src0_sel:DWORD src1_sel:WORD_1
	v_and_b32_e32 v30, 7, v30
	v_lshl_add_u32 v28, v28, 23, 0x3b800000
	v_and_b32_e32 v29, 0x80000000, v29
	v_cndmask_b32_e32 v5, v5, v30, vcc_lo
	v_lshlrev_b32_e32 v5, 20, v5
	v_or3_b32 v5, v29, v28, v5
.LBB6_873:                              ;   in Loop: Header=BB6_356 Depth=4
	s_or_b32 exec_lo, exec_lo, s16
	v_max_f32_e32 v5, v5, v5
	v_max_f32_e32 v4, v4, v4
	s_mov_b32 s72, 0
	v_max_f32_e32 v4, v4, v5
.LBB6_874:                              ;   in Loop: Header=BB6_356 Depth=4
	s_and_b32 vcc_lo, exec_lo, s72
	s_cbranch_vccz .LBB6_888
; %bb.875:                              ;   in Loop: Header=BB6_356 Depth=4
	s_mov_b32 s72, 0
	s_mov_b32 s16, exec_lo
	v_cmpx_lt_i16_e32 0x7f, v1
	s_xor_b32 s16, exec_lo, s16
	s_cbranch_execz .LBB6_2774
; %bb.876:                              ;   in Loop: Header=BB6_356 Depth=4
	s_mov_b32 s72, -1
	s_mov_b32 s73, exec_lo
	v_cmpx_eq_u16_e32 0x80, v1
; %bb.877:                              ;   in Loop: Header=BB6_356 Depth=4
	s_xor_b32 s72, exec_lo, -1
; %bb.878:                              ;   in Loop: Header=BB6_356 Depth=4
	s_or_b32 exec_lo, exec_lo, s73
	s_and_b32 s72, s72, exec_lo
                                        ; implicit-def: $vgpr1
	s_or_saveexec_b32 s16, s16
	v_mov_b32_e32 v4, 0x7f800001
	s_xor_b32 exec_lo, exec_lo, s16
	s_cbranch_execnz .LBB6_2775
.LBB6_879:                              ;   in Loop: Header=BB6_356 Depth=4
	s_or_b32 exec_lo, exec_lo, s16
	s_and_saveexec_b32 s16, s72
	s_cbranch_execz .LBB6_881
.LBB6_880:                              ;   in Loop: Header=BB6_356 Depth=4
	v_bfe_u32 v1, v51, 16, 3
	v_bfe_u32 v4, v51, 19, 4
	v_ffbh_u32_e32 v5, v1
	v_cmp_eq_u32_e32 vcc_lo, 0, v4
	v_min_u32_e32 v5, 32, v5
	v_subrev_nc_u32_e32 v28, 28, v5
	v_sub_nc_u32_e32 v5, 29, v5
	v_lshlrev_b32_sdwa v28, v28, v51 dst_sel:DWORD dst_unused:UNUSED_PAD src0_sel:DWORD src1_sel:WORD_1
	v_cndmask_b32_e32 v4, v4, v5, vcc_lo
	v_lshlrev_b32_sdwa v5, v73, v51 dst_sel:DWORD dst_unused:UNUSED_PAD src0_sel:DWORD src1_sel:WORD_1
	v_and_b32_e32 v28, 7, v28
	v_lshl_add_u32 v4, v4, 23, 0x3b800000
	v_and_b32_e32 v5, 0x80000000, v5
	v_cndmask_b32_e32 v1, v1, v28, vcc_lo
	v_lshlrev_b32_e32 v1, 20, v1
	v_or3_b32 v4, v5, v4, v1
.LBB6_881:                              ;   in Loop: Header=BB6_356 Depth=4
	s_or_b32 exec_lo, exec_lo, s16
	v_and_b32_sdwa v5, v39, v72 dst_sel:DWORD dst_unused:UNUSED_PAD src0_sel:WORD_1 src1_sel:DWORD
	s_mov_b32 s72, 0
	s_mov_b32 s16, exec_lo
	v_cmpx_lt_i16_e32 0x7f, v5
	s_xor_b32 s16, exec_lo, s16
	s_cbranch_execz .LBB6_2776
; %bb.882:                              ;   in Loop: Header=BB6_356 Depth=4
	s_mov_b32 s72, -1
	s_mov_b32 s73, exec_lo
	v_cmpx_eq_u16_e32 0x80, v5
; %bb.883:                              ;   in Loop: Header=BB6_356 Depth=4
	s_xor_b32 s72, exec_lo, -1
; %bb.884:                              ;   in Loop: Header=BB6_356 Depth=4
	s_or_b32 exec_lo, exec_lo, s73
	s_and_b32 s72, s72, exec_lo
                                        ; implicit-def: $vgpr5
	s_or_saveexec_b32 s16, s16
	v_mov_b32_e32 v1, 0x7f800001
	s_xor_b32 exec_lo, exec_lo, s16
	s_cbranch_execnz .LBB6_2777
.LBB6_885:                              ;   in Loop: Header=BB6_356 Depth=4
	s_or_b32 exec_lo, exec_lo, s16
	s_and_saveexec_b32 s16, s72
	s_cbranch_execz .LBB6_887
.LBB6_886:                              ;   in Loop: Header=BB6_356 Depth=4
	v_bfe_u32 v1, v39, 16, 3
	v_bfe_u32 v5, v39, 19, 4
	v_ffbh_u32_e32 v28, v1
	v_cmp_eq_u32_e32 vcc_lo, 0, v5
	v_min_u32_e32 v28, 32, v28
	v_subrev_nc_u32_e32 v29, 28, v28
	v_sub_nc_u32_e32 v28, 29, v28
	v_lshlrev_b32_sdwa v29, v29, v39 dst_sel:DWORD dst_unused:UNUSED_PAD src0_sel:DWORD src1_sel:WORD_1
	v_cndmask_b32_e32 v5, v5, v28, vcc_lo
	v_lshlrev_b32_sdwa v28, v73, v39 dst_sel:DWORD dst_unused:UNUSED_PAD src0_sel:DWORD src1_sel:WORD_1
	v_and_b32_e32 v29, 7, v29
	v_lshl_add_u32 v5, v5, 23, 0x3b800000
	v_and_b32_e32 v28, 0x80000000, v28
	v_cndmask_b32_e32 v1, v1, v29, vcc_lo
	v_lshlrev_b32_e32 v1, 20, v1
	v_or3_b32 v1, v28, v5, v1
.LBB6_887:                              ;   in Loop: Header=BB6_356 Depth=4
	s_or_b32 exec_lo, exec_lo, s16
	v_max_f32_e32 v1, v1, v1
	v_max_f32_e32 v4, v4, v4
	v_min_f32_e32 v4, v4, v1
.LBB6_888:                              ;   in Loop: Header=BB6_356 Depth=4
	v_and_b32_e32 v1, 0x7f800000, v4
	v_mov_b32_e32 v53, 0x80
	s_mov_b32 s72, exec_lo
	v_cmpx_ne_u32_e32 0x7f800000, v1
	s_cbranch_execz .LBB6_896
; %bb.889:                              ;   in Loop: Header=BB6_356 Depth=4
	v_mov_b32_e32 v53, 0
	s_mov_b32 s73, exec_lo
	v_cmpx_ne_u32_e32 0, v4
	s_cbranch_execz .LBB6_895
; %bb.890:                              ;   in Loop: Header=BB6_356 Depth=4
	v_bfe_u32 v5, v4, 23, 8
	v_and_b32_e32 v1, 0x7fffff, v4
	v_cmp_gt_u32_e64 s16, 0x79, v5
	v_sub_nc_u32_e32 v28, 0x78, v5
	v_cmp_eq_u32_e32 vcc_lo, 0, v5
	v_or_b32_e32 v29, 0x800000, v1
	v_cndmask_b32_e64 v28, 0, v28, s16
	v_cndmask_b32_e32 v1, v29, v1, vcc_lo
	v_cndmask_b32_e64 v28, v28, 0x77, vcc_lo
	v_lshl_add_u32 v29, 0x100000, v28, -1
	v_lshlrev_b32_e64 v30, v28, 0x80000
	v_and_b32_e32 v29, v29, v1
	v_cmp_eq_u32_e64 s16, v29, v30
	v_lshrrev_b32_e32 v29, v28, v1
	v_add_nc_u32_e32 v1, 0xffffff89, v5
	v_lshrrev_b32_e32 v5, 23, v29
	v_cndmask_b32_e64 v1, v1, 0xffffff8a, vcc_lo
	v_xor_b32_e32 v5, 1, v5
	v_add_nc_u32_e32 v1, v28, v1
	v_bfe_u32 v28, v29, 20, 1
	v_add_nc_u32_e32 v28, -1, v28
	v_cndmask_b32_e64 v28, 0, v28, s16
	s_mov_b32 s16, exec_lo
	v_add_nc_u32_e32 v28, v28, v29
	v_and_b32_e32 v28, 0xfffff, v28
	v_add_nc_u32_e32 v28, v28, v29
                                        ; implicit-def: $vgpr29
	v_cmpx_ne_u32_e64 v1, v5
	s_xor_b32 s16, exec_lo, s16
; %bb.891:                              ;   in Loop: Header=BB6_356 Depth=4
	v_cmp_lt_u32_e32 vcc_lo, 0xffffff, v28
	v_sub_nc_u32_e32 v1, v1, v5
	v_cndmask_b32_e64 v5, 0, 1, vcc_lo
	v_add_co_ci_u32_e64 v29, null, 0, v1, vcc_lo
	v_lshrrev_b32_e32 v28, v5, v28
; %bb.892:                              ;   in Loop: Header=BB6_356 Depth=4
	s_andn2_saveexec_b32 s16, s16
; %bb.893:                              ;   in Loop: Header=BB6_356 Depth=4
	v_bfe_u32 v29, v28, 23, 1
; %bb.894:                              ;   in Loop: Header=BB6_356 Depth=4
	s_or_b32 exec_lo, exec_lo, s16
	v_and_b32_sdwa v1, v4, v62 dst_sel:DWORD dst_unused:UNUSED_PAD src0_sel:BYTE_3 src1_sel:DWORD
	v_lshrrev_b32_e32 v4, 20, v28
	v_min_i32_e32 v5, 15, v29
	v_cmp_gt_i32_e32 vcc_lo, 16, v29
	v_lshlrev_b32_e32 v5, 3, v5
	v_cndmask_b32_e32 v4, 7, v4, vcc_lo
	v_and_b32_e32 v5, 0xf8, v5
	v_or_b32_e32 v28, v29, v4
	v_and_b32_e32 v4, 7, v4
	v_cmp_ne_u32_e32 vcc_lo, 0, v28
	v_or3_b32 v1, v5, v1, v4
	v_cndmask_b32_e32 v53, 0, v1, vcc_lo
.LBB6_895:                              ;   in Loop: Header=BB6_356 Depth=4
	s_or_b32 exec_lo, exec_lo, s73
.LBB6_896:                              ;   in Loop: Header=BB6_356 Depth=4
	s_or_b32 exec_lo, exec_lo, s72
	v_cmp_gt_i16_sdwa s73, v51, v61 src0_sel:BYTE_3 src1_sel:DWORD
	s_and_b32 vcc_lo, exec_lo, s63
	s_mov_b32 s16, -1
                                        ; implicit-def: $vgpr1
	s_cbranch_vccz .LBB6_910
; %bb.897:                              ;   in Loop: Header=BB6_356 Depth=4
	s_mov_b32 s72, 0
	s_and_saveexec_b32 s16, s73
	s_xor_b32 s16, exec_lo, s16
	s_cbranch_execz .LBB6_2778
; %bb.898:                              ;   in Loop: Header=BB6_356 Depth=4
	v_cmp_eq_u16_sdwa s74, v51, v62 src0_sel:BYTE_3 src1_sel:DWORD
	s_mov_b32 s72, -1
	s_and_saveexec_b32 s73, s74
; %bb.899:                              ;   in Loop: Header=BB6_356 Depth=4
	s_xor_b32 s72, exec_lo, -1
; %bb.900:                              ;   in Loop: Header=BB6_356 Depth=4
	s_or_b32 exec_lo, exec_lo, s73
	s_and_b32 s72, s72, exec_lo
	s_or_saveexec_b32 s16, s16
	v_mov_b32_e32 v1, 0x7f800001
	s_xor_b32 exec_lo, exec_lo, s16
	s_cbranch_execnz .LBB6_2779
.LBB6_901:                              ;   in Loop: Header=BB6_356 Depth=4
	s_or_b32 exec_lo, exec_lo, s16
	s_and_saveexec_b32 s16, s72
	s_cbranch_execz .LBB6_903
.LBB6_902:                              ;   in Loop: Header=BB6_356 Depth=4
	v_bfe_u32 v1, v51, 24, 3
	v_bfe_u32 v28, v51, 27, 4
	v_ffbh_u32_e32 v4, v1
	v_cmp_eq_u32_e32 vcc_lo, 0, v28
	v_min_u32_e32 v4, 32, v4
	v_subrev_nc_u32_e32 v5, 28, v4
	v_sub_nc_u32_e32 v4, 29, v4
	v_lshlrev_b32_sdwa v5, v5, v51 dst_sel:DWORD dst_unused:UNUSED_PAD src0_sel:DWORD src1_sel:BYTE_3
	v_cndmask_b32_e32 v4, v28, v4, vcc_lo
	v_and_b32_e32 v5, 7, v5
	v_lshl_add_u32 v4, v4, 23, 0x3b800000
	v_cndmask_b32_e32 v1, v1, v5, vcc_lo
	v_and_b32_e32 v5, 0x80000000, v51
	v_lshlrev_b32_e32 v1, 20, v1
	v_or3_b32 v1, v5, v4, v1
.LBB6_903:                              ;   in Loop: Header=BB6_356 Depth=4
	s_or_b32 exec_lo, exec_lo, s16
	v_cmp_gt_i16_sdwa s16, v39, v61 src0_sel:BYTE_3 src1_sel:DWORD
	s_mov_b32 s72, 0
	s_and_saveexec_b32 s73, s16
	s_xor_b32 s16, exec_lo, s73
	s_cbranch_execz .LBB6_2780
; %bb.904:                              ;   in Loop: Header=BB6_356 Depth=4
	v_cmp_eq_u16_sdwa s74, v39, v62 src0_sel:BYTE_3 src1_sel:DWORD
	s_mov_b32 s72, -1
	s_and_saveexec_b32 s73, s74
; %bb.905:                              ;   in Loop: Header=BB6_356 Depth=4
	s_xor_b32 s72, exec_lo, -1
; %bb.906:                              ;   in Loop: Header=BB6_356 Depth=4
	s_or_b32 exec_lo, exec_lo, s73
	s_and_b32 s72, s72, exec_lo
	s_or_saveexec_b32 s16, s16
	v_mov_b32_e32 v4, 0x7f800001
	s_xor_b32 exec_lo, exec_lo, s16
	s_cbranch_execnz .LBB6_2781
.LBB6_907:                              ;   in Loop: Header=BB6_356 Depth=4
	s_or_b32 exec_lo, exec_lo, s16
	s_and_saveexec_b32 s16, s72
	s_cbranch_execz .LBB6_909
.LBB6_908:                              ;   in Loop: Header=BB6_356 Depth=4
	v_bfe_u32 v4, v39, 24, 3
	v_bfe_u32 v29, v39, 27, 4
	v_ffbh_u32_e32 v5, v4
	v_cmp_eq_u32_e32 vcc_lo, 0, v29
	v_min_u32_e32 v5, 32, v5
	v_subrev_nc_u32_e32 v28, 28, v5
	v_sub_nc_u32_e32 v5, 29, v5
	v_lshlrev_b32_sdwa v28, v28, v39 dst_sel:DWORD dst_unused:UNUSED_PAD src0_sel:DWORD src1_sel:BYTE_3
	v_cndmask_b32_e32 v5, v29, v5, vcc_lo
	v_and_b32_e32 v28, 7, v28
	v_lshl_add_u32 v5, v5, 23, 0x3b800000
	v_cndmask_b32_e32 v4, v4, v28, vcc_lo
	v_and_b32_e32 v28, 0x80000000, v39
	v_lshlrev_b32_e32 v4, 20, v4
	v_or3_b32 v4, v28, v5, v4
.LBB6_909:                              ;   in Loop: Header=BB6_356 Depth=4
	s_or_b32 exec_lo, exec_lo, s16
	v_max_f32_e32 v4, v4, v4
	v_max_f32_e32 v1, v1, v1
	s_mov_b32 s16, 0
	v_max_f32_e32 v1, v1, v4
.LBB6_910:                              ;   in Loop: Header=BB6_356 Depth=4
	s_and_b32 vcc_lo, exec_lo, s16
	s_cbranch_vccz .LBB6_924
; %bb.911:                              ;   in Loop: Header=BB6_356 Depth=4
	v_cmp_gt_i16_sdwa s16, v51, v61 src0_sel:BYTE_3 src1_sel:DWORD
	s_mov_b32 s72, 0
	s_and_saveexec_b32 s73, s16
	s_xor_b32 s16, exec_lo, s73
	s_cbranch_execz .LBB6_2782
; %bb.912:                              ;   in Loop: Header=BB6_356 Depth=4
	v_cmp_eq_u16_sdwa s74, v51, v62 src0_sel:BYTE_3 src1_sel:DWORD
	s_mov_b32 s72, -1
	s_and_saveexec_b32 s73, s74
; %bb.913:                              ;   in Loop: Header=BB6_356 Depth=4
	s_xor_b32 s72, exec_lo, -1
; %bb.914:                              ;   in Loop: Header=BB6_356 Depth=4
	s_or_b32 exec_lo, exec_lo, s73
	s_and_b32 s72, s72, exec_lo
	s_or_saveexec_b32 s16, s16
	v_mov_b32_e32 v1, 0x7f800001
	s_xor_b32 exec_lo, exec_lo, s16
	s_cbranch_execnz .LBB6_2783
.LBB6_915:                              ;   in Loop: Header=BB6_356 Depth=4
	s_or_b32 exec_lo, exec_lo, s16
	s_and_saveexec_b32 s16, s72
	s_cbranch_execz .LBB6_917
.LBB6_916:                              ;   in Loop: Header=BB6_356 Depth=4
	v_bfe_u32 v1, v51, 24, 3
	v_bfe_u32 v28, v51, 27, 4
	v_ffbh_u32_e32 v4, v1
	v_cmp_eq_u32_e32 vcc_lo, 0, v28
	v_min_u32_e32 v4, 32, v4
	v_subrev_nc_u32_e32 v5, 28, v4
	v_sub_nc_u32_e32 v4, 29, v4
	v_lshlrev_b32_sdwa v5, v5, v51 dst_sel:DWORD dst_unused:UNUSED_PAD src0_sel:DWORD src1_sel:BYTE_3
	v_cndmask_b32_e32 v4, v28, v4, vcc_lo
	v_and_b32_e32 v5, 7, v5
	v_lshl_add_u32 v4, v4, 23, 0x3b800000
	v_cndmask_b32_e32 v1, v1, v5, vcc_lo
	v_and_b32_e32 v5, 0x80000000, v51
	v_lshlrev_b32_e32 v1, 20, v1
	v_or3_b32 v1, v5, v4, v1
.LBB6_917:                              ;   in Loop: Header=BB6_356 Depth=4
	s_or_b32 exec_lo, exec_lo, s16
	v_cmp_gt_i16_sdwa s16, v39, v61 src0_sel:BYTE_3 src1_sel:DWORD
	s_mov_b32 s72, 0
	s_and_saveexec_b32 s73, s16
	s_xor_b32 s16, exec_lo, s73
	s_cbranch_execz .LBB6_2784
; %bb.918:                              ;   in Loop: Header=BB6_356 Depth=4
	v_cmp_eq_u16_sdwa s74, v39, v62 src0_sel:BYTE_3 src1_sel:DWORD
	s_mov_b32 s72, -1
	s_and_saveexec_b32 s73, s74
; %bb.919:                              ;   in Loop: Header=BB6_356 Depth=4
	s_xor_b32 s72, exec_lo, -1
; %bb.920:                              ;   in Loop: Header=BB6_356 Depth=4
	s_or_b32 exec_lo, exec_lo, s73
	s_and_b32 s72, s72, exec_lo
	s_or_saveexec_b32 s16, s16
	v_mov_b32_e32 v4, 0x7f800001
	s_xor_b32 exec_lo, exec_lo, s16
	s_cbranch_execnz .LBB6_2785
.LBB6_921:                              ;   in Loop: Header=BB6_356 Depth=4
	s_or_b32 exec_lo, exec_lo, s16
	s_and_saveexec_b32 s16, s72
	s_cbranch_execz .LBB6_923
.LBB6_922:                              ;   in Loop: Header=BB6_356 Depth=4
	v_bfe_u32 v4, v39, 24, 3
	v_bfe_u32 v29, v39, 27, 4
	v_ffbh_u32_e32 v5, v4
	v_cmp_eq_u32_e32 vcc_lo, 0, v29
	v_min_u32_e32 v5, 32, v5
	v_subrev_nc_u32_e32 v28, 28, v5
	v_sub_nc_u32_e32 v5, 29, v5
	v_lshlrev_b32_sdwa v28, v28, v39 dst_sel:DWORD dst_unused:UNUSED_PAD src0_sel:DWORD src1_sel:BYTE_3
	v_cndmask_b32_e32 v5, v29, v5, vcc_lo
	v_and_b32_e32 v28, 7, v28
	v_lshl_add_u32 v5, v5, 23, 0x3b800000
	v_cndmask_b32_e32 v4, v4, v28, vcc_lo
	v_and_b32_e32 v28, 0x80000000, v39
	v_lshlrev_b32_e32 v4, 20, v4
	v_or3_b32 v4, v28, v5, v4
.LBB6_923:                              ;   in Loop: Header=BB6_356 Depth=4
	s_or_b32 exec_lo, exec_lo, s16
	v_max_f32_e32 v4, v4, v4
	v_max_f32_e32 v1, v1, v1
	v_min_f32_e32 v1, v1, v4
.LBB6_924:                              ;   in Loop: Header=BB6_356 Depth=4
	v_and_b32_e32 v4, 0x7f800000, v1
	v_mov_b32_e32 v39, 0x8000
	s_mov_b32 s72, exec_lo
	v_cmpx_ne_u32_e32 0x7f800000, v4
	s_cbranch_execz .LBB6_932
; %bb.925:                              ;   in Loop: Header=BB6_356 Depth=4
	v_mov_b32_e32 v39, 0
	s_mov_b32 s73, exec_lo
	v_cmpx_ne_u32_e32 0, v1
	s_cbranch_execz .LBB6_931
; %bb.926:                              ;   in Loop: Header=BB6_356 Depth=4
	v_bfe_u32 v5, v1, 23, 8
	v_and_b32_e32 v4, 0x7fffff, v1
	v_cmp_gt_u32_e64 s16, 0x79, v5
	v_sub_nc_u32_e32 v28, 0x78, v5
	v_cmp_eq_u32_e32 vcc_lo, 0, v5
	v_or_b32_e32 v29, 0x800000, v4
	v_cndmask_b32_e64 v28, 0, v28, s16
	v_cndmask_b32_e32 v4, v29, v4, vcc_lo
	v_cndmask_b32_e64 v28, v28, 0x77, vcc_lo
	v_lshl_add_u32 v29, 0x100000, v28, -1
	v_lshlrev_b32_e64 v30, v28, 0x80000
	v_and_b32_e32 v29, v29, v4
	v_cmp_eq_u32_e64 s16, v29, v30
	v_lshrrev_b32_e32 v29, v28, v4
	v_add_nc_u32_e32 v4, 0xffffff89, v5
	v_lshrrev_b32_e32 v5, 23, v29
	v_cndmask_b32_e64 v4, v4, 0xffffff8a, vcc_lo
	v_xor_b32_e32 v5, 1, v5
	v_add_nc_u32_e32 v4, v28, v4
	v_bfe_u32 v28, v29, 20, 1
	v_add_nc_u32_e32 v28, -1, v28
	v_cndmask_b32_e64 v28, 0, v28, s16
	s_mov_b32 s16, exec_lo
	v_add_nc_u32_e32 v28, v28, v29
	v_and_b32_e32 v28, 0xfffff, v28
	v_add_nc_u32_e32 v28, v28, v29
                                        ; implicit-def: $vgpr29
	v_cmpx_ne_u32_e64 v4, v5
	s_xor_b32 s16, exec_lo, s16
; %bb.927:                              ;   in Loop: Header=BB6_356 Depth=4
	v_cmp_lt_u32_e32 vcc_lo, 0xffffff, v28
	v_sub_nc_u32_e32 v4, v4, v5
	v_cndmask_b32_e64 v5, 0, 1, vcc_lo
	v_add_co_ci_u32_e64 v29, null, 0, v4, vcc_lo
	v_lshrrev_b32_e32 v28, v5, v28
; %bb.928:                              ;   in Loop: Header=BB6_356 Depth=4
	s_andn2_saveexec_b32 s16, s16
; %bb.929:                              ;   in Loop: Header=BB6_356 Depth=4
	v_bfe_u32 v29, v28, 23, 1
; %bb.930:                              ;   in Loop: Header=BB6_356 Depth=4
	s_or_b32 exec_lo, exec_lo, s16
	v_lshrrev_b32_e32 v4, 20, v28
	v_min_i32_e32 v5, 15, v29
	v_cmp_gt_i32_e32 vcc_lo, 16, v29
	v_and_b32_sdwa v1, v1, v62 dst_sel:DWORD dst_unused:UNUSED_PAD src0_sel:BYTE_3 src1_sel:DWORD
	v_lshlrev_b32_e32 v5, 3, v5
	v_cndmask_b32_e32 v4, 7, v4, vcc_lo
	v_and_b32_e32 v5, 0xf8, v5
	v_or_b32_e32 v28, v29, v4
	v_and_b32_e32 v4, 7, v4
	v_cmp_ne_u32_e32 vcc_lo, 0, v28
	v_or3_b32 v1, v1, v5, v4
	v_lshlrev_b32_e32 v1, 8, v1
	v_cndmask_b32_e32 v39, 0, v1, vcc_lo
.LBB6_931:                              ;   in Loop: Header=BB6_356 Depth=4
	s_or_b32 exec_lo, exec_lo, s73
.LBB6_932:                              ;   in Loop: Header=BB6_356 Depth=4
	s_or_b32 exec_lo, exec_lo, s72
	v_cmp_gt_i16_sdwa s73, v32, v61 src0_sel:BYTE_0 src1_sel:DWORD
	s_andn2_b32 vcc_lo, exec_lo, s63
	s_mov_b32 s16, -1
                                        ; implicit-def: $vgpr1
	s_cbranch_vccnz .LBB6_946
; %bb.933:                              ;   in Loop: Header=BB6_356 Depth=4
	s_mov_b32 s72, 0
	s_and_saveexec_b32 s16, s73
	s_xor_b32 s16, exec_lo, s16
	s_cbranch_execz .LBB6_2786
; %bb.934:                              ;   in Loop: Header=BB6_356 Depth=4
	v_cmp_eq_u16_sdwa s74, v32, v62 src0_sel:BYTE_0 src1_sel:DWORD
	s_mov_b32 s72, -1
	s_and_saveexec_b32 s73, s74
; %bb.935:                              ;   in Loop: Header=BB6_356 Depth=4
	s_xor_b32 s72, exec_lo, -1
; %bb.936:                              ;   in Loop: Header=BB6_356 Depth=4
	s_or_b32 exec_lo, exec_lo, s73
	s_and_b32 s72, s72, exec_lo
	s_or_saveexec_b32 s16, s16
	v_mov_b32_e32 v1, 0x7f800001
	s_xor_b32 exec_lo, exec_lo, s16
	s_cbranch_execnz .LBB6_2787
.LBB6_937:                              ;   in Loop: Header=BB6_356 Depth=4
	s_or_b32 exec_lo, exec_lo, s16
	s_and_saveexec_b32 s16, s72
	s_cbranch_execz .LBB6_939
.LBB6_938:                              ;   in Loop: Header=BB6_356 Depth=4
	v_and_b32_e32 v1, 7, v32
	v_bfe_u32 v4, v32, 3, 4
	v_ffbh_u32_e32 v5, v1
	v_cmp_eq_u32_e32 vcc_lo, 0, v4
	v_min_u32_e32 v5, 32, v5
	v_subrev_nc_u32_e32 v28, 28, v5
	v_sub_nc_u32_e32 v5, 29, v5
	v_lshlrev_b32_e32 v28, v28, v32
	v_cndmask_b32_e32 v4, v4, v5, vcc_lo
	v_lshlrev_b32_e32 v5, 24, v32
	v_and_b32_e32 v28, 7, v28
	v_lshl_add_u32 v4, v4, 23, 0x3b800000
	v_and_b32_e32 v5, 0x80000000, v5
	v_cndmask_b32_e32 v1, v1, v28, vcc_lo
	v_lshlrev_b32_e32 v1, 20, v1
	v_or3_b32 v1, v5, v4, v1
.LBB6_939:                              ;   in Loop: Header=BB6_356 Depth=4
	s_or_b32 exec_lo, exec_lo, s16
	s_waitcnt vmcnt(2)
	v_cmp_gt_i16_sdwa s16, v24, v61 src0_sel:BYTE_0 src1_sel:DWORD
	s_mov_b32 s72, 0
	s_and_saveexec_b32 s73, s16
	s_xor_b32 s16, exec_lo, s73
	s_cbranch_execz .LBB6_2788
; %bb.940:                              ;   in Loop: Header=BB6_356 Depth=4
	v_cmp_eq_u16_sdwa s74, v24, v62 src0_sel:BYTE_0 src1_sel:DWORD
	s_mov_b32 s72, -1
	s_and_saveexec_b32 s73, s74
; %bb.941:                              ;   in Loop: Header=BB6_356 Depth=4
	s_xor_b32 s72, exec_lo, -1
; %bb.942:                              ;   in Loop: Header=BB6_356 Depth=4
	s_or_b32 exec_lo, exec_lo, s73
	s_and_b32 s72, s72, exec_lo
	s_or_saveexec_b32 s16, s16
	v_mov_b32_e32 v4, 0x7f800001
	s_xor_b32 exec_lo, exec_lo, s16
	s_cbranch_execnz .LBB6_2789
.LBB6_943:                              ;   in Loop: Header=BB6_356 Depth=4
	s_or_b32 exec_lo, exec_lo, s16
	s_and_saveexec_b32 s16, s72
	s_cbranch_execz .LBB6_945
.LBB6_944:                              ;   in Loop: Header=BB6_356 Depth=4
	v_and_b32_e32 v4, 7, v24
	v_bfe_u32 v5, v24, 3, 4
	v_ffbh_u32_e32 v28, v4
	v_cmp_eq_u32_e32 vcc_lo, 0, v5
	v_min_u32_e32 v28, 32, v28
	v_subrev_nc_u32_e32 v29, 28, v28
	v_sub_nc_u32_e32 v28, 29, v28
	v_lshlrev_b32_e32 v29, v29, v24
	v_cndmask_b32_e32 v5, v5, v28, vcc_lo
	v_lshlrev_b32_e32 v28, 24, v24
	v_and_b32_e32 v29, 7, v29
	v_lshl_add_u32 v5, v5, 23, 0x3b800000
	v_and_b32_e32 v28, 0x80000000, v28
	v_cndmask_b32_e32 v4, v4, v29, vcc_lo
	v_lshlrev_b32_e32 v4, 20, v4
	v_or3_b32 v4, v28, v5, v4
.LBB6_945:                              ;   in Loop: Header=BB6_356 Depth=4
	s_or_b32 exec_lo, exec_lo, s16
	v_max_f32_e32 v4, v4, v4
	v_max_f32_e32 v1, v1, v1
	s_mov_b32 s16, 0
	v_max_f32_e32 v1, v1, v4
.LBB6_946:                              ;   in Loop: Header=BB6_356 Depth=4
	s_and_b32 vcc_lo, exec_lo, s16
	s_cbranch_vccz .LBB6_960
; %bb.947:                              ;   in Loop: Header=BB6_356 Depth=4
	v_cmp_gt_i16_sdwa s16, v32, v61 src0_sel:BYTE_0 src1_sel:DWORD
	s_mov_b32 s72, 0
	s_and_saveexec_b32 s73, s16
	s_xor_b32 s16, exec_lo, s73
	s_cbranch_execz .LBB6_2790
; %bb.948:                              ;   in Loop: Header=BB6_356 Depth=4
	v_cmp_eq_u16_sdwa s74, v32, v62 src0_sel:BYTE_0 src1_sel:DWORD
	s_mov_b32 s72, -1
	s_and_saveexec_b32 s73, s74
; %bb.949:                              ;   in Loop: Header=BB6_356 Depth=4
	s_xor_b32 s72, exec_lo, -1
; %bb.950:                              ;   in Loop: Header=BB6_356 Depth=4
	s_or_b32 exec_lo, exec_lo, s73
	s_and_b32 s72, s72, exec_lo
	s_or_saveexec_b32 s16, s16
	v_mov_b32_e32 v1, 0x7f800001
	s_xor_b32 exec_lo, exec_lo, s16
	s_cbranch_execnz .LBB6_2791
.LBB6_951:                              ;   in Loop: Header=BB6_356 Depth=4
	s_or_b32 exec_lo, exec_lo, s16
	s_and_saveexec_b32 s16, s72
	s_cbranch_execz .LBB6_953
.LBB6_952:                              ;   in Loop: Header=BB6_356 Depth=4
	v_and_b32_e32 v1, 7, v32
	v_bfe_u32 v4, v32, 3, 4
	v_ffbh_u32_e32 v5, v1
	v_cmp_eq_u32_e32 vcc_lo, 0, v4
	v_min_u32_e32 v5, 32, v5
	v_subrev_nc_u32_e32 v28, 28, v5
	v_sub_nc_u32_e32 v5, 29, v5
	v_lshlrev_b32_e32 v28, v28, v32
	v_cndmask_b32_e32 v4, v4, v5, vcc_lo
	v_lshlrev_b32_e32 v5, 24, v32
	v_and_b32_e32 v28, 7, v28
	v_lshl_add_u32 v4, v4, 23, 0x3b800000
	v_and_b32_e32 v5, 0x80000000, v5
	v_cndmask_b32_e32 v1, v1, v28, vcc_lo
	v_lshlrev_b32_e32 v1, 20, v1
	v_or3_b32 v1, v5, v4, v1
.LBB6_953:                              ;   in Loop: Header=BB6_356 Depth=4
	s_or_b32 exec_lo, exec_lo, s16
	s_waitcnt vmcnt(2)
	v_cmp_gt_i16_sdwa s16, v24, v61 src0_sel:BYTE_0 src1_sel:DWORD
	s_mov_b32 s72, 0
	s_and_saveexec_b32 s73, s16
	s_xor_b32 s16, exec_lo, s73
	s_cbranch_execz .LBB6_2792
; %bb.954:                              ;   in Loop: Header=BB6_356 Depth=4
	v_cmp_eq_u16_sdwa s74, v24, v62 src0_sel:BYTE_0 src1_sel:DWORD
	s_mov_b32 s72, -1
	s_and_saveexec_b32 s73, s74
; %bb.955:                              ;   in Loop: Header=BB6_356 Depth=4
	s_xor_b32 s72, exec_lo, -1
; %bb.956:                              ;   in Loop: Header=BB6_356 Depth=4
	s_or_b32 exec_lo, exec_lo, s73
	s_and_b32 s72, s72, exec_lo
	s_or_saveexec_b32 s16, s16
	v_mov_b32_e32 v4, 0x7f800001
	s_xor_b32 exec_lo, exec_lo, s16
	s_cbranch_execnz .LBB6_2793
.LBB6_957:                              ;   in Loop: Header=BB6_356 Depth=4
	s_or_b32 exec_lo, exec_lo, s16
	s_and_saveexec_b32 s16, s72
	s_cbranch_execz .LBB6_959
.LBB6_958:                              ;   in Loop: Header=BB6_356 Depth=4
	v_and_b32_e32 v4, 7, v24
	v_bfe_u32 v5, v24, 3, 4
	v_ffbh_u32_e32 v28, v4
	v_cmp_eq_u32_e32 vcc_lo, 0, v5
	v_min_u32_e32 v28, 32, v28
	v_subrev_nc_u32_e32 v29, 28, v28
	v_sub_nc_u32_e32 v28, 29, v28
	v_lshlrev_b32_e32 v29, v29, v24
	v_cndmask_b32_e32 v5, v5, v28, vcc_lo
	v_lshlrev_b32_e32 v28, 24, v24
	v_and_b32_e32 v29, 7, v29
	v_lshl_add_u32 v5, v5, 23, 0x3b800000
	v_and_b32_e32 v28, 0x80000000, v28
	v_cndmask_b32_e32 v4, v4, v29, vcc_lo
	v_lshlrev_b32_e32 v4, 20, v4
	v_or3_b32 v4, v28, v5, v4
.LBB6_959:                              ;   in Loop: Header=BB6_356 Depth=4
	s_or_b32 exec_lo, exec_lo, s16
	v_max_f32_e32 v4, v4, v4
	v_max_f32_e32 v1, v1, v1
	v_min_f32_e32 v1, v1, v4
.LBB6_960:                              ;   in Loop: Header=BB6_356 Depth=4
	v_and_b32_e32 v4, 0x7f800000, v1
	v_mov_b32_e32 v51, 0x80
	s_mov_b32 s72, exec_lo
	v_cmpx_ne_u32_e32 0x7f800000, v4
	s_cbranch_execz .LBB6_968
; %bb.961:                              ;   in Loop: Header=BB6_356 Depth=4
	v_mov_b32_e32 v51, 0
	s_mov_b32 s73, exec_lo
	v_cmpx_ne_u32_e32 0, v1
	s_cbranch_execz .LBB6_967
; %bb.962:                              ;   in Loop: Header=BB6_356 Depth=4
	v_bfe_u32 v5, v1, 23, 8
	v_and_b32_e32 v4, 0x7fffff, v1
	v_cmp_gt_u32_e64 s16, 0x79, v5
	v_sub_nc_u32_e32 v28, 0x78, v5
	v_cmp_eq_u32_e32 vcc_lo, 0, v5
	v_or_b32_e32 v29, 0x800000, v4
	v_cndmask_b32_e64 v28, 0, v28, s16
	v_cndmask_b32_e32 v4, v29, v4, vcc_lo
	v_cndmask_b32_e64 v28, v28, 0x77, vcc_lo
	v_lshl_add_u32 v29, 0x100000, v28, -1
	v_lshlrev_b32_e64 v30, v28, 0x80000
	v_and_b32_e32 v29, v29, v4
	v_cmp_eq_u32_e64 s16, v29, v30
	v_lshrrev_b32_e32 v29, v28, v4
	v_add_nc_u32_e32 v4, 0xffffff89, v5
	v_lshrrev_b32_e32 v5, 23, v29
	v_cndmask_b32_e64 v4, v4, 0xffffff8a, vcc_lo
	v_xor_b32_e32 v5, 1, v5
	v_add_nc_u32_e32 v4, v28, v4
	v_bfe_u32 v28, v29, 20, 1
	v_add_nc_u32_e32 v28, -1, v28
	v_cndmask_b32_e64 v28, 0, v28, s16
	s_mov_b32 s16, exec_lo
	v_add_nc_u32_e32 v28, v28, v29
	v_and_b32_e32 v28, 0xfffff, v28
	v_add_nc_u32_e32 v28, v28, v29
                                        ; implicit-def: $vgpr29
	v_cmpx_ne_u32_e64 v4, v5
	s_xor_b32 s16, exec_lo, s16
; %bb.963:                              ;   in Loop: Header=BB6_356 Depth=4
	v_cmp_lt_u32_e32 vcc_lo, 0xffffff, v28
	v_sub_nc_u32_e32 v4, v4, v5
	v_cndmask_b32_e64 v5, 0, 1, vcc_lo
	v_add_co_ci_u32_e64 v29, null, 0, v4, vcc_lo
	v_lshrrev_b32_e32 v28, v5, v28
; %bb.964:                              ;   in Loop: Header=BB6_356 Depth=4
	s_andn2_saveexec_b32 s16, s16
; %bb.965:                              ;   in Loop: Header=BB6_356 Depth=4
	v_bfe_u32 v29, v28, 23, 1
; %bb.966:                              ;   in Loop: Header=BB6_356 Depth=4
	s_or_b32 exec_lo, exec_lo, s16
	v_lshrrev_b32_e32 v4, 20, v28
	v_min_i32_e32 v5, 15, v29
	v_cmp_gt_i32_e32 vcc_lo, 16, v29
	v_and_b32_sdwa v1, v1, v62 dst_sel:DWORD dst_unused:UNUSED_PAD src0_sel:BYTE_3 src1_sel:DWORD
	v_lshlrev_b32_e32 v5, 3, v5
	v_cndmask_b32_e32 v4, 7, v4, vcc_lo
	v_and_b32_e32 v5, 0xf8, v5
	v_or_b32_e32 v28, v29, v4
	v_and_b32_e32 v4, 7, v4
	v_cmp_ne_u32_e32 vcc_lo, 0, v28
	v_or3_b32 v1, v5, v1, v4
	v_cndmask_b32_e32 v51, 0, v1, vcc_lo
.LBB6_967:                              ;   in Loop: Header=BB6_356 Depth=4
	s_or_b32 exec_lo, exec_lo, s73
.LBB6_968:                              ;   in Loop: Header=BB6_356 Depth=4
	s_or_b32 exec_lo, exec_lo, s72
	v_cmp_gt_i16_sdwa s72, v32, v61 src0_sel:BYTE_1 src1_sel:DWORD
	s_andn2_b32 vcc_lo, exec_lo, s63
	s_mov_b32 s16, -1
                                        ; implicit-def: $vgpr1
	s_cbranch_vccnz .LBB6_982
; %bb.969:                              ;   in Loop: Header=BB6_356 Depth=4
	s_mov_b32 s16, 0
	s_and_saveexec_b32 s73, s72
	s_xor_b32 s72, exec_lo, s73
	s_cbranch_execz .LBB6_2794
; %bb.970:                              ;   in Loop: Header=BB6_356 Depth=4
	v_cmp_eq_u16_sdwa s74, v32, v62 src0_sel:BYTE_1 src1_sel:DWORD
	s_mov_b32 s16, -1
	s_and_saveexec_b32 s73, s74
; %bb.971:                              ;   in Loop: Header=BB6_356 Depth=4
	s_xor_b32 s16, exec_lo, -1
; %bb.972:                              ;   in Loop: Header=BB6_356 Depth=4
	s_or_b32 exec_lo, exec_lo, s73
	s_and_b32 s16, s16, exec_lo
	s_or_saveexec_b32 s72, s72
	v_mov_b32_e32 v1, 0x7f800001
	s_xor_b32 exec_lo, exec_lo, s72
	s_cbranch_execnz .LBB6_2795
.LBB6_973:                              ;   in Loop: Header=BB6_356 Depth=4
	s_or_b32 exec_lo, exec_lo, s72
	s_and_saveexec_b32 s72, s16
	s_cbranch_execz .LBB6_975
.LBB6_974:                              ;   in Loop: Header=BB6_356 Depth=4
	v_and_b32_sdwa v1, v63, v32 dst_sel:DWORD dst_unused:UNUSED_PAD src0_sel:DWORD src1_sel:BYTE_1
	v_and_b32_e32 v4, 7, v1
	v_bfe_u32 v29, v1, 3, 4
	v_ffbh_u32_e32 v5, v4
	v_cmp_eq_u32_e32 vcc_lo, 0, v29
	v_min_u32_e32 v5, 32, v5
	v_subrev_nc_u32_e32 v28, 28, v5
	v_sub_nc_u32_e32 v5, 29, v5
	v_lshlrev_b32_e32 v1, v28, v1
	v_lshlrev_b32_e32 v28, 16, v32
	v_cndmask_b32_e32 v5, v29, v5, vcc_lo
	v_and_b32_e32 v1, 7, v1
	v_lshl_add_u32 v5, v5, 23, 0x3b800000
	v_cndmask_b32_e32 v1, v4, v1, vcc_lo
	v_and_b32_e32 v4, 0x80000000, v28
	v_lshlrev_b32_e32 v1, 20, v1
	v_or3_b32 v1, v4, v5, v1
.LBB6_975:                              ;   in Loop: Header=BB6_356 Depth=4
	s_or_b32 exec_lo, exec_lo, s72
	s_waitcnt vmcnt(2)
	v_cmp_gt_i16_sdwa s72, v24, v61 src0_sel:BYTE_1 src1_sel:DWORD
	s_mov_b32 s16, 0
	s_and_saveexec_b32 s73, s72
	s_xor_b32 s72, exec_lo, s73
	s_cbranch_execz .LBB6_2796
; %bb.976:                              ;   in Loop: Header=BB6_356 Depth=4
	v_cmp_eq_u16_sdwa s74, v24, v62 src0_sel:BYTE_1 src1_sel:DWORD
	s_mov_b32 s16, -1
	s_and_saveexec_b32 s73, s74
; %bb.977:                              ;   in Loop: Header=BB6_356 Depth=4
	s_xor_b32 s16, exec_lo, -1
; %bb.978:                              ;   in Loop: Header=BB6_356 Depth=4
	s_or_b32 exec_lo, exec_lo, s73
	s_and_b32 s16, s16, exec_lo
	s_or_saveexec_b32 s72, s72
	v_mov_b32_e32 v4, 0x7f800001
	s_xor_b32 exec_lo, exec_lo, s72
	s_cbranch_execnz .LBB6_2797
.LBB6_979:                              ;   in Loop: Header=BB6_356 Depth=4
	s_or_b32 exec_lo, exec_lo, s72
	s_and_saveexec_b32 s72, s16
	s_cbranch_execz .LBB6_981
.LBB6_980:                              ;   in Loop: Header=BB6_356 Depth=4
	v_and_b32_sdwa v4, v63, v24 dst_sel:DWORD dst_unused:UNUSED_PAD src0_sel:DWORD src1_sel:BYTE_1
	v_and_b32_e32 v5, 7, v4
	v_bfe_u32 v30, v4, 3, 4
	v_ffbh_u32_e32 v28, v5
	v_cmp_eq_u32_e32 vcc_lo, 0, v30
	v_min_u32_e32 v28, 32, v28
	v_subrev_nc_u32_e32 v29, 28, v28
	v_sub_nc_u32_e32 v28, 29, v28
	v_lshlrev_b32_e32 v4, v29, v4
	v_lshlrev_b32_e32 v29, 16, v24
	v_cndmask_b32_e32 v28, v30, v28, vcc_lo
	v_and_b32_e32 v4, 7, v4
	v_lshl_add_u32 v28, v28, 23, 0x3b800000
	v_cndmask_b32_e32 v4, v5, v4, vcc_lo
	v_and_b32_e32 v5, 0x80000000, v29
	v_lshlrev_b32_e32 v4, 20, v4
	v_or3_b32 v4, v5, v28, v4
.LBB6_981:                              ;   in Loop: Header=BB6_356 Depth=4
	s_or_b32 exec_lo, exec_lo, s72
	v_max_f32_e32 v4, v4, v4
	v_max_f32_e32 v1, v1, v1
	s_mov_b32 s16, 0
	v_max_f32_e32 v1, v1, v4
.LBB6_982:                              ;   in Loop: Header=BB6_356 Depth=4
	s_and_b32 vcc_lo, exec_lo, s16
	s_cbranch_vccz .LBB6_996
; %bb.983:                              ;   in Loop: Header=BB6_356 Depth=4
	v_cmp_gt_i16_sdwa s72, v32, v61 src0_sel:BYTE_1 src1_sel:DWORD
	s_mov_b32 s16, 0
	s_and_saveexec_b32 s73, s72
	s_xor_b32 s72, exec_lo, s73
	s_cbranch_execz .LBB6_2798
; %bb.984:                              ;   in Loop: Header=BB6_356 Depth=4
	v_cmp_eq_u16_sdwa s74, v32, v62 src0_sel:BYTE_1 src1_sel:DWORD
	s_mov_b32 s16, -1
	s_and_saveexec_b32 s73, s74
; %bb.985:                              ;   in Loop: Header=BB6_356 Depth=4
	s_xor_b32 s16, exec_lo, -1
; %bb.986:                              ;   in Loop: Header=BB6_356 Depth=4
	s_or_b32 exec_lo, exec_lo, s73
	s_and_b32 s16, s16, exec_lo
	s_or_saveexec_b32 s72, s72
	v_mov_b32_e32 v1, 0x7f800001
	s_xor_b32 exec_lo, exec_lo, s72
	s_cbranch_execnz .LBB6_2799
.LBB6_987:                              ;   in Loop: Header=BB6_356 Depth=4
	s_or_b32 exec_lo, exec_lo, s72
	s_and_saveexec_b32 s72, s16
	s_cbranch_execz .LBB6_989
.LBB6_988:                              ;   in Loop: Header=BB6_356 Depth=4
	v_and_b32_sdwa v1, v63, v32 dst_sel:DWORD dst_unused:UNUSED_PAD src0_sel:DWORD src1_sel:BYTE_1
	v_and_b32_e32 v4, 7, v1
	v_bfe_u32 v29, v1, 3, 4
	v_ffbh_u32_e32 v5, v4
	v_cmp_eq_u32_e32 vcc_lo, 0, v29
	v_min_u32_e32 v5, 32, v5
	v_subrev_nc_u32_e32 v28, 28, v5
	v_sub_nc_u32_e32 v5, 29, v5
	v_lshlrev_b32_e32 v1, v28, v1
	v_lshlrev_b32_e32 v28, 16, v32
	v_cndmask_b32_e32 v5, v29, v5, vcc_lo
	v_and_b32_e32 v1, 7, v1
	v_lshl_add_u32 v5, v5, 23, 0x3b800000
	v_cndmask_b32_e32 v1, v4, v1, vcc_lo
	v_and_b32_e32 v4, 0x80000000, v28
	v_lshlrev_b32_e32 v1, 20, v1
	v_or3_b32 v1, v4, v5, v1
.LBB6_989:                              ;   in Loop: Header=BB6_356 Depth=4
	s_or_b32 exec_lo, exec_lo, s72
	s_waitcnt vmcnt(2)
	v_cmp_gt_i16_sdwa s72, v24, v61 src0_sel:BYTE_1 src1_sel:DWORD
	s_mov_b32 s16, 0
	s_and_saveexec_b32 s73, s72
	s_xor_b32 s72, exec_lo, s73
	s_cbranch_execz .LBB6_2800
; %bb.990:                              ;   in Loop: Header=BB6_356 Depth=4
	v_cmp_eq_u16_sdwa s74, v24, v62 src0_sel:BYTE_1 src1_sel:DWORD
	s_mov_b32 s16, -1
	s_and_saveexec_b32 s73, s74
; %bb.991:                              ;   in Loop: Header=BB6_356 Depth=4
	s_xor_b32 s16, exec_lo, -1
; %bb.992:                              ;   in Loop: Header=BB6_356 Depth=4
	s_or_b32 exec_lo, exec_lo, s73
	s_and_b32 s16, s16, exec_lo
	s_or_saveexec_b32 s72, s72
	v_mov_b32_e32 v4, 0x7f800001
	s_xor_b32 exec_lo, exec_lo, s72
	s_cbranch_execnz .LBB6_2801
.LBB6_993:                              ;   in Loop: Header=BB6_356 Depth=4
	s_or_b32 exec_lo, exec_lo, s72
	s_and_saveexec_b32 s72, s16
	s_cbranch_execz .LBB6_995
.LBB6_994:                              ;   in Loop: Header=BB6_356 Depth=4
	v_and_b32_sdwa v4, v63, v24 dst_sel:DWORD dst_unused:UNUSED_PAD src0_sel:DWORD src1_sel:BYTE_1
	v_and_b32_e32 v5, 7, v4
	v_bfe_u32 v30, v4, 3, 4
	v_ffbh_u32_e32 v28, v5
	v_cmp_eq_u32_e32 vcc_lo, 0, v30
	v_min_u32_e32 v28, 32, v28
	v_subrev_nc_u32_e32 v29, 28, v28
	v_sub_nc_u32_e32 v28, 29, v28
	v_lshlrev_b32_e32 v4, v29, v4
	v_lshlrev_b32_e32 v29, 16, v24
	v_cndmask_b32_e32 v28, v30, v28, vcc_lo
	v_and_b32_e32 v4, 7, v4
	v_lshl_add_u32 v28, v28, 23, 0x3b800000
	v_cndmask_b32_e32 v4, v5, v4, vcc_lo
	v_and_b32_e32 v5, 0x80000000, v29
	v_lshlrev_b32_e32 v4, 20, v4
	v_or3_b32 v4, v5, v28, v4
.LBB6_995:                              ;   in Loop: Header=BB6_356 Depth=4
	s_or_b32 exec_lo, exec_lo, s72
	v_max_f32_e32 v4, v4, v4
	v_max_f32_e32 v1, v1, v1
	v_min_f32_e32 v1, v1, v4
.LBB6_996:                              ;   in Loop: Header=BB6_356 Depth=4
	v_and_b32_e32 v4, 0x7f800000, v1
	v_mov_b32_e32 v30, 0x8000
	s_mov_b32 s72, exec_lo
	v_cmpx_ne_u32_e32 0x7f800000, v4
	s_cbranch_execz .LBB6_1004
; %bb.997:                              ;   in Loop: Header=BB6_356 Depth=4
	v_mov_b32_e32 v30, 0
	s_mov_b32 s73, exec_lo
	v_cmpx_ne_u32_e32 0, v1
	s_cbranch_execz .LBB6_1003
; %bb.998:                              ;   in Loop: Header=BB6_356 Depth=4
	v_bfe_u32 v5, v1, 23, 8
	v_and_b32_e32 v4, 0x7fffff, v1
	v_cmp_gt_u32_e64 s16, 0x79, v5
	v_sub_nc_u32_e32 v28, 0x78, v5
	v_cmp_eq_u32_e32 vcc_lo, 0, v5
	v_or_b32_e32 v29, 0x800000, v4
	v_cndmask_b32_e64 v28, 0, v28, s16
	v_cndmask_b32_e32 v4, v29, v4, vcc_lo
	v_cndmask_b32_e64 v28, v28, 0x77, vcc_lo
	v_lshl_add_u32 v29, 0x100000, v28, -1
	v_lshlrev_b32_e64 v30, v28, 0x80000
	v_and_b32_e32 v29, v29, v4
	v_cmp_eq_u32_e64 s16, v29, v30
	v_lshrrev_b32_e32 v29, v28, v4
	v_add_nc_u32_e32 v4, 0xffffff89, v5
	v_lshrrev_b32_e32 v5, 23, v29
	v_cndmask_b32_e64 v4, v4, 0xffffff8a, vcc_lo
	v_xor_b32_e32 v5, 1, v5
	v_add_nc_u32_e32 v4, v28, v4
	v_bfe_u32 v28, v29, 20, 1
	v_add_nc_u32_e32 v28, -1, v28
	v_cndmask_b32_e64 v28, 0, v28, s16
	s_mov_b32 s16, exec_lo
	v_add_nc_u32_e32 v28, v28, v29
	v_and_b32_e32 v28, 0xfffff, v28
	v_add_nc_u32_e32 v28, v28, v29
                                        ; implicit-def: $vgpr29
	v_cmpx_ne_u32_e64 v4, v5
	s_xor_b32 s16, exec_lo, s16
; %bb.999:                              ;   in Loop: Header=BB6_356 Depth=4
	v_cmp_lt_u32_e32 vcc_lo, 0xffffff, v28
	v_sub_nc_u32_e32 v4, v4, v5
	v_cndmask_b32_e64 v5, 0, 1, vcc_lo
	v_add_co_ci_u32_e64 v29, null, 0, v4, vcc_lo
	v_lshrrev_b32_e32 v28, v5, v28
; %bb.1000:                             ;   in Loop: Header=BB6_356 Depth=4
	s_andn2_saveexec_b32 s16, s16
; %bb.1001:                             ;   in Loop: Header=BB6_356 Depth=4
	v_bfe_u32 v29, v28, 23, 1
; %bb.1002:                             ;   in Loop: Header=BB6_356 Depth=4
	s_or_b32 exec_lo, exec_lo, s16
	v_lshrrev_b32_e32 v4, 20, v28
	v_min_i32_e32 v5, 15, v29
	v_cmp_gt_i32_e32 vcc_lo, 16, v29
	v_and_b32_sdwa v1, v1, v62 dst_sel:DWORD dst_unused:UNUSED_PAD src0_sel:BYTE_3 src1_sel:DWORD
	v_lshlrev_b32_e32 v5, 3, v5
	v_cndmask_b32_e32 v4, 7, v4, vcc_lo
	v_and_b32_e32 v5, 0xf8, v5
	v_or_b32_e32 v28, v29, v4
	v_and_b32_e32 v4, 7, v4
	v_cmp_ne_u32_e32 vcc_lo, 0, v28
	v_or3_b32 v1, v1, v5, v4
	v_lshlrev_b32_e32 v1, 8, v1
	v_cndmask_b32_e32 v30, 0, v1, vcc_lo
.LBB6_1003:                             ;   in Loop: Header=BB6_356 Depth=4
	s_or_b32 exec_lo, exec_lo, s73
.LBB6_1004:                             ;   in Loop: Header=BB6_356 Depth=4
	s_or_b32 exec_lo, exec_lo, s72
	v_and_b32_sdwa v1, v32, v72 dst_sel:DWORD dst_unused:UNUSED_PAD src0_sel:WORD_1 src1_sel:DWORD
	s_andn2_b32 vcc_lo, exec_lo, s63
	s_mov_b32 s72, -1
                                        ; implicit-def: $vgpr4
	v_cmp_lt_i16_e64 s16, 0x7f, v1
	s_cbranch_vccnz .LBB6_1018
; %bb.1005:                             ;   in Loop: Header=BB6_356 Depth=4
	s_mov_b32 s72, 0
	s_and_saveexec_b32 s73, s16
	s_xor_b32 s16, exec_lo, s73
	s_cbranch_execz .LBB6_2802
; %bb.1006:                             ;   in Loop: Header=BB6_356 Depth=4
	s_mov_b32 s72, -1
	s_mov_b32 s73, exec_lo
	v_cmpx_eq_u16_e32 0x80, v1
; %bb.1007:                             ;   in Loop: Header=BB6_356 Depth=4
	s_xor_b32 s72, exec_lo, -1
; %bb.1008:                             ;   in Loop: Header=BB6_356 Depth=4
	s_or_b32 exec_lo, exec_lo, s73
	s_and_b32 s72, s72, exec_lo
	s_or_saveexec_b32 s16, s16
	v_mov_b32_e32 v4, 0x7f800001
	s_xor_b32 exec_lo, exec_lo, s16
	s_cbranch_execnz .LBB6_2803
.LBB6_1009:                             ;   in Loop: Header=BB6_356 Depth=4
	s_or_b32 exec_lo, exec_lo, s16
	s_and_saveexec_b32 s16, s72
	s_cbranch_execz .LBB6_1011
.LBB6_1010:                             ;   in Loop: Header=BB6_356 Depth=4
	v_bfe_u32 v4, v32, 16, 3
	v_bfe_u32 v5, v32, 19, 4
	v_ffbh_u32_e32 v28, v4
	v_cmp_eq_u32_e32 vcc_lo, 0, v5
	v_min_u32_e32 v28, 32, v28
	v_subrev_nc_u32_e32 v29, 28, v28
	v_sub_nc_u32_e32 v28, 29, v28
	v_lshlrev_b32_sdwa v29, v29, v32 dst_sel:DWORD dst_unused:UNUSED_PAD src0_sel:DWORD src1_sel:WORD_1
	v_cndmask_b32_e32 v5, v5, v28, vcc_lo
	v_lshlrev_b32_sdwa v28, v73, v32 dst_sel:DWORD dst_unused:UNUSED_PAD src0_sel:DWORD src1_sel:WORD_1
	v_and_b32_e32 v29, 7, v29
	v_lshl_add_u32 v5, v5, 23, 0x3b800000
	v_and_b32_e32 v28, 0x80000000, v28
	v_cndmask_b32_e32 v4, v4, v29, vcc_lo
	v_lshlrev_b32_e32 v4, 20, v4
	v_or3_b32 v4, v28, v5, v4
.LBB6_1011:                             ;   in Loop: Header=BB6_356 Depth=4
	s_or_b32 exec_lo, exec_lo, s16
	s_waitcnt vmcnt(2)
	v_and_b32_sdwa v28, v24, v72 dst_sel:DWORD dst_unused:UNUSED_PAD src0_sel:WORD_1 src1_sel:DWORD
	s_mov_b32 s72, 0
	s_mov_b32 s16, exec_lo
	v_cmpx_lt_i16_e32 0x7f, v28
	s_xor_b32 s16, exec_lo, s16
	s_cbranch_execz .LBB6_2804
; %bb.1012:                             ;   in Loop: Header=BB6_356 Depth=4
	s_mov_b32 s72, -1
	s_mov_b32 s73, exec_lo
	v_cmpx_eq_u16_e32 0x80, v28
; %bb.1013:                             ;   in Loop: Header=BB6_356 Depth=4
	s_xor_b32 s72, exec_lo, -1
; %bb.1014:                             ;   in Loop: Header=BB6_356 Depth=4
	s_or_b32 exec_lo, exec_lo, s73
	s_and_b32 s72, s72, exec_lo
                                        ; implicit-def: $vgpr28
	s_or_saveexec_b32 s16, s16
	v_mov_b32_e32 v5, 0x7f800001
	s_xor_b32 exec_lo, exec_lo, s16
	s_cbranch_execnz .LBB6_2805
.LBB6_1015:                             ;   in Loop: Header=BB6_356 Depth=4
	s_or_b32 exec_lo, exec_lo, s16
	s_and_saveexec_b32 s16, s72
	s_cbranch_execz .LBB6_1017
.LBB6_1016:                             ;   in Loop: Header=BB6_356 Depth=4
	v_bfe_u32 v5, v24, 16, 3
	v_bfe_u32 v28, v24, 19, 4
	v_ffbh_u32_e32 v29, v5
	v_cmp_eq_u32_e32 vcc_lo, 0, v28
	v_min_u32_e32 v29, 32, v29
	v_subrev_nc_u32_e32 v31, 28, v29
	v_sub_nc_u32_e32 v29, 29, v29
	v_lshlrev_b32_sdwa v31, v31, v24 dst_sel:DWORD dst_unused:UNUSED_PAD src0_sel:DWORD src1_sel:WORD_1
	v_cndmask_b32_e32 v28, v28, v29, vcc_lo
	v_lshlrev_b32_sdwa v29, v73, v24 dst_sel:DWORD dst_unused:UNUSED_PAD src0_sel:DWORD src1_sel:WORD_1
	v_and_b32_e32 v31, 7, v31
	v_lshl_add_u32 v28, v28, 23, 0x3b800000
	v_and_b32_e32 v29, 0x80000000, v29
	v_cndmask_b32_e32 v5, v5, v31, vcc_lo
	v_lshlrev_b32_e32 v5, 20, v5
	v_or3_b32 v5, v29, v28, v5
.LBB6_1017:                             ;   in Loop: Header=BB6_356 Depth=4
	s_or_b32 exec_lo, exec_lo, s16
	v_max_f32_e32 v5, v5, v5
	v_max_f32_e32 v4, v4, v4
	s_mov_b32 s72, 0
	v_max_f32_e32 v4, v4, v5
.LBB6_1018:                             ;   in Loop: Header=BB6_356 Depth=4
	s_and_b32 vcc_lo, exec_lo, s72
	s_cbranch_vccz .LBB6_1032
; %bb.1019:                             ;   in Loop: Header=BB6_356 Depth=4
	s_mov_b32 s72, 0
	s_mov_b32 s16, exec_lo
	v_cmpx_lt_i16_e32 0x7f, v1
	s_xor_b32 s16, exec_lo, s16
	s_cbranch_execz .LBB6_2806
; %bb.1020:                             ;   in Loop: Header=BB6_356 Depth=4
	s_mov_b32 s72, -1
	s_mov_b32 s73, exec_lo
	v_cmpx_eq_u16_e32 0x80, v1
; %bb.1021:                             ;   in Loop: Header=BB6_356 Depth=4
	s_xor_b32 s72, exec_lo, -1
; %bb.1022:                             ;   in Loop: Header=BB6_356 Depth=4
	s_or_b32 exec_lo, exec_lo, s73
	s_and_b32 s72, s72, exec_lo
                                        ; implicit-def: $vgpr1
	s_or_saveexec_b32 s16, s16
	v_mov_b32_e32 v4, 0x7f800001
	s_xor_b32 exec_lo, exec_lo, s16
	s_cbranch_execnz .LBB6_2807
.LBB6_1023:                             ;   in Loop: Header=BB6_356 Depth=4
	s_or_b32 exec_lo, exec_lo, s16
	s_and_saveexec_b32 s16, s72
	s_cbranch_execz .LBB6_1025
.LBB6_1024:                             ;   in Loop: Header=BB6_356 Depth=4
	v_bfe_u32 v1, v32, 16, 3
	v_bfe_u32 v4, v32, 19, 4
	v_ffbh_u32_e32 v5, v1
	v_cmp_eq_u32_e32 vcc_lo, 0, v4
	v_min_u32_e32 v5, 32, v5
	v_subrev_nc_u32_e32 v28, 28, v5
	v_sub_nc_u32_e32 v5, 29, v5
	v_lshlrev_b32_sdwa v28, v28, v32 dst_sel:DWORD dst_unused:UNUSED_PAD src0_sel:DWORD src1_sel:WORD_1
	v_cndmask_b32_e32 v4, v4, v5, vcc_lo
	v_lshlrev_b32_sdwa v5, v73, v32 dst_sel:DWORD dst_unused:UNUSED_PAD src0_sel:DWORD src1_sel:WORD_1
	v_and_b32_e32 v28, 7, v28
	v_lshl_add_u32 v4, v4, 23, 0x3b800000
	v_and_b32_e32 v5, 0x80000000, v5
	v_cndmask_b32_e32 v1, v1, v28, vcc_lo
	v_lshlrev_b32_e32 v1, 20, v1
	v_or3_b32 v4, v5, v4, v1
.LBB6_1025:                             ;   in Loop: Header=BB6_356 Depth=4
	s_or_b32 exec_lo, exec_lo, s16
	s_waitcnt vmcnt(2)
	v_and_b32_sdwa v5, v24, v72 dst_sel:DWORD dst_unused:UNUSED_PAD src0_sel:WORD_1 src1_sel:DWORD
	s_mov_b32 s72, 0
	s_mov_b32 s16, exec_lo
	v_cmpx_lt_i16_e32 0x7f, v5
	s_xor_b32 s16, exec_lo, s16
	s_cbranch_execz .LBB6_2808
; %bb.1026:                             ;   in Loop: Header=BB6_356 Depth=4
	s_mov_b32 s72, -1
	s_mov_b32 s73, exec_lo
	v_cmpx_eq_u16_e32 0x80, v5
; %bb.1027:                             ;   in Loop: Header=BB6_356 Depth=4
	s_xor_b32 s72, exec_lo, -1
; %bb.1028:                             ;   in Loop: Header=BB6_356 Depth=4
	s_or_b32 exec_lo, exec_lo, s73
	s_and_b32 s72, s72, exec_lo
                                        ; implicit-def: $vgpr5
	s_or_saveexec_b32 s16, s16
	v_mov_b32_e32 v1, 0x7f800001
	s_xor_b32 exec_lo, exec_lo, s16
	s_cbranch_execnz .LBB6_2809
.LBB6_1029:                             ;   in Loop: Header=BB6_356 Depth=4
	s_or_b32 exec_lo, exec_lo, s16
	s_and_saveexec_b32 s16, s72
	s_cbranch_execz .LBB6_1031
.LBB6_1030:                             ;   in Loop: Header=BB6_356 Depth=4
	v_bfe_u32 v1, v24, 16, 3
	v_bfe_u32 v5, v24, 19, 4
	v_ffbh_u32_e32 v28, v1
	v_cmp_eq_u32_e32 vcc_lo, 0, v5
	v_min_u32_e32 v28, 32, v28
	v_subrev_nc_u32_e32 v29, 28, v28
	v_sub_nc_u32_e32 v28, 29, v28
	v_lshlrev_b32_sdwa v29, v29, v24 dst_sel:DWORD dst_unused:UNUSED_PAD src0_sel:DWORD src1_sel:WORD_1
	v_cndmask_b32_e32 v5, v5, v28, vcc_lo
	v_lshlrev_b32_sdwa v28, v73, v24 dst_sel:DWORD dst_unused:UNUSED_PAD src0_sel:DWORD src1_sel:WORD_1
	v_and_b32_e32 v29, 7, v29
	v_lshl_add_u32 v5, v5, 23, 0x3b800000
	v_and_b32_e32 v28, 0x80000000, v28
	v_cndmask_b32_e32 v1, v1, v29, vcc_lo
	v_lshlrev_b32_e32 v1, 20, v1
	v_or3_b32 v1, v28, v5, v1
.LBB6_1031:                             ;   in Loop: Header=BB6_356 Depth=4
	s_or_b32 exec_lo, exec_lo, s16
	v_max_f32_e32 v1, v1, v1
	v_max_f32_e32 v4, v4, v4
	v_min_f32_e32 v4, v4, v1
.LBB6_1032:                             ;   in Loop: Header=BB6_356 Depth=4
	v_and_b32_e32 v1, 0x7f800000, v4
	v_mov_b32_e32 v54, 0x80
	s_mov_b32 s72, exec_lo
	v_cmpx_ne_u32_e32 0x7f800000, v1
	s_cbranch_execz .LBB6_1040
; %bb.1033:                             ;   in Loop: Header=BB6_356 Depth=4
	v_mov_b32_e32 v54, 0
	s_mov_b32 s73, exec_lo
	v_cmpx_ne_u32_e32 0, v4
	s_cbranch_execz .LBB6_1039
; %bb.1034:                             ;   in Loop: Header=BB6_356 Depth=4
	v_bfe_u32 v5, v4, 23, 8
	v_and_b32_e32 v1, 0x7fffff, v4
	v_cmp_gt_u32_e64 s16, 0x79, v5
	v_sub_nc_u32_e32 v28, 0x78, v5
	v_cmp_eq_u32_e32 vcc_lo, 0, v5
	v_or_b32_e32 v29, 0x800000, v1
	v_cndmask_b32_e64 v28, 0, v28, s16
	v_cndmask_b32_e32 v1, v29, v1, vcc_lo
	v_cndmask_b32_e64 v28, v28, 0x77, vcc_lo
	v_lshl_add_u32 v29, 0x100000, v28, -1
	v_lshlrev_b32_e64 v31, v28, 0x80000
	v_and_b32_e32 v29, v29, v1
	v_cmp_eq_u32_e64 s16, v29, v31
	v_lshrrev_b32_e32 v29, v28, v1
	v_add_nc_u32_e32 v1, 0xffffff89, v5
	v_lshrrev_b32_e32 v5, 23, v29
	v_cndmask_b32_e64 v1, v1, 0xffffff8a, vcc_lo
	v_xor_b32_e32 v5, 1, v5
	v_add_nc_u32_e32 v1, v28, v1
	v_bfe_u32 v28, v29, 20, 1
	v_add_nc_u32_e32 v28, -1, v28
	v_cndmask_b32_e64 v28, 0, v28, s16
	s_mov_b32 s16, exec_lo
	v_add_nc_u32_e32 v28, v28, v29
	v_and_b32_e32 v28, 0xfffff, v28
	v_add_nc_u32_e32 v28, v28, v29
                                        ; implicit-def: $vgpr29
	v_cmpx_ne_u32_e64 v1, v5
	s_xor_b32 s16, exec_lo, s16
; %bb.1035:                             ;   in Loop: Header=BB6_356 Depth=4
	v_cmp_lt_u32_e32 vcc_lo, 0xffffff, v28
	v_sub_nc_u32_e32 v1, v1, v5
	v_cndmask_b32_e64 v5, 0, 1, vcc_lo
	v_add_co_ci_u32_e64 v29, null, 0, v1, vcc_lo
	v_lshrrev_b32_e32 v28, v5, v28
; %bb.1036:                             ;   in Loop: Header=BB6_356 Depth=4
	s_andn2_saveexec_b32 s16, s16
; %bb.1037:                             ;   in Loop: Header=BB6_356 Depth=4
	v_bfe_u32 v29, v28, 23, 1
; %bb.1038:                             ;   in Loop: Header=BB6_356 Depth=4
	s_or_b32 exec_lo, exec_lo, s16
	v_and_b32_sdwa v1, v4, v62 dst_sel:DWORD dst_unused:UNUSED_PAD src0_sel:BYTE_3 src1_sel:DWORD
	v_lshrrev_b32_e32 v4, 20, v28
	v_min_i32_e32 v5, 15, v29
	v_cmp_gt_i32_e32 vcc_lo, 16, v29
	v_lshlrev_b32_e32 v5, 3, v5
	v_cndmask_b32_e32 v4, 7, v4, vcc_lo
	v_and_b32_e32 v5, 0xf8, v5
	v_or_b32_e32 v28, v29, v4
	v_and_b32_e32 v4, 7, v4
	v_cmp_ne_u32_e32 vcc_lo, 0, v28
	v_or3_b32 v1, v5, v1, v4
	v_cndmask_b32_e32 v54, 0, v1, vcc_lo
.LBB6_1039:                             ;   in Loop: Header=BB6_356 Depth=4
	s_or_b32 exec_lo, exec_lo, s73
.LBB6_1040:                             ;   in Loop: Header=BB6_356 Depth=4
	s_or_b32 exec_lo, exec_lo, s72
	v_cmp_gt_i16_sdwa s72, v32, v61 src0_sel:BYTE_3 src1_sel:DWORD
	s_andn2_b32 vcc_lo, exec_lo, s63
	s_mov_b32 s16, -1
                                        ; implicit-def: $vgpr1
	s_cbranch_vccnz .LBB6_1054
; %bb.1041:                             ;   in Loop: Header=BB6_356 Depth=4
	s_mov_b32 s16, 0
	s_and_saveexec_b32 s73, s72
	s_xor_b32 s72, exec_lo, s73
	s_cbranch_execz .LBB6_2810
; %bb.1042:                             ;   in Loop: Header=BB6_356 Depth=4
	v_cmp_eq_u16_sdwa s74, v32, v62 src0_sel:BYTE_3 src1_sel:DWORD
	s_mov_b32 s16, -1
	s_and_saveexec_b32 s73, s74
; %bb.1043:                             ;   in Loop: Header=BB6_356 Depth=4
	s_xor_b32 s16, exec_lo, -1
; %bb.1044:                             ;   in Loop: Header=BB6_356 Depth=4
	s_or_b32 exec_lo, exec_lo, s73
	s_and_b32 s16, s16, exec_lo
	s_or_saveexec_b32 s72, s72
	v_mov_b32_e32 v1, 0x7f800001
	s_xor_b32 exec_lo, exec_lo, s72
	s_cbranch_execnz .LBB6_2811
.LBB6_1045:                             ;   in Loop: Header=BB6_356 Depth=4
	s_or_b32 exec_lo, exec_lo, s72
	s_and_saveexec_b32 s72, s16
	s_cbranch_execz .LBB6_1047
.LBB6_1046:                             ;   in Loop: Header=BB6_356 Depth=4
	v_bfe_u32 v1, v32, 24, 3
	v_bfe_u32 v28, v32, 27, 4
	v_ffbh_u32_e32 v4, v1
	v_cmp_eq_u32_e32 vcc_lo, 0, v28
	v_min_u32_e32 v4, 32, v4
	v_subrev_nc_u32_e32 v5, 28, v4
	v_sub_nc_u32_e32 v4, 29, v4
	v_lshlrev_b32_sdwa v5, v5, v32 dst_sel:DWORD dst_unused:UNUSED_PAD src0_sel:DWORD src1_sel:BYTE_3
	v_cndmask_b32_e32 v4, v28, v4, vcc_lo
	v_and_b32_e32 v5, 7, v5
	v_lshl_add_u32 v4, v4, 23, 0x3b800000
	v_cndmask_b32_e32 v1, v1, v5, vcc_lo
	v_and_b32_e32 v5, 0x80000000, v32
	v_lshlrev_b32_e32 v1, 20, v1
	v_or3_b32 v1, v5, v4, v1
.LBB6_1047:                             ;   in Loop: Header=BB6_356 Depth=4
	s_or_b32 exec_lo, exec_lo, s72
	s_waitcnt vmcnt(2)
	v_cmp_gt_i16_sdwa s72, v24, v61 src0_sel:BYTE_3 src1_sel:DWORD
	s_mov_b32 s16, 0
	s_and_saveexec_b32 s73, s72
	s_xor_b32 s72, exec_lo, s73
	s_cbranch_execz .LBB6_2812
; %bb.1048:                             ;   in Loop: Header=BB6_356 Depth=4
	v_cmp_eq_u16_sdwa s74, v24, v62 src0_sel:BYTE_3 src1_sel:DWORD
	s_mov_b32 s16, -1
	s_and_saveexec_b32 s73, s74
; %bb.1049:                             ;   in Loop: Header=BB6_356 Depth=4
	s_xor_b32 s16, exec_lo, -1
; %bb.1050:                             ;   in Loop: Header=BB6_356 Depth=4
	s_or_b32 exec_lo, exec_lo, s73
	s_and_b32 s16, s16, exec_lo
	s_or_saveexec_b32 s72, s72
	v_mov_b32_e32 v4, 0x7f800001
	s_xor_b32 exec_lo, exec_lo, s72
	s_cbranch_execnz .LBB6_2813
.LBB6_1051:                             ;   in Loop: Header=BB6_356 Depth=4
	s_or_b32 exec_lo, exec_lo, s72
	s_and_saveexec_b32 s72, s16
	s_cbranch_execz .LBB6_1053
.LBB6_1052:                             ;   in Loop: Header=BB6_356 Depth=4
	v_bfe_u32 v4, v24, 24, 3
	v_bfe_u32 v29, v24, 27, 4
	v_ffbh_u32_e32 v5, v4
	v_cmp_eq_u32_e32 vcc_lo, 0, v29
	v_min_u32_e32 v5, 32, v5
	v_subrev_nc_u32_e32 v28, 28, v5
	v_sub_nc_u32_e32 v5, 29, v5
	v_lshlrev_b32_sdwa v28, v28, v24 dst_sel:DWORD dst_unused:UNUSED_PAD src0_sel:DWORD src1_sel:BYTE_3
	v_cndmask_b32_e32 v5, v29, v5, vcc_lo
	v_and_b32_e32 v28, 7, v28
	v_lshl_add_u32 v5, v5, 23, 0x3b800000
	v_cndmask_b32_e32 v4, v4, v28, vcc_lo
	v_and_b32_e32 v28, 0x80000000, v24
	v_lshlrev_b32_e32 v4, 20, v4
	v_or3_b32 v4, v28, v5, v4
.LBB6_1053:                             ;   in Loop: Header=BB6_356 Depth=4
	s_or_b32 exec_lo, exec_lo, s72
	v_max_f32_e32 v4, v4, v4
	v_max_f32_e32 v1, v1, v1
	s_mov_b32 s16, 0
	v_max_f32_e32 v1, v1, v4
.LBB6_1054:                             ;   in Loop: Header=BB6_356 Depth=4
	s_and_b32 vcc_lo, exec_lo, s16
	s_cbranch_vccz .LBB6_1068
; %bb.1055:                             ;   in Loop: Header=BB6_356 Depth=4
	v_cmp_gt_i16_sdwa s72, v32, v61 src0_sel:BYTE_3 src1_sel:DWORD
	s_mov_b32 s16, 0
	s_and_saveexec_b32 s73, s72
	s_xor_b32 s72, exec_lo, s73
	s_cbranch_execz .LBB6_2814
; %bb.1056:                             ;   in Loop: Header=BB6_356 Depth=4
	v_cmp_eq_u16_sdwa s74, v32, v62 src0_sel:BYTE_3 src1_sel:DWORD
	s_mov_b32 s16, -1
	s_and_saveexec_b32 s73, s74
; %bb.1057:                             ;   in Loop: Header=BB6_356 Depth=4
	s_xor_b32 s16, exec_lo, -1
; %bb.1058:                             ;   in Loop: Header=BB6_356 Depth=4
	s_or_b32 exec_lo, exec_lo, s73
	s_and_b32 s16, s16, exec_lo
	s_or_saveexec_b32 s72, s72
	v_mov_b32_e32 v1, 0x7f800001
	s_xor_b32 exec_lo, exec_lo, s72
	s_cbranch_execnz .LBB6_2815
.LBB6_1059:                             ;   in Loop: Header=BB6_356 Depth=4
	s_or_b32 exec_lo, exec_lo, s72
	s_and_saveexec_b32 s72, s16
	s_cbranch_execz .LBB6_1061
.LBB6_1060:                             ;   in Loop: Header=BB6_356 Depth=4
	v_bfe_u32 v1, v32, 24, 3
	v_bfe_u32 v28, v32, 27, 4
	v_ffbh_u32_e32 v4, v1
	v_cmp_eq_u32_e32 vcc_lo, 0, v28
	v_min_u32_e32 v4, 32, v4
	v_subrev_nc_u32_e32 v5, 28, v4
	v_sub_nc_u32_e32 v4, 29, v4
	v_lshlrev_b32_sdwa v5, v5, v32 dst_sel:DWORD dst_unused:UNUSED_PAD src0_sel:DWORD src1_sel:BYTE_3
	v_cndmask_b32_e32 v4, v28, v4, vcc_lo
	v_and_b32_e32 v5, 7, v5
	v_lshl_add_u32 v4, v4, 23, 0x3b800000
	v_cndmask_b32_e32 v1, v1, v5, vcc_lo
	v_and_b32_e32 v5, 0x80000000, v32
	v_lshlrev_b32_e32 v1, 20, v1
	v_or3_b32 v1, v5, v4, v1
.LBB6_1061:                             ;   in Loop: Header=BB6_356 Depth=4
	s_or_b32 exec_lo, exec_lo, s72
	s_waitcnt vmcnt(2)
	v_cmp_gt_i16_sdwa s72, v24, v61 src0_sel:BYTE_3 src1_sel:DWORD
	s_mov_b32 s16, 0
	s_and_saveexec_b32 s73, s72
	s_xor_b32 s72, exec_lo, s73
	s_cbranch_execz .LBB6_2816
; %bb.1062:                             ;   in Loop: Header=BB6_356 Depth=4
	v_cmp_eq_u16_sdwa s74, v24, v62 src0_sel:BYTE_3 src1_sel:DWORD
	s_mov_b32 s16, -1
	s_and_saveexec_b32 s73, s74
; %bb.1063:                             ;   in Loop: Header=BB6_356 Depth=4
	s_xor_b32 s16, exec_lo, -1
; %bb.1064:                             ;   in Loop: Header=BB6_356 Depth=4
	s_or_b32 exec_lo, exec_lo, s73
	s_and_b32 s16, s16, exec_lo
	s_or_saveexec_b32 s72, s72
	v_mov_b32_e32 v4, 0x7f800001
	s_xor_b32 exec_lo, exec_lo, s72
	s_cbranch_execnz .LBB6_2817
.LBB6_1065:                             ;   in Loop: Header=BB6_356 Depth=4
	s_or_b32 exec_lo, exec_lo, s72
	s_and_saveexec_b32 s72, s16
	s_cbranch_execz .LBB6_1067
.LBB6_1066:                             ;   in Loop: Header=BB6_356 Depth=4
	v_bfe_u32 v4, v24, 24, 3
	v_bfe_u32 v29, v24, 27, 4
	v_ffbh_u32_e32 v5, v4
	v_cmp_eq_u32_e32 vcc_lo, 0, v29
	v_min_u32_e32 v5, 32, v5
	v_subrev_nc_u32_e32 v28, 28, v5
	v_sub_nc_u32_e32 v5, 29, v5
	v_lshlrev_b32_sdwa v28, v28, v24 dst_sel:DWORD dst_unused:UNUSED_PAD src0_sel:DWORD src1_sel:BYTE_3
	v_cndmask_b32_e32 v5, v29, v5, vcc_lo
	v_and_b32_e32 v24, 0x80000000, v24
	v_and_b32_e32 v28, 7, v28
	v_lshl_add_u32 v5, v5, 23, 0x3b800000
	v_cndmask_b32_e32 v4, v4, v28, vcc_lo
	v_lshlrev_b32_e32 v4, 20, v4
	v_or3_b32 v4, v24, v5, v4
.LBB6_1067:                             ;   in Loop: Header=BB6_356 Depth=4
	s_or_b32 exec_lo, exec_lo, s72
	v_max_f32_e32 v4, v4, v4
	v_max_f32_e32 v1, v1, v1
	v_min_f32_e32 v1, v1, v4
.LBB6_1068:                             ;   in Loop: Header=BB6_356 Depth=4
	v_and_b32_e32 v4, 0x7f800000, v1
	s_waitcnt vmcnt(2)
	v_mov_b32_e32 v24, 0x8000
	s_mov_b32 s72, exec_lo
	v_cmpx_ne_u32_e32 0x7f800000, v4
	s_cbranch_execz .LBB6_1076
; %bb.1069:                             ;   in Loop: Header=BB6_356 Depth=4
	v_mov_b32_e32 v24, 0
	s_mov_b32 s73, exec_lo
	v_cmpx_ne_u32_e32 0, v1
	s_cbranch_execz .LBB6_1075
; %bb.1070:                             ;   in Loop: Header=BB6_356 Depth=4
	v_bfe_u32 v5, v1, 23, 8
	v_and_b32_e32 v4, 0x7fffff, v1
	v_cmp_gt_u32_e64 s16, 0x79, v5
	v_sub_nc_u32_e32 v24, 0x78, v5
	v_cmp_eq_u32_e32 vcc_lo, 0, v5
	v_or_b32_e32 v28, 0x800000, v4
	v_cndmask_b32_e64 v24, 0, v24, s16
	v_cndmask_b32_e32 v4, v28, v4, vcc_lo
	v_cndmask_b32_e64 v24, v24, 0x77, vcc_lo
	v_lshl_add_u32 v28, 0x100000, v24, -1
	v_lshlrev_b32_e64 v29, v24, 0x80000
	v_and_b32_e32 v28, v28, v4
	v_cmp_eq_u32_e64 s16, v28, v29
	v_lshrrev_b32_e32 v28, v24, v4
	v_add_nc_u32_e32 v4, 0xffffff89, v5
	v_lshrrev_b32_e32 v5, 23, v28
	v_cndmask_b32_e64 v4, v4, 0xffffff8a, vcc_lo
	v_xor_b32_e32 v5, 1, v5
	v_add_nc_u32_e32 v4, v24, v4
	v_bfe_u32 v24, v28, 20, 1
	v_add_nc_u32_e32 v24, -1, v24
	v_cndmask_b32_e64 v24, 0, v24, s16
	s_mov_b32 s16, exec_lo
	v_add_nc_u32_e32 v24, v24, v28
	v_and_b32_e32 v24, 0xfffff, v24
	v_add_nc_u32_e32 v24, v24, v28
                                        ; implicit-def: $vgpr28
	v_cmpx_ne_u32_e64 v4, v5
	s_xor_b32 s16, exec_lo, s16
; %bb.1071:                             ;   in Loop: Header=BB6_356 Depth=4
	v_cmp_lt_u32_e32 vcc_lo, 0xffffff, v24
	v_sub_nc_u32_e32 v4, v4, v5
	v_cndmask_b32_e64 v5, 0, 1, vcc_lo
	v_add_co_ci_u32_e64 v28, null, 0, v4, vcc_lo
	v_lshrrev_b32_e32 v24, v5, v24
; %bb.1072:                             ;   in Loop: Header=BB6_356 Depth=4
	s_andn2_saveexec_b32 s16, s16
; %bb.1073:                             ;   in Loop: Header=BB6_356 Depth=4
	v_bfe_u32 v28, v24, 23, 1
; %bb.1074:                             ;   in Loop: Header=BB6_356 Depth=4
	s_or_b32 exec_lo, exec_lo, s16
	v_lshrrev_b32_e32 v4, 20, v24
	v_min_i32_e32 v5, 15, v28
	v_cmp_gt_i32_e32 vcc_lo, 16, v28
	v_and_b32_sdwa v1, v1, v62 dst_sel:DWORD dst_unused:UNUSED_PAD src0_sel:BYTE_3 src1_sel:DWORD
	v_lshlrev_b32_e32 v5, 3, v5
	v_cndmask_b32_e32 v4, 7, v4, vcc_lo
	v_and_b32_e32 v5, 0xf8, v5
	v_or_b32_e32 v24, v28, v4
	v_and_b32_e32 v4, 7, v4
	v_cmp_ne_u32_e32 vcc_lo, 0, v24
	v_or3_b32 v1, v1, v5, v4
	v_lshlrev_b32_e32 v1, 8, v1
	v_cndmask_b32_e32 v24, 0, v1, vcc_lo
.LBB6_1075:                             ;   in Loop: Header=BB6_356 Depth=4
	s_or_b32 exec_lo, exec_lo, s73
.LBB6_1076:                             ;   in Loop: Header=BB6_356 Depth=4
	s_or_b32 exec_lo, exec_lo, s72
	v_cmp_gt_i16_sdwa s73, v33, v61 src0_sel:BYTE_0 src1_sel:DWORD
	s_andn2_b32 vcc_lo, exec_lo, s63
	s_mov_b32 s16, -1
                                        ; implicit-def: $vgpr1
	s_cbranch_vccnz .LBB6_1090
; %bb.1077:                             ;   in Loop: Header=BB6_356 Depth=4
	s_mov_b32 s72, 0
	s_and_saveexec_b32 s16, s73
	s_xor_b32 s16, exec_lo, s16
	s_cbranch_execz .LBB6_2818
; %bb.1078:                             ;   in Loop: Header=BB6_356 Depth=4
	v_cmp_eq_u16_sdwa s74, v33, v62 src0_sel:BYTE_0 src1_sel:DWORD
	s_mov_b32 s72, -1
	s_and_saveexec_b32 s73, s74
; %bb.1079:                             ;   in Loop: Header=BB6_356 Depth=4
	s_xor_b32 s72, exec_lo, -1
; %bb.1080:                             ;   in Loop: Header=BB6_356 Depth=4
	s_or_b32 exec_lo, exec_lo, s73
	s_and_b32 s72, s72, exec_lo
	s_or_saveexec_b32 s16, s16
	v_mov_b32_e32 v1, 0x7f800001
	s_xor_b32 exec_lo, exec_lo, s16
	s_cbranch_execnz .LBB6_2819
.LBB6_1081:                             ;   in Loop: Header=BB6_356 Depth=4
	s_or_b32 exec_lo, exec_lo, s16
	s_and_saveexec_b32 s16, s72
	s_cbranch_execz .LBB6_1083
.LBB6_1082:                             ;   in Loop: Header=BB6_356 Depth=4
	v_and_b32_e32 v1, 7, v33
	v_bfe_u32 v4, v33, 3, 4
	v_ffbh_u32_e32 v5, v1
	v_cmp_eq_u32_e32 vcc_lo, 0, v4
	v_min_u32_e32 v5, 32, v5
	v_subrev_nc_u32_e32 v28, 28, v5
	v_sub_nc_u32_e32 v5, 29, v5
	v_lshlrev_b32_e32 v28, v28, v33
	v_cndmask_b32_e32 v4, v4, v5, vcc_lo
	v_lshlrev_b32_e32 v5, 24, v33
	v_and_b32_e32 v28, 7, v28
	v_lshl_add_u32 v4, v4, 23, 0x3b800000
	v_and_b32_e32 v5, 0x80000000, v5
	v_cndmask_b32_e32 v1, v1, v28, vcc_lo
	v_lshlrev_b32_e32 v1, 20, v1
	v_or3_b32 v1, v5, v4, v1
.LBB6_1083:                             ;   in Loop: Header=BB6_356 Depth=4
	s_or_b32 exec_lo, exec_lo, s16
	v_cmp_gt_i16_sdwa s16, v25, v61 src0_sel:BYTE_0 src1_sel:DWORD
	s_mov_b32 s72, 0
	s_and_saveexec_b32 s73, s16
	s_xor_b32 s16, exec_lo, s73
	s_cbranch_execz .LBB6_2820
; %bb.1084:                             ;   in Loop: Header=BB6_356 Depth=4
	v_cmp_eq_u16_sdwa s74, v25, v62 src0_sel:BYTE_0 src1_sel:DWORD
	s_mov_b32 s72, -1
	s_and_saveexec_b32 s73, s74
; %bb.1085:                             ;   in Loop: Header=BB6_356 Depth=4
	s_xor_b32 s72, exec_lo, -1
; %bb.1086:                             ;   in Loop: Header=BB6_356 Depth=4
	s_or_b32 exec_lo, exec_lo, s73
	s_and_b32 s72, s72, exec_lo
	s_or_saveexec_b32 s16, s16
	v_mov_b32_e32 v4, 0x7f800001
	s_xor_b32 exec_lo, exec_lo, s16
	s_cbranch_execnz .LBB6_2821
.LBB6_1087:                             ;   in Loop: Header=BB6_356 Depth=4
	s_or_b32 exec_lo, exec_lo, s16
	s_and_saveexec_b32 s16, s72
	s_cbranch_execz .LBB6_1089
.LBB6_1088:                             ;   in Loop: Header=BB6_356 Depth=4
	v_and_b32_e32 v4, 7, v25
	v_bfe_u32 v5, v25, 3, 4
	v_ffbh_u32_e32 v28, v4
	v_cmp_eq_u32_e32 vcc_lo, 0, v5
	v_min_u32_e32 v28, 32, v28
	v_subrev_nc_u32_e32 v29, 28, v28
	v_sub_nc_u32_e32 v28, 29, v28
	v_lshlrev_b32_e32 v29, v29, v25
	v_cndmask_b32_e32 v5, v5, v28, vcc_lo
	v_lshlrev_b32_e32 v28, 24, v25
	v_and_b32_e32 v29, 7, v29
	v_lshl_add_u32 v5, v5, 23, 0x3b800000
	v_and_b32_e32 v28, 0x80000000, v28
	v_cndmask_b32_e32 v4, v4, v29, vcc_lo
	v_lshlrev_b32_e32 v4, 20, v4
	v_or3_b32 v4, v28, v5, v4
.LBB6_1089:                             ;   in Loop: Header=BB6_356 Depth=4
	s_or_b32 exec_lo, exec_lo, s16
	v_max_f32_e32 v4, v4, v4
	v_max_f32_e32 v1, v1, v1
	s_mov_b32 s16, 0
	v_max_f32_e32 v1, v1, v4
.LBB6_1090:                             ;   in Loop: Header=BB6_356 Depth=4
	s_and_b32 vcc_lo, exec_lo, s16
	s_cbranch_vccz .LBB6_1104
; %bb.1091:                             ;   in Loop: Header=BB6_356 Depth=4
	v_cmp_gt_i16_sdwa s16, v33, v61 src0_sel:BYTE_0 src1_sel:DWORD
	s_mov_b32 s72, 0
	s_and_saveexec_b32 s73, s16
	s_xor_b32 s16, exec_lo, s73
	s_cbranch_execz .LBB6_2822
; %bb.1092:                             ;   in Loop: Header=BB6_356 Depth=4
	v_cmp_eq_u16_sdwa s74, v33, v62 src0_sel:BYTE_0 src1_sel:DWORD
	s_mov_b32 s72, -1
	s_and_saveexec_b32 s73, s74
; %bb.1093:                             ;   in Loop: Header=BB6_356 Depth=4
	s_xor_b32 s72, exec_lo, -1
; %bb.1094:                             ;   in Loop: Header=BB6_356 Depth=4
	s_or_b32 exec_lo, exec_lo, s73
	s_and_b32 s72, s72, exec_lo
	s_or_saveexec_b32 s16, s16
	v_mov_b32_e32 v1, 0x7f800001
	s_xor_b32 exec_lo, exec_lo, s16
	s_cbranch_execnz .LBB6_2823
.LBB6_1095:                             ;   in Loop: Header=BB6_356 Depth=4
	s_or_b32 exec_lo, exec_lo, s16
	s_and_saveexec_b32 s16, s72
	s_cbranch_execz .LBB6_1097
.LBB6_1096:                             ;   in Loop: Header=BB6_356 Depth=4
	v_and_b32_e32 v1, 7, v33
	v_bfe_u32 v4, v33, 3, 4
	v_ffbh_u32_e32 v5, v1
	v_cmp_eq_u32_e32 vcc_lo, 0, v4
	v_min_u32_e32 v5, 32, v5
	v_subrev_nc_u32_e32 v28, 28, v5
	v_sub_nc_u32_e32 v5, 29, v5
	v_lshlrev_b32_e32 v28, v28, v33
	v_cndmask_b32_e32 v4, v4, v5, vcc_lo
	v_lshlrev_b32_e32 v5, 24, v33
	v_and_b32_e32 v28, 7, v28
	v_lshl_add_u32 v4, v4, 23, 0x3b800000
	v_and_b32_e32 v5, 0x80000000, v5
	v_cndmask_b32_e32 v1, v1, v28, vcc_lo
	v_lshlrev_b32_e32 v1, 20, v1
	v_or3_b32 v1, v5, v4, v1
.LBB6_1097:                             ;   in Loop: Header=BB6_356 Depth=4
	s_or_b32 exec_lo, exec_lo, s16
	v_cmp_gt_i16_sdwa s16, v25, v61 src0_sel:BYTE_0 src1_sel:DWORD
	s_mov_b32 s72, 0
	s_and_saveexec_b32 s73, s16
	s_xor_b32 s16, exec_lo, s73
	s_cbranch_execz .LBB6_2824
; %bb.1098:                             ;   in Loop: Header=BB6_356 Depth=4
	v_cmp_eq_u16_sdwa s74, v25, v62 src0_sel:BYTE_0 src1_sel:DWORD
	s_mov_b32 s72, -1
	s_and_saveexec_b32 s73, s74
; %bb.1099:                             ;   in Loop: Header=BB6_356 Depth=4
	s_xor_b32 s72, exec_lo, -1
; %bb.1100:                             ;   in Loop: Header=BB6_356 Depth=4
	s_or_b32 exec_lo, exec_lo, s73
	s_and_b32 s72, s72, exec_lo
	s_or_saveexec_b32 s16, s16
	v_mov_b32_e32 v4, 0x7f800001
	s_xor_b32 exec_lo, exec_lo, s16
	s_cbranch_execnz .LBB6_2825
.LBB6_1101:                             ;   in Loop: Header=BB6_356 Depth=4
	s_or_b32 exec_lo, exec_lo, s16
	s_and_saveexec_b32 s16, s72
	s_cbranch_execz .LBB6_1103
.LBB6_1102:                             ;   in Loop: Header=BB6_356 Depth=4
	v_and_b32_e32 v4, 7, v25
	v_bfe_u32 v5, v25, 3, 4
	v_ffbh_u32_e32 v28, v4
	v_cmp_eq_u32_e32 vcc_lo, 0, v5
	v_min_u32_e32 v28, 32, v28
	v_subrev_nc_u32_e32 v29, 28, v28
	v_sub_nc_u32_e32 v28, 29, v28
	v_lshlrev_b32_e32 v29, v29, v25
	v_cndmask_b32_e32 v5, v5, v28, vcc_lo
	v_lshlrev_b32_e32 v28, 24, v25
	v_and_b32_e32 v29, 7, v29
	v_lshl_add_u32 v5, v5, 23, 0x3b800000
	v_and_b32_e32 v28, 0x80000000, v28
	v_cndmask_b32_e32 v4, v4, v29, vcc_lo
	v_lshlrev_b32_e32 v4, 20, v4
	v_or3_b32 v4, v28, v5, v4
.LBB6_1103:                             ;   in Loop: Header=BB6_356 Depth=4
	s_or_b32 exec_lo, exec_lo, s16
	v_max_f32_e32 v4, v4, v4
	v_max_f32_e32 v1, v1, v1
	v_min_f32_e32 v1, v1, v4
.LBB6_1104:                             ;   in Loop: Header=BB6_356 Depth=4
	v_and_b32_e32 v4, 0x7f800000, v1
	v_mov_b32_e32 v32, 0x80
	s_mov_b32 s72, exec_lo
	v_cmpx_ne_u32_e32 0x7f800000, v4
	s_cbranch_execz .LBB6_1112
; %bb.1105:                             ;   in Loop: Header=BB6_356 Depth=4
	v_mov_b32_e32 v32, 0
	s_mov_b32 s73, exec_lo
	v_cmpx_ne_u32_e32 0, v1
	s_cbranch_execz .LBB6_1111
; %bb.1106:                             ;   in Loop: Header=BB6_356 Depth=4
	v_bfe_u32 v5, v1, 23, 8
	v_and_b32_e32 v4, 0x7fffff, v1
	v_cmp_gt_u32_e64 s16, 0x79, v5
	v_sub_nc_u32_e32 v28, 0x78, v5
	v_cmp_eq_u32_e32 vcc_lo, 0, v5
	v_or_b32_e32 v29, 0x800000, v4
	v_cndmask_b32_e64 v28, 0, v28, s16
	v_cndmask_b32_e32 v4, v29, v4, vcc_lo
	v_cndmask_b32_e64 v28, v28, 0x77, vcc_lo
	v_lshl_add_u32 v29, 0x100000, v28, -1
	v_lshlrev_b32_e64 v31, v28, 0x80000
	v_and_b32_e32 v29, v29, v4
	v_cmp_eq_u32_e64 s16, v29, v31
	v_lshrrev_b32_e32 v29, v28, v4
	v_add_nc_u32_e32 v4, 0xffffff89, v5
	v_lshrrev_b32_e32 v5, 23, v29
	v_cndmask_b32_e64 v4, v4, 0xffffff8a, vcc_lo
	v_xor_b32_e32 v5, 1, v5
	v_add_nc_u32_e32 v4, v28, v4
	v_bfe_u32 v28, v29, 20, 1
	v_add_nc_u32_e32 v28, -1, v28
	v_cndmask_b32_e64 v28, 0, v28, s16
	s_mov_b32 s16, exec_lo
	v_add_nc_u32_e32 v28, v28, v29
	v_and_b32_e32 v28, 0xfffff, v28
	v_add_nc_u32_e32 v28, v28, v29
                                        ; implicit-def: $vgpr29
	v_cmpx_ne_u32_e64 v4, v5
	s_xor_b32 s16, exec_lo, s16
; %bb.1107:                             ;   in Loop: Header=BB6_356 Depth=4
	v_cmp_lt_u32_e32 vcc_lo, 0xffffff, v28
	v_sub_nc_u32_e32 v4, v4, v5
	v_cndmask_b32_e64 v5, 0, 1, vcc_lo
	v_add_co_ci_u32_e64 v29, null, 0, v4, vcc_lo
	v_lshrrev_b32_e32 v28, v5, v28
; %bb.1108:                             ;   in Loop: Header=BB6_356 Depth=4
	s_andn2_saveexec_b32 s16, s16
; %bb.1109:                             ;   in Loop: Header=BB6_356 Depth=4
	v_bfe_u32 v29, v28, 23, 1
; %bb.1110:                             ;   in Loop: Header=BB6_356 Depth=4
	s_or_b32 exec_lo, exec_lo, s16
	v_lshrrev_b32_e32 v4, 20, v28
	v_min_i32_e32 v5, 15, v29
	v_cmp_gt_i32_e32 vcc_lo, 16, v29
	v_and_b32_sdwa v1, v1, v62 dst_sel:DWORD dst_unused:UNUSED_PAD src0_sel:BYTE_3 src1_sel:DWORD
	v_lshlrev_b32_e32 v5, 3, v5
	v_cndmask_b32_e32 v4, 7, v4, vcc_lo
	v_and_b32_e32 v5, 0xf8, v5
	v_or_b32_e32 v28, v29, v4
	v_and_b32_e32 v4, 7, v4
	v_cmp_ne_u32_e32 vcc_lo, 0, v28
	v_or3_b32 v1, v5, v1, v4
	v_cndmask_b32_e32 v32, 0, v1, vcc_lo
.LBB6_1111:                             ;   in Loop: Header=BB6_356 Depth=4
	s_or_b32 exec_lo, exec_lo, s73
.LBB6_1112:                             ;   in Loop: Header=BB6_356 Depth=4
	s_or_b32 exec_lo, exec_lo, s72
	v_cmp_gt_i16_sdwa s72, v33, v61 src0_sel:BYTE_1 src1_sel:DWORD
	s_andn2_b32 vcc_lo, exec_lo, s63
	s_mov_b32 s16, -1
                                        ; implicit-def: $vgpr1
	s_cbranch_vccnz .LBB6_1126
; %bb.1113:                             ;   in Loop: Header=BB6_356 Depth=4
	s_mov_b32 s16, 0
	s_and_saveexec_b32 s73, s72
	s_xor_b32 s72, exec_lo, s73
	s_cbranch_execz .LBB6_2826
; %bb.1114:                             ;   in Loop: Header=BB6_356 Depth=4
	v_cmp_eq_u16_sdwa s74, v33, v62 src0_sel:BYTE_1 src1_sel:DWORD
	s_mov_b32 s16, -1
	s_and_saveexec_b32 s73, s74
; %bb.1115:                             ;   in Loop: Header=BB6_356 Depth=4
	s_xor_b32 s16, exec_lo, -1
; %bb.1116:                             ;   in Loop: Header=BB6_356 Depth=4
	s_or_b32 exec_lo, exec_lo, s73
	s_and_b32 s16, s16, exec_lo
	s_or_saveexec_b32 s72, s72
	v_mov_b32_e32 v1, 0x7f800001
	s_xor_b32 exec_lo, exec_lo, s72
	s_cbranch_execnz .LBB6_2827
.LBB6_1117:                             ;   in Loop: Header=BB6_356 Depth=4
	s_or_b32 exec_lo, exec_lo, s72
	s_and_saveexec_b32 s72, s16
	s_cbranch_execz .LBB6_1119
.LBB6_1118:                             ;   in Loop: Header=BB6_356 Depth=4
	v_and_b32_sdwa v1, v63, v33 dst_sel:DWORD dst_unused:UNUSED_PAD src0_sel:DWORD src1_sel:BYTE_1
	v_and_b32_e32 v4, 7, v1
	v_bfe_u32 v29, v1, 3, 4
	v_ffbh_u32_e32 v5, v4
	v_cmp_eq_u32_e32 vcc_lo, 0, v29
	v_min_u32_e32 v5, 32, v5
	v_subrev_nc_u32_e32 v28, 28, v5
	v_sub_nc_u32_e32 v5, 29, v5
	v_lshlrev_b32_e32 v1, v28, v1
	v_lshlrev_b32_e32 v28, 16, v33
	v_cndmask_b32_e32 v5, v29, v5, vcc_lo
	v_and_b32_e32 v1, 7, v1
	v_lshl_add_u32 v5, v5, 23, 0x3b800000
	v_cndmask_b32_e32 v1, v4, v1, vcc_lo
	v_and_b32_e32 v4, 0x80000000, v28
	v_lshlrev_b32_e32 v1, 20, v1
	v_or3_b32 v1, v4, v5, v1
.LBB6_1119:                             ;   in Loop: Header=BB6_356 Depth=4
	s_or_b32 exec_lo, exec_lo, s72
	v_cmp_gt_i16_sdwa s72, v25, v61 src0_sel:BYTE_1 src1_sel:DWORD
	s_mov_b32 s16, 0
	s_and_saveexec_b32 s73, s72
	s_xor_b32 s72, exec_lo, s73
	s_cbranch_execz .LBB6_2828
; %bb.1120:                             ;   in Loop: Header=BB6_356 Depth=4
	v_cmp_eq_u16_sdwa s74, v25, v62 src0_sel:BYTE_1 src1_sel:DWORD
	s_mov_b32 s16, -1
	s_and_saveexec_b32 s73, s74
; %bb.1121:                             ;   in Loop: Header=BB6_356 Depth=4
	s_xor_b32 s16, exec_lo, -1
; %bb.1122:                             ;   in Loop: Header=BB6_356 Depth=4
	s_or_b32 exec_lo, exec_lo, s73
	s_and_b32 s16, s16, exec_lo
	s_or_saveexec_b32 s72, s72
	v_mov_b32_e32 v4, 0x7f800001
	s_xor_b32 exec_lo, exec_lo, s72
	s_cbranch_execnz .LBB6_2829
.LBB6_1123:                             ;   in Loop: Header=BB6_356 Depth=4
	s_or_b32 exec_lo, exec_lo, s72
	s_and_saveexec_b32 s72, s16
	s_cbranch_execz .LBB6_1125
.LBB6_1124:                             ;   in Loop: Header=BB6_356 Depth=4
	v_and_b32_sdwa v4, v63, v25 dst_sel:DWORD dst_unused:UNUSED_PAD src0_sel:DWORD src1_sel:BYTE_1
	v_and_b32_e32 v5, 7, v4
	v_bfe_u32 v31, v4, 3, 4
	v_ffbh_u32_e32 v28, v5
	v_cmp_eq_u32_e32 vcc_lo, 0, v31
	v_min_u32_e32 v28, 32, v28
	v_subrev_nc_u32_e32 v29, 28, v28
	v_sub_nc_u32_e32 v28, 29, v28
	v_lshlrev_b32_e32 v4, v29, v4
	v_lshlrev_b32_e32 v29, 16, v25
	v_cndmask_b32_e32 v28, v31, v28, vcc_lo
	v_and_b32_e32 v4, 7, v4
	v_lshl_add_u32 v28, v28, 23, 0x3b800000
	v_cndmask_b32_e32 v4, v5, v4, vcc_lo
	v_and_b32_e32 v5, 0x80000000, v29
	v_lshlrev_b32_e32 v4, 20, v4
	v_or3_b32 v4, v5, v28, v4
.LBB6_1125:                             ;   in Loop: Header=BB6_356 Depth=4
	s_or_b32 exec_lo, exec_lo, s72
	v_max_f32_e32 v4, v4, v4
	v_max_f32_e32 v1, v1, v1
	s_mov_b32 s16, 0
	v_max_f32_e32 v1, v1, v4
.LBB6_1126:                             ;   in Loop: Header=BB6_356 Depth=4
	s_and_b32 vcc_lo, exec_lo, s16
	s_cbranch_vccz .LBB6_1140
; %bb.1127:                             ;   in Loop: Header=BB6_356 Depth=4
	v_cmp_gt_i16_sdwa s72, v33, v61 src0_sel:BYTE_1 src1_sel:DWORD
	s_mov_b32 s16, 0
	s_and_saveexec_b32 s73, s72
	s_xor_b32 s72, exec_lo, s73
	s_cbranch_execz .LBB6_2830
; %bb.1128:                             ;   in Loop: Header=BB6_356 Depth=4
	v_cmp_eq_u16_sdwa s74, v33, v62 src0_sel:BYTE_1 src1_sel:DWORD
	s_mov_b32 s16, -1
	s_and_saveexec_b32 s73, s74
; %bb.1129:                             ;   in Loop: Header=BB6_356 Depth=4
	s_xor_b32 s16, exec_lo, -1
; %bb.1130:                             ;   in Loop: Header=BB6_356 Depth=4
	s_or_b32 exec_lo, exec_lo, s73
	s_and_b32 s16, s16, exec_lo
	s_or_saveexec_b32 s72, s72
	v_mov_b32_e32 v1, 0x7f800001
	s_xor_b32 exec_lo, exec_lo, s72
	s_cbranch_execnz .LBB6_2831
.LBB6_1131:                             ;   in Loop: Header=BB6_356 Depth=4
	s_or_b32 exec_lo, exec_lo, s72
	s_and_saveexec_b32 s72, s16
	s_cbranch_execz .LBB6_1133
.LBB6_1132:                             ;   in Loop: Header=BB6_356 Depth=4
	v_and_b32_sdwa v1, v63, v33 dst_sel:DWORD dst_unused:UNUSED_PAD src0_sel:DWORD src1_sel:BYTE_1
	v_and_b32_e32 v4, 7, v1
	v_bfe_u32 v29, v1, 3, 4
	v_ffbh_u32_e32 v5, v4
	v_cmp_eq_u32_e32 vcc_lo, 0, v29
	v_min_u32_e32 v5, 32, v5
	v_subrev_nc_u32_e32 v28, 28, v5
	v_sub_nc_u32_e32 v5, 29, v5
	v_lshlrev_b32_e32 v1, v28, v1
	v_lshlrev_b32_e32 v28, 16, v33
	v_cndmask_b32_e32 v5, v29, v5, vcc_lo
	v_and_b32_e32 v1, 7, v1
	v_lshl_add_u32 v5, v5, 23, 0x3b800000
	v_cndmask_b32_e32 v1, v4, v1, vcc_lo
	v_and_b32_e32 v4, 0x80000000, v28
	v_lshlrev_b32_e32 v1, 20, v1
	v_or3_b32 v1, v4, v5, v1
.LBB6_1133:                             ;   in Loop: Header=BB6_356 Depth=4
	s_or_b32 exec_lo, exec_lo, s72
	v_cmp_gt_i16_sdwa s72, v25, v61 src0_sel:BYTE_1 src1_sel:DWORD
	s_mov_b32 s16, 0
	s_and_saveexec_b32 s73, s72
	s_xor_b32 s72, exec_lo, s73
	s_cbranch_execz .LBB6_2832
; %bb.1134:                             ;   in Loop: Header=BB6_356 Depth=4
	v_cmp_eq_u16_sdwa s74, v25, v62 src0_sel:BYTE_1 src1_sel:DWORD
	s_mov_b32 s16, -1
	s_and_saveexec_b32 s73, s74
; %bb.1135:                             ;   in Loop: Header=BB6_356 Depth=4
	s_xor_b32 s16, exec_lo, -1
; %bb.1136:                             ;   in Loop: Header=BB6_356 Depth=4
	s_or_b32 exec_lo, exec_lo, s73
	s_and_b32 s16, s16, exec_lo
	s_or_saveexec_b32 s72, s72
	v_mov_b32_e32 v4, 0x7f800001
	s_xor_b32 exec_lo, exec_lo, s72
	s_cbranch_execnz .LBB6_2833
.LBB6_1137:                             ;   in Loop: Header=BB6_356 Depth=4
	s_or_b32 exec_lo, exec_lo, s72
	s_and_saveexec_b32 s72, s16
	s_cbranch_execz .LBB6_1139
.LBB6_1138:                             ;   in Loop: Header=BB6_356 Depth=4
	v_and_b32_sdwa v4, v63, v25 dst_sel:DWORD dst_unused:UNUSED_PAD src0_sel:DWORD src1_sel:BYTE_1
	v_and_b32_e32 v5, 7, v4
	v_bfe_u32 v31, v4, 3, 4
	v_ffbh_u32_e32 v28, v5
	v_cmp_eq_u32_e32 vcc_lo, 0, v31
	v_min_u32_e32 v28, 32, v28
	v_subrev_nc_u32_e32 v29, 28, v28
	v_sub_nc_u32_e32 v28, 29, v28
	v_lshlrev_b32_e32 v4, v29, v4
	v_lshlrev_b32_e32 v29, 16, v25
	v_cndmask_b32_e32 v28, v31, v28, vcc_lo
	v_and_b32_e32 v4, 7, v4
	v_lshl_add_u32 v28, v28, 23, 0x3b800000
	v_cndmask_b32_e32 v4, v5, v4, vcc_lo
	v_and_b32_e32 v5, 0x80000000, v29
	v_lshlrev_b32_e32 v4, 20, v4
	v_or3_b32 v4, v5, v28, v4
.LBB6_1139:                             ;   in Loop: Header=BB6_356 Depth=4
	s_or_b32 exec_lo, exec_lo, s72
	v_max_f32_e32 v4, v4, v4
	v_max_f32_e32 v1, v1, v1
	v_min_f32_e32 v1, v1, v4
.LBB6_1140:                             ;   in Loop: Header=BB6_356 Depth=4
	v_and_b32_e32 v4, 0x7f800000, v1
	v_mov_b32_e32 v55, 0x8000
	s_mov_b32 s72, exec_lo
	v_cmpx_ne_u32_e32 0x7f800000, v4
	s_cbranch_execz .LBB6_1148
; %bb.1141:                             ;   in Loop: Header=BB6_356 Depth=4
	v_mov_b32_e32 v55, 0
	s_mov_b32 s73, exec_lo
	v_cmpx_ne_u32_e32 0, v1
	s_cbranch_execz .LBB6_1147
; %bb.1142:                             ;   in Loop: Header=BB6_356 Depth=4
	v_bfe_u32 v5, v1, 23, 8
	v_and_b32_e32 v4, 0x7fffff, v1
	v_cmp_gt_u32_e64 s16, 0x79, v5
	v_sub_nc_u32_e32 v28, 0x78, v5
	v_cmp_eq_u32_e32 vcc_lo, 0, v5
	v_or_b32_e32 v29, 0x800000, v4
	v_cndmask_b32_e64 v28, 0, v28, s16
	v_cndmask_b32_e32 v4, v29, v4, vcc_lo
	v_cndmask_b32_e64 v28, v28, 0x77, vcc_lo
	v_lshl_add_u32 v29, 0x100000, v28, -1
	v_lshlrev_b32_e64 v31, v28, 0x80000
	v_and_b32_e32 v29, v29, v4
	v_cmp_eq_u32_e64 s16, v29, v31
	v_lshrrev_b32_e32 v29, v28, v4
	v_add_nc_u32_e32 v4, 0xffffff89, v5
	v_lshrrev_b32_e32 v5, 23, v29
	v_cndmask_b32_e64 v4, v4, 0xffffff8a, vcc_lo
	v_xor_b32_e32 v5, 1, v5
	v_add_nc_u32_e32 v4, v28, v4
	v_bfe_u32 v28, v29, 20, 1
	v_add_nc_u32_e32 v28, -1, v28
	v_cndmask_b32_e64 v28, 0, v28, s16
	s_mov_b32 s16, exec_lo
	v_add_nc_u32_e32 v28, v28, v29
	v_and_b32_e32 v28, 0xfffff, v28
	v_add_nc_u32_e32 v28, v28, v29
                                        ; implicit-def: $vgpr29
	v_cmpx_ne_u32_e64 v4, v5
	s_xor_b32 s16, exec_lo, s16
; %bb.1143:                             ;   in Loop: Header=BB6_356 Depth=4
	v_cmp_lt_u32_e32 vcc_lo, 0xffffff, v28
	v_sub_nc_u32_e32 v4, v4, v5
	v_cndmask_b32_e64 v5, 0, 1, vcc_lo
	v_add_co_ci_u32_e64 v29, null, 0, v4, vcc_lo
	v_lshrrev_b32_e32 v28, v5, v28
; %bb.1144:                             ;   in Loop: Header=BB6_356 Depth=4
	s_andn2_saveexec_b32 s16, s16
; %bb.1145:                             ;   in Loop: Header=BB6_356 Depth=4
	v_bfe_u32 v29, v28, 23, 1
; %bb.1146:                             ;   in Loop: Header=BB6_356 Depth=4
	s_or_b32 exec_lo, exec_lo, s16
	v_lshrrev_b32_e32 v4, 20, v28
	v_min_i32_e32 v5, 15, v29
	v_cmp_gt_i32_e32 vcc_lo, 16, v29
	v_and_b32_sdwa v1, v1, v62 dst_sel:DWORD dst_unused:UNUSED_PAD src0_sel:BYTE_3 src1_sel:DWORD
	v_lshlrev_b32_e32 v5, 3, v5
	v_cndmask_b32_e32 v4, 7, v4, vcc_lo
	v_and_b32_e32 v5, 0xf8, v5
	v_or_b32_e32 v28, v29, v4
	v_and_b32_e32 v4, 7, v4
	v_cmp_ne_u32_e32 vcc_lo, 0, v28
	v_or3_b32 v1, v1, v5, v4
	v_lshlrev_b32_e32 v1, 8, v1
	v_cndmask_b32_e32 v55, 0, v1, vcc_lo
.LBB6_1147:                             ;   in Loop: Header=BB6_356 Depth=4
	s_or_b32 exec_lo, exec_lo, s73
.LBB6_1148:                             ;   in Loop: Header=BB6_356 Depth=4
	s_or_b32 exec_lo, exec_lo, s72
	v_and_b32_sdwa v1, v33, v72 dst_sel:DWORD dst_unused:UNUSED_PAD src0_sel:WORD_1 src1_sel:DWORD
	s_andn2_b32 vcc_lo, exec_lo, s63
	s_mov_b32 s72, -1
                                        ; implicit-def: $vgpr4
	v_cmp_lt_i16_e64 s16, 0x7f, v1
	s_cbranch_vccnz .LBB6_1162
; %bb.1149:                             ;   in Loop: Header=BB6_356 Depth=4
	s_mov_b32 s72, 0
	s_and_saveexec_b32 s73, s16
	s_xor_b32 s16, exec_lo, s73
	s_cbranch_execz .LBB6_2834
; %bb.1150:                             ;   in Loop: Header=BB6_356 Depth=4
	s_mov_b32 s72, -1
	s_mov_b32 s73, exec_lo
	v_cmpx_eq_u16_e32 0x80, v1
; %bb.1151:                             ;   in Loop: Header=BB6_356 Depth=4
	s_xor_b32 s72, exec_lo, -1
; %bb.1152:                             ;   in Loop: Header=BB6_356 Depth=4
	s_or_b32 exec_lo, exec_lo, s73
	s_and_b32 s72, s72, exec_lo
	s_or_saveexec_b32 s16, s16
	v_mov_b32_e32 v4, 0x7f800001
	s_xor_b32 exec_lo, exec_lo, s16
	s_cbranch_execnz .LBB6_2835
.LBB6_1153:                             ;   in Loop: Header=BB6_356 Depth=4
	s_or_b32 exec_lo, exec_lo, s16
	s_and_saveexec_b32 s16, s72
	s_cbranch_execz .LBB6_1155
.LBB6_1154:                             ;   in Loop: Header=BB6_356 Depth=4
	v_bfe_u32 v4, v33, 16, 3
	v_bfe_u32 v5, v33, 19, 4
	v_ffbh_u32_e32 v28, v4
	v_cmp_eq_u32_e32 vcc_lo, 0, v5
	v_min_u32_e32 v28, 32, v28
	v_subrev_nc_u32_e32 v29, 28, v28
	v_sub_nc_u32_e32 v28, 29, v28
	v_lshlrev_b32_sdwa v29, v29, v33 dst_sel:DWORD dst_unused:UNUSED_PAD src0_sel:DWORD src1_sel:WORD_1
	v_cndmask_b32_e32 v5, v5, v28, vcc_lo
	v_lshlrev_b32_sdwa v28, v73, v33 dst_sel:DWORD dst_unused:UNUSED_PAD src0_sel:DWORD src1_sel:WORD_1
	v_and_b32_e32 v29, 7, v29
	v_lshl_add_u32 v5, v5, 23, 0x3b800000
	v_and_b32_e32 v28, 0x80000000, v28
	v_cndmask_b32_e32 v4, v4, v29, vcc_lo
	v_lshlrev_b32_e32 v4, 20, v4
	v_or3_b32 v4, v28, v5, v4
.LBB6_1155:                             ;   in Loop: Header=BB6_356 Depth=4
	s_or_b32 exec_lo, exec_lo, s16
	v_and_b32_sdwa v28, v25, v72 dst_sel:DWORD dst_unused:UNUSED_PAD src0_sel:WORD_1 src1_sel:DWORD
	s_mov_b32 s72, 0
	s_mov_b32 s16, exec_lo
	v_cmpx_lt_i16_e32 0x7f, v28
	s_xor_b32 s16, exec_lo, s16
	s_cbranch_execz .LBB6_2836
; %bb.1156:                             ;   in Loop: Header=BB6_356 Depth=4
	s_mov_b32 s72, -1
	s_mov_b32 s73, exec_lo
	v_cmpx_eq_u16_e32 0x80, v28
; %bb.1157:                             ;   in Loop: Header=BB6_356 Depth=4
	s_xor_b32 s72, exec_lo, -1
; %bb.1158:                             ;   in Loop: Header=BB6_356 Depth=4
	s_or_b32 exec_lo, exec_lo, s73
	s_and_b32 s72, s72, exec_lo
                                        ; implicit-def: $vgpr28
	s_or_saveexec_b32 s16, s16
	v_mov_b32_e32 v5, 0x7f800001
	s_xor_b32 exec_lo, exec_lo, s16
	s_cbranch_execnz .LBB6_2837
.LBB6_1159:                             ;   in Loop: Header=BB6_356 Depth=4
	s_or_b32 exec_lo, exec_lo, s16
	s_and_saveexec_b32 s16, s72
	s_cbranch_execz .LBB6_1161
.LBB6_1160:                             ;   in Loop: Header=BB6_356 Depth=4
	v_bfe_u32 v5, v25, 16, 3
	v_bfe_u32 v28, v25, 19, 4
	v_ffbh_u32_e32 v29, v5
	v_cmp_eq_u32_e32 vcc_lo, 0, v28
	v_min_u32_e32 v29, 32, v29
	v_subrev_nc_u32_e32 v31, 28, v29
	v_sub_nc_u32_e32 v29, 29, v29
	v_lshlrev_b32_sdwa v31, v31, v25 dst_sel:DWORD dst_unused:UNUSED_PAD src0_sel:DWORD src1_sel:WORD_1
	v_cndmask_b32_e32 v28, v28, v29, vcc_lo
	v_lshlrev_b32_sdwa v29, v73, v25 dst_sel:DWORD dst_unused:UNUSED_PAD src0_sel:DWORD src1_sel:WORD_1
	v_and_b32_e32 v31, 7, v31
	v_lshl_add_u32 v28, v28, 23, 0x3b800000
	v_and_b32_e32 v29, 0x80000000, v29
	v_cndmask_b32_e32 v5, v5, v31, vcc_lo
	v_lshlrev_b32_e32 v5, 20, v5
	v_or3_b32 v5, v29, v28, v5
.LBB6_1161:                             ;   in Loop: Header=BB6_356 Depth=4
	s_or_b32 exec_lo, exec_lo, s16
	v_max_f32_e32 v5, v5, v5
	v_max_f32_e32 v4, v4, v4
	s_mov_b32 s72, 0
	v_max_f32_e32 v4, v4, v5
.LBB6_1162:                             ;   in Loop: Header=BB6_356 Depth=4
	s_and_b32 vcc_lo, exec_lo, s72
	s_cbranch_vccz .LBB6_1176
; %bb.1163:                             ;   in Loop: Header=BB6_356 Depth=4
	s_mov_b32 s72, 0
	s_mov_b32 s16, exec_lo
	v_cmpx_lt_i16_e32 0x7f, v1
	s_xor_b32 s16, exec_lo, s16
	s_cbranch_execz .LBB6_2838
; %bb.1164:                             ;   in Loop: Header=BB6_356 Depth=4
	s_mov_b32 s72, -1
	s_mov_b32 s73, exec_lo
	v_cmpx_eq_u16_e32 0x80, v1
; %bb.1165:                             ;   in Loop: Header=BB6_356 Depth=4
	s_xor_b32 s72, exec_lo, -1
; %bb.1166:                             ;   in Loop: Header=BB6_356 Depth=4
	s_or_b32 exec_lo, exec_lo, s73
	s_and_b32 s72, s72, exec_lo
                                        ; implicit-def: $vgpr1
	s_or_saveexec_b32 s16, s16
	v_mov_b32_e32 v4, 0x7f800001
	s_xor_b32 exec_lo, exec_lo, s16
	s_cbranch_execnz .LBB6_2839
.LBB6_1167:                             ;   in Loop: Header=BB6_356 Depth=4
	s_or_b32 exec_lo, exec_lo, s16
	s_and_saveexec_b32 s16, s72
	s_cbranch_execz .LBB6_1169
.LBB6_1168:                             ;   in Loop: Header=BB6_356 Depth=4
	v_bfe_u32 v1, v33, 16, 3
	v_bfe_u32 v4, v33, 19, 4
	v_ffbh_u32_e32 v5, v1
	v_cmp_eq_u32_e32 vcc_lo, 0, v4
	v_min_u32_e32 v5, 32, v5
	v_subrev_nc_u32_e32 v28, 28, v5
	v_sub_nc_u32_e32 v5, 29, v5
	v_lshlrev_b32_sdwa v28, v28, v33 dst_sel:DWORD dst_unused:UNUSED_PAD src0_sel:DWORD src1_sel:WORD_1
	v_cndmask_b32_e32 v4, v4, v5, vcc_lo
	v_lshlrev_b32_sdwa v5, v73, v33 dst_sel:DWORD dst_unused:UNUSED_PAD src0_sel:DWORD src1_sel:WORD_1
	v_and_b32_e32 v28, 7, v28
	v_lshl_add_u32 v4, v4, 23, 0x3b800000
	v_and_b32_e32 v5, 0x80000000, v5
	v_cndmask_b32_e32 v1, v1, v28, vcc_lo
	v_lshlrev_b32_e32 v1, 20, v1
	v_or3_b32 v4, v5, v4, v1
.LBB6_1169:                             ;   in Loop: Header=BB6_356 Depth=4
	s_or_b32 exec_lo, exec_lo, s16
	v_and_b32_sdwa v5, v25, v72 dst_sel:DWORD dst_unused:UNUSED_PAD src0_sel:WORD_1 src1_sel:DWORD
	s_mov_b32 s72, 0
	s_mov_b32 s16, exec_lo
	v_cmpx_lt_i16_e32 0x7f, v5
	s_xor_b32 s16, exec_lo, s16
	s_cbranch_execz .LBB6_2840
; %bb.1170:                             ;   in Loop: Header=BB6_356 Depth=4
	s_mov_b32 s72, -1
	s_mov_b32 s73, exec_lo
	v_cmpx_eq_u16_e32 0x80, v5
; %bb.1171:                             ;   in Loop: Header=BB6_356 Depth=4
	s_xor_b32 s72, exec_lo, -1
; %bb.1172:                             ;   in Loop: Header=BB6_356 Depth=4
	s_or_b32 exec_lo, exec_lo, s73
	s_and_b32 s72, s72, exec_lo
                                        ; implicit-def: $vgpr5
	s_or_saveexec_b32 s16, s16
	v_mov_b32_e32 v1, 0x7f800001
	s_xor_b32 exec_lo, exec_lo, s16
	s_cbranch_execnz .LBB6_2841
.LBB6_1173:                             ;   in Loop: Header=BB6_356 Depth=4
	s_or_b32 exec_lo, exec_lo, s16
	s_and_saveexec_b32 s16, s72
	s_cbranch_execz .LBB6_1175
.LBB6_1174:                             ;   in Loop: Header=BB6_356 Depth=4
	v_bfe_u32 v1, v25, 16, 3
	v_bfe_u32 v5, v25, 19, 4
	v_ffbh_u32_e32 v28, v1
	v_cmp_eq_u32_e32 vcc_lo, 0, v5
	v_min_u32_e32 v28, 32, v28
	v_subrev_nc_u32_e32 v29, 28, v28
	v_sub_nc_u32_e32 v28, 29, v28
	v_lshlrev_b32_sdwa v29, v29, v25 dst_sel:DWORD dst_unused:UNUSED_PAD src0_sel:DWORD src1_sel:WORD_1
	v_cndmask_b32_e32 v5, v5, v28, vcc_lo
	v_lshlrev_b32_sdwa v28, v73, v25 dst_sel:DWORD dst_unused:UNUSED_PAD src0_sel:DWORD src1_sel:WORD_1
	v_and_b32_e32 v29, 7, v29
	v_lshl_add_u32 v5, v5, 23, 0x3b800000
	v_and_b32_e32 v28, 0x80000000, v28
	v_cndmask_b32_e32 v1, v1, v29, vcc_lo
	v_lshlrev_b32_e32 v1, 20, v1
	v_or3_b32 v1, v28, v5, v1
.LBB6_1175:                             ;   in Loop: Header=BB6_356 Depth=4
	s_or_b32 exec_lo, exec_lo, s16
	v_max_f32_e32 v1, v1, v1
	v_max_f32_e32 v4, v4, v4
	v_min_f32_e32 v4, v4, v1
.LBB6_1176:                             ;   in Loop: Header=BB6_356 Depth=4
	v_and_b32_e32 v1, 0x7f800000, v4
	v_mov_b32_e32 v28, 0x80
	s_mov_b32 s72, exec_lo
	v_cmpx_ne_u32_e32 0x7f800000, v1
	s_cbranch_execz .LBB6_1184
; %bb.1177:                             ;   in Loop: Header=BB6_356 Depth=4
	v_mov_b32_e32 v28, 0
	s_mov_b32 s73, exec_lo
	v_cmpx_ne_u32_e32 0, v4
	s_cbranch_execz .LBB6_1183
; %bb.1178:                             ;   in Loop: Header=BB6_356 Depth=4
	v_bfe_u32 v5, v4, 23, 8
	v_and_b32_e32 v1, 0x7fffff, v4
	v_cmp_gt_u32_e64 s16, 0x79, v5
	v_sub_nc_u32_e32 v28, 0x78, v5
	v_cmp_eq_u32_e32 vcc_lo, 0, v5
	v_or_b32_e32 v29, 0x800000, v1
	v_cndmask_b32_e64 v28, 0, v28, s16
	v_cndmask_b32_e32 v1, v29, v1, vcc_lo
	v_cndmask_b32_e64 v28, v28, 0x77, vcc_lo
	v_lshl_add_u32 v29, 0x100000, v28, -1
	v_lshlrev_b32_e64 v31, v28, 0x80000
	v_and_b32_e32 v29, v29, v1
	v_cmp_eq_u32_e64 s16, v29, v31
	v_lshrrev_b32_e32 v29, v28, v1
	v_add_nc_u32_e32 v1, 0xffffff89, v5
	v_lshrrev_b32_e32 v5, 23, v29
	v_cndmask_b32_e64 v1, v1, 0xffffff8a, vcc_lo
	v_xor_b32_e32 v5, 1, v5
	v_add_nc_u32_e32 v1, v28, v1
	v_bfe_u32 v28, v29, 20, 1
	v_add_nc_u32_e32 v28, -1, v28
	v_cndmask_b32_e64 v28, 0, v28, s16
	s_mov_b32 s16, exec_lo
	v_add_nc_u32_e32 v28, v28, v29
	v_and_b32_e32 v28, 0xfffff, v28
	v_add_nc_u32_e32 v28, v28, v29
                                        ; implicit-def: $vgpr29
	v_cmpx_ne_u32_e64 v1, v5
	s_xor_b32 s16, exec_lo, s16
; %bb.1179:                             ;   in Loop: Header=BB6_356 Depth=4
	v_cmp_lt_u32_e32 vcc_lo, 0xffffff, v28
	v_sub_nc_u32_e32 v1, v1, v5
	v_cndmask_b32_e64 v5, 0, 1, vcc_lo
	v_add_co_ci_u32_e64 v29, null, 0, v1, vcc_lo
	v_lshrrev_b32_e32 v28, v5, v28
; %bb.1180:                             ;   in Loop: Header=BB6_356 Depth=4
	s_andn2_saveexec_b32 s16, s16
; %bb.1181:                             ;   in Loop: Header=BB6_356 Depth=4
	v_bfe_u32 v29, v28, 23, 1
; %bb.1182:                             ;   in Loop: Header=BB6_356 Depth=4
	s_or_b32 exec_lo, exec_lo, s16
	v_and_b32_sdwa v1, v4, v62 dst_sel:DWORD dst_unused:UNUSED_PAD src0_sel:BYTE_3 src1_sel:DWORD
	v_lshrrev_b32_e32 v4, 20, v28
	v_min_i32_e32 v5, 15, v29
	v_cmp_gt_i32_e32 vcc_lo, 16, v29
	v_lshlrev_b32_e32 v5, 3, v5
	v_cndmask_b32_e32 v4, 7, v4, vcc_lo
	v_and_b32_e32 v5, 0xf8, v5
	v_or_b32_e32 v28, v29, v4
	v_and_b32_e32 v4, 7, v4
	v_cmp_ne_u32_e32 vcc_lo, 0, v28
	v_or3_b32 v1, v5, v1, v4
	v_cndmask_b32_e32 v28, 0, v1, vcc_lo
.LBB6_1183:                             ;   in Loop: Header=BB6_356 Depth=4
	s_or_b32 exec_lo, exec_lo, s73
.LBB6_1184:                             ;   in Loop: Header=BB6_356 Depth=4
	s_or_b32 exec_lo, exec_lo, s72
	v_cmp_gt_i16_sdwa s72, v33, v61 src0_sel:BYTE_3 src1_sel:DWORD
	s_andn2_b32 vcc_lo, exec_lo, s63
	s_mov_b32 s16, -1
                                        ; implicit-def: $vgpr1
	s_cbranch_vccnz .LBB6_1198
; %bb.1185:                             ;   in Loop: Header=BB6_356 Depth=4
	s_mov_b32 s16, 0
	s_and_saveexec_b32 s73, s72
	s_xor_b32 s72, exec_lo, s73
	s_cbranch_execz .LBB6_2842
; %bb.1186:                             ;   in Loop: Header=BB6_356 Depth=4
	v_cmp_eq_u16_sdwa s74, v33, v62 src0_sel:BYTE_3 src1_sel:DWORD
	s_mov_b32 s16, -1
	s_and_saveexec_b32 s73, s74
; %bb.1187:                             ;   in Loop: Header=BB6_356 Depth=4
	s_xor_b32 s16, exec_lo, -1
; %bb.1188:                             ;   in Loop: Header=BB6_356 Depth=4
	s_or_b32 exec_lo, exec_lo, s73
	s_and_b32 s16, s16, exec_lo
	s_or_saveexec_b32 s72, s72
	v_mov_b32_e32 v1, 0x7f800001
	s_xor_b32 exec_lo, exec_lo, s72
	s_cbranch_execnz .LBB6_2843
.LBB6_1189:                             ;   in Loop: Header=BB6_356 Depth=4
	s_or_b32 exec_lo, exec_lo, s72
	s_and_saveexec_b32 s72, s16
	s_cbranch_execz .LBB6_1191
.LBB6_1190:                             ;   in Loop: Header=BB6_356 Depth=4
	v_bfe_u32 v1, v33, 24, 3
	v_bfe_u32 v29, v33, 27, 4
	v_ffbh_u32_e32 v4, v1
	v_cmp_eq_u32_e32 vcc_lo, 0, v29
	v_min_u32_e32 v4, 32, v4
	v_subrev_nc_u32_e32 v5, 28, v4
	v_sub_nc_u32_e32 v4, 29, v4
	v_lshlrev_b32_sdwa v5, v5, v33 dst_sel:DWORD dst_unused:UNUSED_PAD src0_sel:DWORD src1_sel:BYTE_3
	v_cndmask_b32_e32 v4, v29, v4, vcc_lo
	v_and_b32_e32 v5, 7, v5
	v_lshl_add_u32 v4, v4, 23, 0x3b800000
	v_cndmask_b32_e32 v1, v1, v5, vcc_lo
	v_and_b32_e32 v5, 0x80000000, v33
	v_lshlrev_b32_e32 v1, 20, v1
	v_or3_b32 v1, v5, v4, v1
.LBB6_1191:                             ;   in Loop: Header=BB6_356 Depth=4
	s_or_b32 exec_lo, exec_lo, s72
	v_cmp_gt_i16_sdwa s72, v25, v61 src0_sel:BYTE_3 src1_sel:DWORD
	s_mov_b32 s16, 0
	s_and_saveexec_b32 s73, s72
	s_xor_b32 s72, exec_lo, s73
	s_cbranch_execz .LBB6_2844
; %bb.1192:                             ;   in Loop: Header=BB6_356 Depth=4
	v_cmp_eq_u16_sdwa s74, v25, v62 src0_sel:BYTE_3 src1_sel:DWORD
	s_mov_b32 s16, -1
	s_and_saveexec_b32 s73, s74
; %bb.1193:                             ;   in Loop: Header=BB6_356 Depth=4
	s_xor_b32 s16, exec_lo, -1
; %bb.1194:                             ;   in Loop: Header=BB6_356 Depth=4
	s_or_b32 exec_lo, exec_lo, s73
	s_and_b32 s16, s16, exec_lo
	s_or_saveexec_b32 s72, s72
	v_mov_b32_e32 v4, 0x7f800001
	s_xor_b32 exec_lo, exec_lo, s72
	s_cbranch_execnz .LBB6_2845
.LBB6_1195:                             ;   in Loop: Header=BB6_356 Depth=4
	s_or_b32 exec_lo, exec_lo, s72
	s_and_saveexec_b32 s72, s16
	s_cbranch_execz .LBB6_1197
.LBB6_1196:                             ;   in Loop: Header=BB6_356 Depth=4
	v_bfe_u32 v4, v25, 24, 3
	v_bfe_u32 v31, v25, 27, 4
	v_ffbh_u32_e32 v5, v4
	v_cmp_eq_u32_e32 vcc_lo, 0, v31
	v_min_u32_e32 v5, 32, v5
	v_subrev_nc_u32_e32 v29, 28, v5
	v_sub_nc_u32_e32 v5, 29, v5
	v_lshlrev_b32_sdwa v29, v29, v25 dst_sel:DWORD dst_unused:UNUSED_PAD src0_sel:DWORD src1_sel:BYTE_3
	v_cndmask_b32_e32 v5, v31, v5, vcc_lo
	v_and_b32_e32 v29, 7, v29
	v_lshl_add_u32 v5, v5, 23, 0x3b800000
	v_cndmask_b32_e32 v4, v4, v29, vcc_lo
	v_and_b32_e32 v29, 0x80000000, v25
	v_lshlrev_b32_e32 v4, 20, v4
	v_or3_b32 v4, v29, v5, v4
.LBB6_1197:                             ;   in Loop: Header=BB6_356 Depth=4
	s_or_b32 exec_lo, exec_lo, s72
	v_max_f32_e32 v4, v4, v4
	v_max_f32_e32 v1, v1, v1
	s_mov_b32 s16, 0
	v_max_f32_e32 v1, v1, v4
.LBB6_1198:                             ;   in Loop: Header=BB6_356 Depth=4
	s_and_b32 vcc_lo, exec_lo, s16
	s_cbranch_vccz .LBB6_1212
; %bb.1199:                             ;   in Loop: Header=BB6_356 Depth=4
	v_cmp_gt_i16_sdwa s72, v33, v61 src0_sel:BYTE_3 src1_sel:DWORD
	s_mov_b32 s16, 0
	s_and_saveexec_b32 s73, s72
	s_xor_b32 s72, exec_lo, s73
	s_cbranch_execz .LBB6_2846
; %bb.1200:                             ;   in Loop: Header=BB6_356 Depth=4
	v_cmp_eq_u16_sdwa s74, v33, v62 src0_sel:BYTE_3 src1_sel:DWORD
	s_mov_b32 s16, -1
	s_and_saveexec_b32 s73, s74
; %bb.1201:                             ;   in Loop: Header=BB6_356 Depth=4
	s_xor_b32 s16, exec_lo, -1
; %bb.1202:                             ;   in Loop: Header=BB6_356 Depth=4
	s_or_b32 exec_lo, exec_lo, s73
	s_and_b32 s16, s16, exec_lo
	s_or_saveexec_b32 s72, s72
	v_mov_b32_e32 v1, 0x7f800001
	s_xor_b32 exec_lo, exec_lo, s72
	s_cbranch_execnz .LBB6_2847
.LBB6_1203:                             ;   in Loop: Header=BB6_356 Depth=4
	s_or_b32 exec_lo, exec_lo, s72
	s_and_saveexec_b32 s72, s16
	s_cbranch_execz .LBB6_1205
.LBB6_1204:                             ;   in Loop: Header=BB6_356 Depth=4
	v_bfe_u32 v1, v33, 24, 3
	v_bfe_u32 v29, v33, 27, 4
	v_ffbh_u32_e32 v4, v1
	v_cmp_eq_u32_e32 vcc_lo, 0, v29
	v_min_u32_e32 v4, 32, v4
	v_subrev_nc_u32_e32 v5, 28, v4
	v_sub_nc_u32_e32 v4, 29, v4
	v_lshlrev_b32_sdwa v5, v5, v33 dst_sel:DWORD dst_unused:UNUSED_PAD src0_sel:DWORD src1_sel:BYTE_3
	v_cndmask_b32_e32 v4, v29, v4, vcc_lo
	v_and_b32_e32 v5, 7, v5
	v_lshl_add_u32 v4, v4, 23, 0x3b800000
	v_cndmask_b32_e32 v1, v1, v5, vcc_lo
	v_and_b32_e32 v5, 0x80000000, v33
	v_lshlrev_b32_e32 v1, 20, v1
	v_or3_b32 v1, v5, v4, v1
.LBB6_1205:                             ;   in Loop: Header=BB6_356 Depth=4
	s_or_b32 exec_lo, exec_lo, s72
	v_cmp_gt_i16_sdwa s72, v25, v61 src0_sel:BYTE_3 src1_sel:DWORD
	s_mov_b32 s16, 0
	s_and_saveexec_b32 s73, s72
	s_xor_b32 s72, exec_lo, s73
	s_cbranch_execz .LBB6_2848
; %bb.1206:                             ;   in Loop: Header=BB6_356 Depth=4
	v_cmp_eq_u16_sdwa s74, v25, v62 src0_sel:BYTE_3 src1_sel:DWORD
	s_mov_b32 s16, -1
	s_and_saveexec_b32 s73, s74
; %bb.1207:                             ;   in Loop: Header=BB6_356 Depth=4
	s_xor_b32 s16, exec_lo, -1
; %bb.1208:                             ;   in Loop: Header=BB6_356 Depth=4
	s_or_b32 exec_lo, exec_lo, s73
	s_and_b32 s16, s16, exec_lo
	s_or_saveexec_b32 s72, s72
	v_mov_b32_e32 v4, 0x7f800001
	s_xor_b32 exec_lo, exec_lo, s72
	s_cbranch_execnz .LBB6_2849
.LBB6_1209:                             ;   in Loop: Header=BB6_356 Depth=4
	s_or_b32 exec_lo, exec_lo, s72
	s_and_saveexec_b32 s72, s16
	s_cbranch_execz .LBB6_1211
.LBB6_1210:                             ;   in Loop: Header=BB6_356 Depth=4
	v_bfe_u32 v4, v25, 24, 3
	v_bfe_u32 v31, v25, 27, 4
	v_ffbh_u32_e32 v5, v4
	v_cmp_eq_u32_e32 vcc_lo, 0, v31
	v_min_u32_e32 v5, 32, v5
	v_subrev_nc_u32_e32 v29, 28, v5
	v_sub_nc_u32_e32 v5, 29, v5
	v_lshlrev_b32_sdwa v29, v29, v25 dst_sel:DWORD dst_unused:UNUSED_PAD src0_sel:DWORD src1_sel:BYTE_3
	v_cndmask_b32_e32 v5, v31, v5, vcc_lo
	v_and_b32_e32 v25, 0x80000000, v25
	v_and_b32_e32 v29, 7, v29
	v_lshl_add_u32 v5, v5, 23, 0x3b800000
	v_cndmask_b32_e32 v4, v4, v29, vcc_lo
	v_lshlrev_b32_e32 v4, 20, v4
	v_or3_b32 v4, v25, v5, v4
.LBB6_1211:                             ;   in Loop: Header=BB6_356 Depth=4
	s_or_b32 exec_lo, exec_lo, s72
	v_max_f32_e32 v4, v4, v4
	v_max_f32_e32 v1, v1, v1
	v_min_f32_e32 v1, v1, v4
.LBB6_1212:                             ;   in Loop: Header=BB6_356 Depth=4
	v_and_b32_e32 v4, 0x7f800000, v1
	v_mov_b32_e32 v25, 0x8000
	s_mov_b32 s72, exec_lo
	v_cmpx_ne_u32_e32 0x7f800000, v4
	s_cbranch_execz .LBB6_1220
; %bb.1213:                             ;   in Loop: Header=BB6_356 Depth=4
	v_mov_b32_e32 v25, 0
	s_mov_b32 s73, exec_lo
	v_cmpx_ne_u32_e32 0, v1
	s_cbranch_execz .LBB6_1219
; %bb.1214:                             ;   in Loop: Header=BB6_356 Depth=4
	v_bfe_u32 v5, v1, 23, 8
	v_and_b32_e32 v4, 0x7fffff, v1
	v_cmp_gt_u32_e64 s16, 0x79, v5
	v_sub_nc_u32_e32 v25, 0x78, v5
	v_cmp_eq_u32_e32 vcc_lo, 0, v5
	v_or_b32_e32 v29, 0x800000, v4
	v_cndmask_b32_e64 v25, 0, v25, s16
	v_cndmask_b32_e32 v4, v29, v4, vcc_lo
	v_cndmask_b32_e64 v25, v25, 0x77, vcc_lo
	v_lshl_add_u32 v29, 0x100000, v25, -1
	v_lshlrev_b32_e64 v31, v25, 0x80000
	v_and_b32_e32 v29, v29, v4
	v_cmp_eq_u32_e64 s16, v29, v31
	v_lshrrev_b32_e32 v29, v25, v4
	v_add_nc_u32_e32 v4, 0xffffff89, v5
	v_lshrrev_b32_e32 v5, 23, v29
	v_cndmask_b32_e64 v4, v4, 0xffffff8a, vcc_lo
	v_xor_b32_e32 v5, 1, v5
	v_add_nc_u32_e32 v4, v25, v4
	v_bfe_u32 v25, v29, 20, 1
	v_add_nc_u32_e32 v25, -1, v25
	v_cndmask_b32_e64 v25, 0, v25, s16
	s_mov_b32 s16, exec_lo
	v_add_nc_u32_e32 v25, v25, v29
	v_and_b32_e32 v25, 0xfffff, v25
	v_add_nc_u32_e32 v25, v25, v29
                                        ; implicit-def: $vgpr29
	v_cmpx_ne_u32_e64 v4, v5
	s_xor_b32 s16, exec_lo, s16
; %bb.1215:                             ;   in Loop: Header=BB6_356 Depth=4
	v_cmp_lt_u32_e32 vcc_lo, 0xffffff, v25
	v_sub_nc_u32_e32 v4, v4, v5
	v_cndmask_b32_e64 v5, 0, 1, vcc_lo
	v_add_co_ci_u32_e64 v29, null, 0, v4, vcc_lo
	v_lshrrev_b32_e32 v25, v5, v25
; %bb.1216:                             ;   in Loop: Header=BB6_356 Depth=4
	s_andn2_saveexec_b32 s16, s16
; %bb.1217:                             ;   in Loop: Header=BB6_356 Depth=4
	v_bfe_u32 v29, v25, 23, 1
; %bb.1218:                             ;   in Loop: Header=BB6_356 Depth=4
	s_or_b32 exec_lo, exec_lo, s16
	v_lshrrev_b32_e32 v4, 20, v25
	v_min_i32_e32 v5, 15, v29
	v_cmp_gt_i32_e32 vcc_lo, 16, v29
	v_and_b32_sdwa v1, v1, v62 dst_sel:DWORD dst_unused:UNUSED_PAD src0_sel:BYTE_3 src1_sel:DWORD
	v_lshlrev_b32_e32 v5, 3, v5
	v_cndmask_b32_e32 v4, 7, v4, vcc_lo
	v_and_b32_e32 v5, 0xf8, v5
	v_or_b32_e32 v25, v29, v4
	v_and_b32_e32 v4, 7, v4
	v_cmp_ne_u32_e32 vcc_lo, 0, v25
	v_or3_b32 v1, v1, v5, v4
	v_lshlrev_b32_e32 v1, 8, v1
	v_cndmask_b32_e32 v25, 0, v1, vcc_lo
.LBB6_1219:                             ;   in Loop: Header=BB6_356 Depth=4
	s_or_b32 exec_lo, exec_lo, s73
.LBB6_1220:                             ;   in Loop: Header=BB6_356 Depth=4
	s_or_b32 exec_lo, exec_lo, s72
	v_cmp_gt_i16_sdwa s73, v34, v61 src0_sel:BYTE_0 src1_sel:DWORD
	s_andn2_b32 vcc_lo, exec_lo, s63
	s_mov_b32 s16, -1
                                        ; implicit-def: $vgpr1
	s_cbranch_vccnz .LBB6_1234
; %bb.1221:                             ;   in Loop: Header=BB6_356 Depth=4
	s_mov_b32 s72, 0
	s_and_saveexec_b32 s16, s73
	s_xor_b32 s16, exec_lo, s16
	s_cbranch_execz .LBB6_2850
; %bb.1222:                             ;   in Loop: Header=BB6_356 Depth=4
	v_cmp_eq_u16_sdwa s74, v34, v62 src0_sel:BYTE_0 src1_sel:DWORD
	s_mov_b32 s72, -1
	s_and_saveexec_b32 s73, s74
; %bb.1223:                             ;   in Loop: Header=BB6_356 Depth=4
	s_xor_b32 s72, exec_lo, -1
; %bb.1224:                             ;   in Loop: Header=BB6_356 Depth=4
	s_or_b32 exec_lo, exec_lo, s73
	s_and_b32 s72, s72, exec_lo
	s_or_saveexec_b32 s16, s16
	v_mov_b32_e32 v1, 0x7f800001
	s_xor_b32 exec_lo, exec_lo, s16
	s_cbranch_execnz .LBB6_2851
.LBB6_1225:                             ;   in Loop: Header=BB6_356 Depth=4
	s_or_b32 exec_lo, exec_lo, s16
	s_and_saveexec_b32 s16, s72
	s_cbranch_execz .LBB6_1227
.LBB6_1226:                             ;   in Loop: Header=BB6_356 Depth=4
	v_and_b32_e32 v1, 7, v34
	v_bfe_u32 v4, v34, 3, 4
	v_ffbh_u32_e32 v5, v1
	v_cmp_eq_u32_e32 vcc_lo, 0, v4
	v_min_u32_e32 v5, 32, v5
	v_subrev_nc_u32_e32 v29, 28, v5
	v_sub_nc_u32_e32 v5, 29, v5
	v_lshlrev_b32_e32 v29, v29, v34
	v_cndmask_b32_e32 v4, v4, v5, vcc_lo
	v_lshlrev_b32_e32 v5, 24, v34
	v_and_b32_e32 v29, 7, v29
	v_lshl_add_u32 v4, v4, 23, 0x3b800000
	v_and_b32_e32 v5, 0x80000000, v5
	v_cndmask_b32_e32 v1, v1, v29, vcc_lo
	v_lshlrev_b32_e32 v1, 20, v1
	v_or3_b32 v1, v5, v4, v1
.LBB6_1227:                             ;   in Loop: Header=BB6_356 Depth=4
	s_or_b32 exec_lo, exec_lo, s16
	v_cmp_gt_i16_sdwa s16, v26, v61 src0_sel:BYTE_0 src1_sel:DWORD
	s_mov_b32 s72, 0
	s_and_saveexec_b32 s73, s16
	s_xor_b32 s16, exec_lo, s73
	s_cbranch_execz .LBB6_2852
; %bb.1228:                             ;   in Loop: Header=BB6_356 Depth=4
	v_cmp_eq_u16_sdwa s74, v26, v62 src0_sel:BYTE_0 src1_sel:DWORD
	s_mov_b32 s72, -1
	s_and_saveexec_b32 s73, s74
; %bb.1229:                             ;   in Loop: Header=BB6_356 Depth=4
	s_xor_b32 s72, exec_lo, -1
; %bb.1230:                             ;   in Loop: Header=BB6_356 Depth=4
	s_or_b32 exec_lo, exec_lo, s73
	s_and_b32 s72, s72, exec_lo
	s_or_saveexec_b32 s16, s16
	v_mov_b32_e32 v4, 0x7f800001
	s_xor_b32 exec_lo, exec_lo, s16
	s_cbranch_execnz .LBB6_2853
.LBB6_1231:                             ;   in Loop: Header=BB6_356 Depth=4
	s_or_b32 exec_lo, exec_lo, s16
	s_and_saveexec_b32 s16, s72
	s_cbranch_execz .LBB6_1233
.LBB6_1232:                             ;   in Loop: Header=BB6_356 Depth=4
	v_and_b32_e32 v4, 7, v26
	v_bfe_u32 v5, v26, 3, 4
	v_ffbh_u32_e32 v29, v4
	v_cmp_eq_u32_e32 vcc_lo, 0, v5
	v_min_u32_e32 v29, 32, v29
	v_subrev_nc_u32_e32 v31, 28, v29
	v_sub_nc_u32_e32 v29, 29, v29
	v_lshlrev_b32_e32 v31, v31, v26
	v_cndmask_b32_e32 v5, v5, v29, vcc_lo
	v_lshlrev_b32_e32 v29, 24, v26
	v_and_b32_e32 v31, 7, v31
	v_lshl_add_u32 v5, v5, 23, 0x3b800000
	v_and_b32_e32 v29, 0x80000000, v29
	v_cndmask_b32_e32 v4, v4, v31, vcc_lo
	v_lshlrev_b32_e32 v4, 20, v4
	v_or3_b32 v4, v29, v5, v4
.LBB6_1233:                             ;   in Loop: Header=BB6_356 Depth=4
	s_or_b32 exec_lo, exec_lo, s16
	v_max_f32_e32 v4, v4, v4
	v_max_f32_e32 v1, v1, v1
	s_mov_b32 s16, 0
	v_max_f32_e32 v1, v1, v4
.LBB6_1234:                             ;   in Loop: Header=BB6_356 Depth=4
	s_and_b32 vcc_lo, exec_lo, s16
	s_cbranch_vccz .LBB6_1248
; %bb.1235:                             ;   in Loop: Header=BB6_356 Depth=4
	v_cmp_gt_i16_sdwa s16, v34, v61 src0_sel:BYTE_0 src1_sel:DWORD
	s_mov_b32 s72, 0
	s_and_saveexec_b32 s73, s16
	s_xor_b32 s16, exec_lo, s73
	s_cbranch_execz .LBB6_2854
; %bb.1236:                             ;   in Loop: Header=BB6_356 Depth=4
	v_cmp_eq_u16_sdwa s74, v34, v62 src0_sel:BYTE_0 src1_sel:DWORD
	s_mov_b32 s72, -1
	s_and_saveexec_b32 s73, s74
; %bb.1237:                             ;   in Loop: Header=BB6_356 Depth=4
	s_xor_b32 s72, exec_lo, -1
; %bb.1238:                             ;   in Loop: Header=BB6_356 Depth=4
	s_or_b32 exec_lo, exec_lo, s73
	s_and_b32 s72, s72, exec_lo
	s_or_saveexec_b32 s16, s16
	v_mov_b32_e32 v1, 0x7f800001
	s_xor_b32 exec_lo, exec_lo, s16
	s_cbranch_execnz .LBB6_2855
.LBB6_1239:                             ;   in Loop: Header=BB6_356 Depth=4
	s_or_b32 exec_lo, exec_lo, s16
	s_and_saveexec_b32 s16, s72
	s_cbranch_execz .LBB6_1241
.LBB6_1240:                             ;   in Loop: Header=BB6_356 Depth=4
	v_and_b32_e32 v1, 7, v34
	v_bfe_u32 v4, v34, 3, 4
	v_ffbh_u32_e32 v5, v1
	v_cmp_eq_u32_e32 vcc_lo, 0, v4
	v_min_u32_e32 v5, 32, v5
	v_subrev_nc_u32_e32 v29, 28, v5
	v_sub_nc_u32_e32 v5, 29, v5
	v_lshlrev_b32_e32 v29, v29, v34
	v_cndmask_b32_e32 v4, v4, v5, vcc_lo
	v_lshlrev_b32_e32 v5, 24, v34
	v_and_b32_e32 v29, 7, v29
	v_lshl_add_u32 v4, v4, 23, 0x3b800000
	v_and_b32_e32 v5, 0x80000000, v5
	v_cndmask_b32_e32 v1, v1, v29, vcc_lo
	v_lshlrev_b32_e32 v1, 20, v1
	v_or3_b32 v1, v5, v4, v1
.LBB6_1241:                             ;   in Loop: Header=BB6_356 Depth=4
	s_or_b32 exec_lo, exec_lo, s16
	v_cmp_gt_i16_sdwa s16, v26, v61 src0_sel:BYTE_0 src1_sel:DWORD
	s_mov_b32 s72, 0
	s_and_saveexec_b32 s73, s16
	s_xor_b32 s16, exec_lo, s73
	s_cbranch_execz .LBB6_2856
; %bb.1242:                             ;   in Loop: Header=BB6_356 Depth=4
	v_cmp_eq_u16_sdwa s74, v26, v62 src0_sel:BYTE_0 src1_sel:DWORD
	s_mov_b32 s72, -1
	s_and_saveexec_b32 s73, s74
; %bb.1243:                             ;   in Loop: Header=BB6_356 Depth=4
	s_xor_b32 s72, exec_lo, -1
; %bb.1244:                             ;   in Loop: Header=BB6_356 Depth=4
	s_or_b32 exec_lo, exec_lo, s73
	s_and_b32 s72, s72, exec_lo
	s_or_saveexec_b32 s16, s16
	v_mov_b32_e32 v4, 0x7f800001
	s_xor_b32 exec_lo, exec_lo, s16
	s_cbranch_execnz .LBB6_2857
.LBB6_1245:                             ;   in Loop: Header=BB6_356 Depth=4
	s_or_b32 exec_lo, exec_lo, s16
	s_and_saveexec_b32 s16, s72
	s_cbranch_execz .LBB6_1247
.LBB6_1246:                             ;   in Loop: Header=BB6_356 Depth=4
	v_and_b32_e32 v4, 7, v26
	v_bfe_u32 v5, v26, 3, 4
	v_ffbh_u32_e32 v29, v4
	v_cmp_eq_u32_e32 vcc_lo, 0, v5
	v_min_u32_e32 v29, 32, v29
	v_subrev_nc_u32_e32 v31, 28, v29
	v_sub_nc_u32_e32 v29, 29, v29
	v_lshlrev_b32_e32 v31, v31, v26
	v_cndmask_b32_e32 v5, v5, v29, vcc_lo
	v_lshlrev_b32_e32 v29, 24, v26
	v_and_b32_e32 v31, 7, v31
	v_lshl_add_u32 v5, v5, 23, 0x3b800000
	v_and_b32_e32 v29, 0x80000000, v29
	v_cndmask_b32_e32 v4, v4, v31, vcc_lo
	v_lshlrev_b32_e32 v4, 20, v4
	v_or3_b32 v4, v29, v5, v4
.LBB6_1247:                             ;   in Loop: Header=BB6_356 Depth=4
	s_or_b32 exec_lo, exec_lo, s16
	v_max_f32_e32 v4, v4, v4
	v_max_f32_e32 v1, v1, v1
	v_min_f32_e32 v1, v1, v4
.LBB6_1248:                             ;   in Loop: Header=BB6_356 Depth=4
	v_and_b32_e32 v4, 0x7f800000, v1
	v_mov_b32_e32 v29, 0x80
	s_mov_b32 s72, exec_lo
	v_cmpx_ne_u32_e32 0x7f800000, v4
	s_cbranch_execz .LBB6_1256
; %bb.1249:                             ;   in Loop: Header=BB6_356 Depth=4
	v_mov_b32_e32 v29, 0
	s_mov_b32 s73, exec_lo
	v_cmpx_ne_u32_e32 0, v1
	s_cbranch_execz .LBB6_1255
; %bb.1250:                             ;   in Loop: Header=BB6_356 Depth=4
	v_bfe_u32 v5, v1, 23, 8
	v_and_b32_e32 v4, 0x7fffff, v1
	v_cmp_gt_u32_e64 s16, 0x79, v5
	v_sub_nc_u32_e32 v29, 0x78, v5
	v_cmp_eq_u32_e32 vcc_lo, 0, v5
	v_or_b32_e32 v31, 0x800000, v4
	v_cndmask_b32_e64 v29, 0, v29, s16
	v_cndmask_b32_e32 v4, v31, v4, vcc_lo
	v_cndmask_b32_e64 v29, v29, 0x77, vcc_lo
	v_lshl_add_u32 v31, 0x100000, v29, -1
	v_lshlrev_b32_e64 v33, v29, 0x80000
	v_and_b32_e32 v31, v31, v4
	v_cmp_eq_u32_e64 s16, v31, v33
	v_lshrrev_b32_e32 v31, v29, v4
	v_add_nc_u32_e32 v4, 0xffffff89, v5
	v_lshrrev_b32_e32 v5, 23, v31
	v_cndmask_b32_e64 v4, v4, 0xffffff8a, vcc_lo
	v_xor_b32_e32 v5, 1, v5
	v_add_nc_u32_e32 v4, v29, v4
	v_bfe_u32 v29, v31, 20, 1
	v_add_nc_u32_e32 v29, -1, v29
	v_cndmask_b32_e64 v29, 0, v29, s16
	s_mov_b32 s16, exec_lo
	v_add_nc_u32_e32 v29, v29, v31
	v_and_b32_e32 v29, 0xfffff, v29
	v_add_nc_u32_e32 v29, v29, v31
                                        ; implicit-def: $vgpr31
	v_cmpx_ne_u32_e64 v4, v5
	s_xor_b32 s16, exec_lo, s16
; %bb.1251:                             ;   in Loop: Header=BB6_356 Depth=4
	v_cmp_lt_u32_e32 vcc_lo, 0xffffff, v29
	v_sub_nc_u32_e32 v4, v4, v5
	v_cndmask_b32_e64 v5, 0, 1, vcc_lo
	v_add_co_ci_u32_e64 v31, null, 0, v4, vcc_lo
	v_lshrrev_b32_e32 v29, v5, v29
; %bb.1252:                             ;   in Loop: Header=BB6_356 Depth=4
	s_andn2_saveexec_b32 s16, s16
; %bb.1253:                             ;   in Loop: Header=BB6_356 Depth=4
	v_bfe_u32 v31, v29, 23, 1
; %bb.1254:                             ;   in Loop: Header=BB6_356 Depth=4
	s_or_b32 exec_lo, exec_lo, s16
	v_lshrrev_b32_e32 v4, 20, v29
	v_min_i32_e32 v5, 15, v31
	v_cmp_gt_i32_e32 vcc_lo, 16, v31
	v_and_b32_sdwa v1, v1, v62 dst_sel:DWORD dst_unused:UNUSED_PAD src0_sel:BYTE_3 src1_sel:DWORD
	v_lshlrev_b32_e32 v5, 3, v5
	v_cndmask_b32_e32 v4, 7, v4, vcc_lo
	v_and_b32_e32 v5, 0xf8, v5
	v_or_b32_e32 v29, v31, v4
	v_and_b32_e32 v4, 7, v4
	v_cmp_ne_u32_e32 vcc_lo, 0, v29
	v_or3_b32 v1, v5, v1, v4
	v_cndmask_b32_e32 v29, 0, v1, vcc_lo
.LBB6_1255:                             ;   in Loop: Header=BB6_356 Depth=4
	s_or_b32 exec_lo, exec_lo, s73
.LBB6_1256:                             ;   in Loop: Header=BB6_356 Depth=4
	s_or_b32 exec_lo, exec_lo, s72
	v_cmp_gt_i16_sdwa s72, v34, v61 src0_sel:BYTE_1 src1_sel:DWORD
	s_andn2_b32 vcc_lo, exec_lo, s63
	s_mov_b32 s16, -1
                                        ; implicit-def: $vgpr1
	s_cbranch_vccnz .LBB6_1270
; %bb.1257:                             ;   in Loop: Header=BB6_356 Depth=4
	s_mov_b32 s16, 0
	s_and_saveexec_b32 s73, s72
	s_xor_b32 s72, exec_lo, s73
	s_cbranch_execz .LBB6_2858
; %bb.1258:                             ;   in Loop: Header=BB6_356 Depth=4
	v_cmp_eq_u16_sdwa s74, v34, v62 src0_sel:BYTE_1 src1_sel:DWORD
	s_mov_b32 s16, -1
	s_and_saveexec_b32 s73, s74
; %bb.1259:                             ;   in Loop: Header=BB6_356 Depth=4
	s_xor_b32 s16, exec_lo, -1
; %bb.1260:                             ;   in Loop: Header=BB6_356 Depth=4
	s_or_b32 exec_lo, exec_lo, s73
	s_and_b32 s16, s16, exec_lo
	s_or_saveexec_b32 s72, s72
	v_mov_b32_e32 v1, 0x7f800001
	s_xor_b32 exec_lo, exec_lo, s72
	s_cbranch_execnz .LBB6_2859
.LBB6_1261:                             ;   in Loop: Header=BB6_356 Depth=4
	s_or_b32 exec_lo, exec_lo, s72
	s_and_saveexec_b32 s72, s16
	s_cbranch_execz .LBB6_1263
.LBB6_1262:                             ;   in Loop: Header=BB6_356 Depth=4
	v_and_b32_sdwa v1, v63, v34 dst_sel:DWORD dst_unused:UNUSED_PAD src0_sel:DWORD src1_sel:BYTE_1
	v_and_b32_e32 v4, 7, v1
	v_bfe_u32 v33, v1, 3, 4
	v_ffbh_u32_e32 v5, v4
	v_cmp_eq_u32_e32 vcc_lo, 0, v33
	v_min_u32_e32 v5, 32, v5
	v_subrev_nc_u32_e32 v31, 28, v5
	v_sub_nc_u32_e32 v5, 29, v5
	v_lshlrev_b32_e32 v1, v31, v1
	v_lshlrev_b32_e32 v31, 16, v34
	v_cndmask_b32_e32 v5, v33, v5, vcc_lo
	v_and_b32_e32 v1, 7, v1
	v_lshl_add_u32 v5, v5, 23, 0x3b800000
	v_cndmask_b32_e32 v1, v4, v1, vcc_lo
	v_and_b32_e32 v4, 0x80000000, v31
	v_lshlrev_b32_e32 v1, 20, v1
	v_or3_b32 v1, v4, v5, v1
.LBB6_1263:                             ;   in Loop: Header=BB6_356 Depth=4
	s_or_b32 exec_lo, exec_lo, s72
	v_cmp_gt_i16_sdwa s72, v26, v61 src0_sel:BYTE_1 src1_sel:DWORD
	s_mov_b32 s16, 0
	s_and_saveexec_b32 s73, s72
	s_xor_b32 s72, exec_lo, s73
	s_cbranch_execz .LBB6_2860
; %bb.1264:                             ;   in Loop: Header=BB6_356 Depth=4
	v_cmp_eq_u16_sdwa s74, v26, v62 src0_sel:BYTE_1 src1_sel:DWORD
	s_mov_b32 s16, -1
	s_and_saveexec_b32 s73, s74
; %bb.1265:                             ;   in Loop: Header=BB6_356 Depth=4
	s_xor_b32 s16, exec_lo, -1
; %bb.1266:                             ;   in Loop: Header=BB6_356 Depth=4
	s_or_b32 exec_lo, exec_lo, s73
	s_and_b32 s16, s16, exec_lo
	s_or_saveexec_b32 s72, s72
	v_mov_b32_e32 v4, 0x7f800001
	s_xor_b32 exec_lo, exec_lo, s72
	s_cbranch_execnz .LBB6_2861
.LBB6_1267:                             ;   in Loop: Header=BB6_356 Depth=4
	s_or_b32 exec_lo, exec_lo, s72
	s_and_saveexec_b32 s72, s16
	s_cbranch_execz .LBB6_1269
.LBB6_1268:                             ;   in Loop: Header=BB6_356 Depth=4
	v_and_b32_sdwa v4, v63, v26 dst_sel:DWORD dst_unused:UNUSED_PAD src0_sel:DWORD src1_sel:BYTE_1
	v_and_b32_e32 v5, 7, v4
	v_bfe_u32 v82, v4, 3, 4
	v_ffbh_u32_e32 v31, v5
	v_cmp_eq_u32_e32 vcc_lo, 0, v82
	v_min_u32_e32 v31, 32, v31
	v_subrev_nc_u32_e32 v33, 28, v31
	v_sub_nc_u32_e32 v31, 29, v31
	v_lshlrev_b32_e32 v4, v33, v4
	v_lshlrev_b32_e32 v33, 16, v26
	v_cndmask_b32_e32 v31, v82, v31, vcc_lo
	v_and_b32_e32 v4, 7, v4
	v_lshl_add_u32 v31, v31, 23, 0x3b800000
	v_cndmask_b32_e32 v4, v5, v4, vcc_lo
	v_and_b32_e32 v5, 0x80000000, v33
	v_lshlrev_b32_e32 v4, 20, v4
	v_or3_b32 v4, v5, v31, v4
.LBB6_1269:                             ;   in Loop: Header=BB6_356 Depth=4
	s_or_b32 exec_lo, exec_lo, s72
	v_max_f32_e32 v4, v4, v4
	v_max_f32_e32 v1, v1, v1
	s_mov_b32 s16, 0
	v_max_f32_e32 v1, v1, v4
.LBB6_1270:                             ;   in Loop: Header=BB6_356 Depth=4
	s_and_b32 vcc_lo, exec_lo, s16
	s_cbranch_vccz .LBB6_1284
; %bb.1271:                             ;   in Loop: Header=BB6_356 Depth=4
	v_cmp_gt_i16_sdwa s72, v34, v61 src0_sel:BYTE_1 src1_sel:DWORD
	s_mov_b32 s16, 0
	s_and_saveexec_b32 s73, s72
	s_xor_b32 s72, exec_lo, s73
	s_cbranch_execz .LBB6_2862
; %bb.1272:                             ;   in Loop: Header=BB6_356 Depth=4
	v_cmp_eq_u16_sdwa s74, v34, v62 src0_sel:BYTE_1 src1_sel:DWORD
	s_mov_b32 s16, -1
	s_and_saveexec_b32 s73, s74
; %bb.1273:                             ;   in Loop: Header=BB6_356 Depth=4
	s_xor_b32 s16, exec_lo, -1
; %bb.1274:                             ;   in Loop: Header=BB6_356 Depth=4
	s_or_b32 exec_lo, exec_lo, s73
	s_and_b32 s16, s16, exec_lo
	s_or_saveexec_b32 s72, s72
	v_mov_b32_e32 v1, 0x7f800001
	s_xor_b32 exec_lo, exec_lo, s72
	s_cbranch_execnz .LBB6_2863
.LBB6_1275:                             ;   in Loop: Header=BB6_356 Depth=4
	s_or_b32 exec_lo, exec_lo, s72
	s_and_saveexec_b32 s72, s16
	s_cbranch_execz .LBB6_1277
.LBB6_1276:                             ;   in Loop: Header=BB6_356 Depth=4
	v_and_b32_sdwa v1, v63, v34 dst_sel:DWORD dst_unused:UNUSED_PAD src0_sel:DWORD src1_sel:BYTE_1
	v_and_b32_e32 v4, 7, v1
	v_bfe_u32 v33, v1, 3, 4
	v_ffbh_u32_e32 v5, v4
	v_cmp_eq_u32_e32 vcc_lo, 0, v33
	v_min_u32_e32 v5, 32, v5
	v_subrev_nc_u32_e32 v31, 28, v5
	v_sub_nc_u32_e32 v5, 29, v5
	v_lshlrev_b32_e32 v1, v31, v1
	v_lshlrev_b32_e32 v31, 16, v34
	v_cndmask_b32_e32 v5, v33, v5, vcc_lo
	v_and_b32_e32 v1, 7, v1
	v_lshl_add_u32 v5, v5, 23, 0x3b800000
	v_cndmask_b32_e32 v1, v4, v1, vcc_lo
	v_and_b32_e32 v4, 0x80000000, v31
	v_lshlrev_b32_e32 v1, 20, v1
	v_or3_b32 v1, v4, v5, v1
.LBB6_1277:                             ;   in Loop: Header=BB6_356 Depth=4
	s_or_b32 exec_lo, exec_lo, s72
	v_cmp_gt_i16_sdwa s72, v26, v61 src0_sel:BYTE_1 src1_sel:DWORD
	s_mov_b32 s16, 0
	s_and_saveexec_b32 s73, s72
	s_xor_b32 s72, exec_lo, s73
	s_cbranch_execz .LBB6_2864
; %bb.1278:                             ;   in Loop: Header=BB6_356 Depth=4
	v_cmp_eq_u16_sdwa s74, v26, v62 src0_sel:BYTE_1 src1_sel:DWORD
	s_mov_b32 s16, -1
	s_and_saveexec_b32 s73, s74
; %bb.1279:                             ;   in Loop: Header=BB6_356 Depth=4
	s_xor_b32 s16, exec_lo, -1
; %bb.1280:                             ;   in Loop: Header=BB6_356 Depth=4
	s_or_b32 exec_lo, exec_lo, s73
	s_and_b32 s16, s16, exec_lo
	s_or_saveexec_b32 s72, s72
	v_mov_b32_e32 v4, 0x7f800001
	s_xor_b32 exec_lo, exec_lo, s72
	s_cbranch_execnz .LBB6_2865
.LBB6_1281:                             ;   in Loop: Header=BB6_356 Depth=4
	s_or_b32 exec_lo, exec_lo, s72
	s_and_saveexec_b32 s72, s16
	s_cbranch_execz .LBB6_1283
.LBB6_1282:                             ;   in Loop: Header=BB6_356 Depth=4
	v_and_b32_sdwa v4, v63, v26 dst_sel:DWORD dst_unused:UNUSED_PAD src0_sel:DWORD src1_sel:BYTE_1
	v_and_b32_e32 v5, 7, v4
	v_bfe_u32 v82, v4, 3, 4
	v_ffbh_u32_e32 v31, v5
	v_cmp_eq_u32_e32 vcc_lo, 0, v82
	v_min_u32_e32 v31, 32, v31
	v_subrev_nc_u32_e32 v33, 28, v31
	v_sub_nc_u32_e32 v31, 29, v31
	v_lshlrev_b32_e32 v4, v33, v4
	v_lshlrev_b32_e32 v33, 16, v26
	v_cndmask_b32_e32 v31, v82, v31, vcc_lo
	v_and_b32_e32 v4, 7, v4
	v_lshl_add_u32 v31, v31, 23, 0x3b800000
	v_cndmask_b32_e32 v4, v5, v4, vcc_lo
	v_and_b32_e32 v5, 0x80000000, v33
	v_lshlrev_b32_e32 v4, 20, v4
	v_or3_b32 v4, v5, v31, v4
.LBB6_1283:                             ;   in Loop: Header=BB6_356 Depth=4
	s_or_b32 exec_lo, exec_lo, s72
	v_max_f32_e32 v4, v4, v4
	v_max_f32_e32 v1, v1, v1
	v_min_f32_e32 v1, v1, v4
.LBB6_1284:                             ;   in Loop: Header=BB6_356 Depth=4
	v_and_b32_e32 v4, 0x7f800000, v1
	v_mov_b32_e32 v33, 0x8000
	s_mov_b32 s72, exec_lo
	v_cmpx_ne_u32_e32 0x7f800000, v4
	s_cbranch_execz .LBB6_1292
; %bb.1285:                             ;   in Loop: Header=BB6_356 Depth=4
	v_mov_b32_e32 v33, 0
	s_mov_b32 s73, exec_lo
	v_cmpx_ne_u32_e32 0, v1
	s_cbranch_execz .LBB6_1291
; %bb.1286:                             ;   in Loop: Header=BB6_356 Depth=4
	v_bfe_u32 v5, v1, 23, 8
	v_and_b32_e32 v4, 0x7fffff, v1
	v_cmp_gt_u32_e64 s16, 0x79, v5
	v_sub_nc_u32_e32 v31, 0x78, v5
	v_cmp_eq_u32_e32 vcc_lo, 0, v5
	v_or_b32_e32 v33, 0x800000, v4
	v_cndmask_b32_e64 v31, 0, v31, s16
	v_cndmask_b32_e32 v4, v33, v4, vcc_lo
	v_cndmask_b32_e64 v31, v31, 0x77, vcc_lo
	v_lshl_add_u32 v33, 0x100000, v31, -1
	v_lshlrev_b32_e64 v82, v31, 0x80000
	v_and_b32_e32 v33, v33, v4
	v_cmp_eq_u32_e64 s16, v33, v82
	v_lshrrev_b32_e32 v33, v31, v4
	v_add_nc_u32_e32 v4, 0xffffff89, v5
	v_lshrrev_b32_e32 v5, 23, v33
	v_cndmask_b32_e64 v4, v4, 0xffffff8a, vcc_lo
	v_xor_b32_e32 v5, 1, v5
	v_add_nc_u32_e32 v4, v31, v4
	v_bfe_u32 v31, v33, 20, 1
	v_add_nc_u32_e32 v31, -1, v31
	v_cndmask_b32_e64 v31, 0, v31, s16
	s_mov_b32 s16, exec_lo
	v_add_nc_u32_e32 v31, v31, v33
	v_and_b32_e32 v31, 0xfffff, v31
	v_add_nc_u32_e32 v31, v31, v33
                                        ; implicit-def: $vgpr33
	v_cmpx_ne_u32_e64 v4, v5
	s_xor_b32 s16, exec_lo, s16
; %bb.1287:                             ;   in Loop: Header=BB6_356 Depth=4
	v_cmp_lt_u32_e32 vcc_lo, 0xffffff, v31
	v_sub_nc_u32_e32 v4, v4, v5
	v_cndmask_b32_e64 v5, 0, 1, vcc_lo
	v_add_co_ci_u32_e64 v33, null, 0, v4, vcc_lo
	v_lshrrev_b32_e32 v31, v5, v31
; %bb.1288:                             ;   in Loop: Header=BB6_356 Depth=4
	s_andn2_saveexec_b32 s16, s16
; %bb.1289:                             ;   in Loop: Header=BB6_356 Depth=4
	v_bfe_u32 v33, v31, 23, 1
; %bb.1290:                             ;   in Loop: Header=BB6_356 Depth=4
	s_or_b32 exec_lo, exec_lo, s16
	v_lshrrev_b32_e32 v4, 20, v31
	v_min_i32_e32 v5, 15, v33
	v_cmp_gt_i32_e32 vcc_lo, 16, v33
	v_and_b32_sdwa v1, v1, v62 dst_sel:DWORD dst_unused:UNUSED_PAD src0_sel:BYTE_3 src1_sel:DWORD
	v_lshlrev_b32_e32 v5, 3, v5
	v_cndmask_b32_e32 v4, 7, v4, vcc_lo
	v_and_b32_e32 v5, 0xf8, v5
	v_or_b32_e32 v31, v33, v4
	v_and_b32_e32 v4, 7, v4
	v_cmp_ne_u32_e32 vcc_lo, 0, v31
	v_or3_b32 v1, v1, v5, v4
	v_lshlrev_b32_e32 v1, 8, v1
	v_cndmask_b32_e32 v33, 0, v1, vcc_lo
.LBB6_1291:                             ;   in Loop: Header=BB6_356 Depth=4
	s_or_b32 exec_lo, exec_lo, s73
.LBB6_1292:                             ;   in Loop: Header=BB6_356 Depth=4
	s_or_b32 exec_lo, exec_lo, s72
	v_and_b32_sdwa v1, v34, v72 dst_sel:DWORD dst_unused:UNUSED_PAD src0_sel:WORD_1 src1_sel:DWORD
	s_andn2_b32 vcc_lo, exec_lo, s63
	s_mov_b32 s72, -1
                                        ; implicit-def: $vgpr4
	v_cmp_lt_i16_e64 s16, 0x7f, v1
	s_cbranch_vccnz .LBB6_1306
; %bb.1293:                             ;   in Loop: Header=BB6_356 Depth=4
	s_mov_b32 s72, 0
	s_and_saveexec_b32 s73, s16
	s_xor_b32 s16, exec_lo, s73
	s_cbranch_execz .LBB6_2866
; %bb.1294:                             ;   in Loop: Header=BB6_356 Depth=4
	s_mov_b32 s72, -1
	s_mov_b32 s73, exec_lo
	v_cmpx_eq_u16_e32 0x80, v1
; %bb.1295:                             ;   in Loop: Header=BB6_356 Depth=4
	s_xor_b32 s72, exec_lo, -1
; %bb.1296:                             ;   in Loop: Header=BB6_356 Depth=4
	s_or_b32 exec_lo, exec_lo, s73
	s_and_b32 s72, s72, exec_lo
	s_or_saveexec_b32 s16, s16
	v_mov_b32_e32 v4, 0x7f800001
	s_xor_b32 exec_lo, exec_lo, s16
	s_cbranch_execnz .LBB6_2867
.LBB6_1297:                             ;   in Loop: Header=BB6_356 Depth=4
	s_or_b32 exec_lo, exec_lo, s16
	s_and_saveexec_b32 s16, s72
	s_cbranch_execz .LBB6_1299
.LBB6_1298:                             ;   in Loop: Header=BB6_356 Depth=4
	v_bfe_u32 v4, v34, 16, 3
	v_bfe_u32 v5, v34, 19, 4
	v_ffbh_u32_e32 v31, v4
	v_cmp_eq_u32_e32 vcc_lo, 0, v5
	v_min_u32_e32 v31, 32, v31
	v_subrev_nc_u32_e32 v82, 28, v31
	v_sub_nc_u32_e32 v31, 29, v31
	v_lshlrev_b32_sdwa v82, v82, v34 dst_sel:DWORD dst_unused:UNUSED_PAD src0_sel:DWORD src1_sel:WORD_1
	v_cndmask_b32_e32 v5, v5, v31, vcc_lo
	v_lshlrev_b32_sdwa v31, v73, v34 dst_sel:DWORD dst_unused:UNUSED_PAD src0_sel:DWORD src1_sel:WORD_1
	v_and_b32_e32 v82, 7, v82
	v_lshl_add_u32 v5, v5, 23, 0x3b800000
	v_and_b32_e32 v31, 0x80000000, v31
	v_cndmask_b32_e32 v4, v4, v82, vcc_lo
	v_lshlrev_b32_e32 v4, 20, v4
	v_or3_b32 v4, v31, v5, v4
.LBB6_1299:                             ;   in Loop: Header=BB6_356 Depth=4
	s_or_b32 exec_lo, exec_lo, s16
	v_and_b32_sdwa v31, v26, v72 dst_sel:DWORD dst_unused:UNUSED_PAD src0_sel:WORD_1 src1_sel:DWORD
	s_mov_b32 s72, 0
	s_mov_b32 s16, exec_lo
	v_cmpx_lt_i16_e32 0x7f, v31
	s_xor_b32 s16, exec_lo, s16
	s_cbranch_execz .LBB6_2868
; %bb.1300:                             ;   in Loop: Header=BB6_356 Depth=4
	s_mov_b32 s72, -1
	s_mov_b32 s73, exec_lo
	v_cmpx_eq_u16_e32 0x80, v31
; %bb.1301:                             ;   in Loop: Header=BB6_356 Depth=4
	s_xor_b32 s72, exec_lo, -1
; %bb.1302:                             ;   in Loop: Header=BB6_356 Depth=4
	s_or_b32 exec_lo, exec_lo, s73
	s_and_b32 s72, s72, exec_lo
                                        ; implicit-def: $vgpr31
	s_or_saveexec_b32 s16, s16
	v_mov_b32_e32 v5, 0x7f800001
	s_xor_b32 exec_lo, exec_lo, s16
	s_cbranch_execnz .LBB6_2869
.LBB6_1303:                             ;   in Loop: Header=BB6_356 Depth=4
	s_or_b32 exec_lo, exec_lo, s16
	s_and_saveexec_b32 s16, s72
	s_cbranch_execz .LBB6_1305
.LBB6_1304:                             ;   in Loop: Header=BB6_356 Depth=4
	v_bfe_u32 v5, v26, 16, 3
	v_bfe_u32 v31, v26, 19, 4
	v_ffbh_u32_e32 v82, v5
	v_cmp_eq_u32_e32 vcc_lo, 0, v31
	v_min_u32_e32 v82, 32, v82
	v_subrev_nc_u32_e32 v83, 28, v82
	v_sub_nc_u32_e32 v82, 29, v82
	v_lshlrev_b32_sdwa v83, v83, v26 dst_sel:DWORD dst_unused:UNUSED_PAD src0_sel:DWORD src1_sel:WORD_1
	v_cndmask_b32_e32 v31, v31, v82, vcc_lo
	v_lshlrev_b32_sdwa v82, v73, v26 dst_sel:DWORD dst_unused:UNUSED_PAD src0_sel:DWORD src1_sel:WORD_1
	v_and_b32_e32 v83, 7, v83
	v_lshl_add_u32 v31, v31, 23, 0x3b800000
	v_and_b32_e32 v82, 0x80000000, v82
	v_cndmask_b32_e32 v5, v5, v83, vcc_lo
	v_lshlrev_b32_e32 v5, 20, v5
	v_or3_b32 v5, v82, v31, v5
.LBB6_1305:                             ;   in Loop: Header=BB6_356 Depth=4
	s_or_b32 exec_lo, exec_lo, s16
	v_max_f32_e32 v5, v5, v5
	v_max_f32_e32 v4, v4, v4
	s_mov_b32 s72, 0
	v_max_f32_e32 v4, v4, v5
.LBB6_1306:                             ;   in Loop: Header=BB6_356 Depth=4
	s_and_b32 vcc_lo, exec_lo, s72
	s_cbranch_vccz .LBB6_1320
; %bb.1307:                             ;   in Loop: Header=BB6_356 Depth=4
	s_mov_b32 s72, 0
	s_mov_b32 s16, exec_lo
	v_cmpx_lt_i16_e32 0x7f, v1
	s_xor_b32 s16, exec_lo, s16
	s_cbranch_execz .LBB6_2870
; %bb.1308:                             ;   in Loop: Header=BB6_356 Depth=4
	s_mov_b32 s72, -1
	s_mov_b32 s73, exec_lo
	v_cmpx_eq_u16_e32 0x80, v1
; %bb.1309:                             ;   in Loop: Header=BB6_356 Depth=4
	s_xor_b32 s72, exec_lo, -1
; %bb.1310:                             ;   in Loop: Header=BB6_356 Depth=4
	s_or_b32 exec_lo, exec_lo, s73
	s_and_b32 s72, s72, exec_lo
                                        ; implicit-def: $vgpr1
	s_or_saveexec_b32 s16, s16
	v_mov_b32_e32 v4, 0x7f800001
	s_xor_b32 exec_lo, exec_lo, s16
	s_cbranch_execnz .LBB6_2871
.LBB6_1311:                             ;   in Loop: Header=BB6_356 Depth=4
	s_or_b32 exec_lo, exec_lo, s16
	s_and_saveexec_b32 s16, s72
	s_cbranch_execz .LBB6_1313
.LBB6_1312:                             ;   in Loop: Header=BB6_356 Depth=4
	v_bfe_u32 v1, v34, 16, 3
	v_bfe_u32 v4, v34, 19, 4
	v_ffbh_u32_e32 v5, v1
	v_cmp_eq_u32_e32 vcc_lo, 0, v4
	v_min_u32_e32 v5, 32, v5
	v_subrev_nc_u32_e32 v31, 28, v5
	v_sub_nc_u32_e32 v5, 29, v5
	v_lshlrev_b32_sdwa v31, v31, v34 dst_sel:DWORD dst_unused:UNUSED_PAD src0_sel:DWORD src1_sel:WORD_1
	v_cndmask_b32_e32 v4, v4, v5, vcc_lo
	v_lshlrev_b32_sdwa v5, v73, v34 dst_sel:DWORD dst_unused:UNUSED_PAD src0_sel:DWORD src1_sel:WORD_1
	v_and_b32_e32 v31, 7, v31
	v_lshl_add_u32 v4, v4, 23, 0x3b800000
	v_and_b32_e32 v5, 0x80000000, v5
	v_cndmask_b32_e32 v1, v1, v31, vcc_lo
	v_lshlrev_b32_e32 v1, 20, v1
	v_or3_b32 v4, v5, v4, v1
.LBB6_1313:                             ;   in Loop: Header=BB6_356 Depth=4
	s_or_b32 exec_lo, exec_lo, s16
	v_and_b32_sdwa v5, v26, v72 dst_sel:DWORD dst_unused:UNUSED_PAD src0_sel:WORD_1 src1_sel:DWORD
	s_mov_b32 s72, 0
	s_mov_b32 s16, exec_lo
	v_cmpx_lt_i16_e32 0x7f, v5
	s_xor_b32 s16, exec_lo, s16
	s_cbranch_execz .LBB6_2872
; %bb.1314:                             ;   in Loop: Header=BB6_356 Depth=4
	s_mov_b32 s72, -1
	s_mov_b32 s73, exec_lo
	v_cmpx_eq_u16_e32 0x80, v5
; %bb.1315:                             ;   in Loop: Header=BB6_356 Depth=4
	s_xor_b32 s72, exec_lo, -1
; %bb.1316:                             ;   in Loop: Header=BB6_356 Depth=4
	s_or_b32 exec_lo, exec_lo, s73
	s_and_b32 s72, s72, exec_lo
                                        ; implicit-def: $vgpr5
	s_or_saveexec_b32 s16, s16
	v_mov_b32_e32 v1, 0x7f800001
	s_xor_b32 exec_lo, exec_lo, s16
	s_cbranch_execnz .LBB6_2873
.LBB6_1317:                             ;   in Loop: Header=BB6_356 Depth=4
	s_or_b32 exec_lo, exec_lo, s16
	s_and_saveexec_b32 s16, s72
	s_cbranch_execz .LBB6_1319
.LBB6_1318:                             ;   in Loop: Header=BB6_356 Depth=4
	v_bfe_u32 v1, v26, 16, 3
	v_bfe_u32 v5, v26, 19, 4
	v_ffbh_u32_e32 v31, v1
	v_cmp_eq_u32_e32 vcc_lo, 0, v5
	v_min_u32_e32 v31, 32, v31
	v_subrev_nc_u32_e32 v82, 28, v31
	v_sub_nc_u32_e32 v31, 29, v31
	v_lshlrev_b32_sdwa v82, v82, v26 dst_sel:DWORD dst_unused:UNUSED_PAD src0_sel:DWORD src1_sel:WORD_1
	v_cndmask_b32_e32 v5, v5, v31, vcc_lo
	v_lshlrev_b32_sdwa v31, v73, v26 dst_sel:DWORD dst_unused:UNUSED_PAD src0_sel:DWORD src1_sel:WORD_1
	v_and_b32_e32 v82, 7, v82
	v_lshl_add_u32 v5, v5, 23, 0x3b800000
	v_and_b32_e32 v31, 0x80000000, v31
	v_cndmask_b32_e32 v1, v1, v82, vcc_lo
	v_lshlrev_b32_e32 v1, 20, v1
	v_or3_b32 v1, v31, v5, v1
.LBB6_1319:                             ;   in Loop: Header=BB6_356 Depth=4
	s_or_b32 exec_lo, exec_lo, s16
	v_max_f32_e32 v1, v1, v1
	v_max_f32_e32 v4, v4, v4
	v_min_f32_e32 v4, v4, v1
.LBB6_1320:                             ;   in Loop: Header=BB6_356 Depth=4
	v_and_b32_e32 v1, 0x7f800000, v4
	v_mov_b32_e32 v84, 0x80
	s_mov_b32 s72, exec_lo
	v_cmpx_ne_u32_e32 0x7f800000, v1
	s_cbranch_execz .LBB6_1328
; %bb.1321:                             ;   in Loop: Header=BB6_356 Depth=4
	v_mov_b32_e32 v84, 0
	s_mov_b32 s73, exec_lo
	v_cmpx_ne_u32_e32 0, v4
	s_cbranch_execz .LBB6_1327
; %bb.1322:                             ;   in Loop: Header=BB6_356 Depth=4
	v_bfe_u32 v5, v4, 23, 8
	v_and_b32_e32 v1, 0x7fffff, v4
	v_cmp_gt_u32_e64 s16, 0x79, v5
	v_sub_nc_u32_e32 v31, 0x78, v5
	v_cmp_eq_u32_e32 vcc_lo, 0, v5
	v_or_b32_e32 v82, 0x800000, v1
	v_cndmask_b32_e64 v31, 0, v31, s16
	v_cndmask_b32_e32 v1, v82, v1, vcc_lo
	v_cndmask_b32_e64 v31, v31, 0x77, vcc_lo
	v_lshl_add_u32 v82, 0x100000, v31, -1
	v_lshlrev_b32_e64 v83, v31, 0x80000
	v_and_b32_e32 v82, v82, v1
	v_cmp_eq_u32_e64 s16, v82, v83
	v_lshrrev_b32_e32 v82, v31, v1
	v_add_nc_u32_e32 v1, 0xffffff89, v5
	v_lshrrev_b32_e32 v5, 23, v82
	v_cndmask_b32_e64 v1, v1, 0xffffff8a, vcc_lo
	v_xor_b32_e32 v5, 1, v5
	v_add_nc_u32_e32 v1, v31, v1
	v_bfe_u32 v31, v82, 20, 1
	v_add_nc_u32_e32 v31, -1, v31
	v_cndmask_b32_e64 v31, 0, v31, s16
	s_mov_b32 s16, exec_lo
	v_add_nc_u32_e32 v31, v31, v82
	v_and_b32_e32 v31, 0xfffff, v31
	v_add_nc_u32_e32 v31, v31, v82
                                        ; implicit-def: $vgpr82
	v_cmpx_ne_u32_e64 v1, v5
	s_xor_b32 s16, exec_lo, s16
; %bb.1323:                             ;   in Loop: Header=BB6_356 Depth=4
	v_cmp_lt_u32_e32 vcc_lo, 0xffffff, v31
	v_sub_nc_u32_e32 v1, v1, v5
	v_cndmask_b32_e64 v5, 0, 1, vcc_lo
	v_add_co_ci_u32_e64 v82, null, 0, v1, vcc_lo
	v_lshrrev_b32_e32 v31, v5, v31
; %bb.1324:                             ;   in Loop: Header=BB6_356 Depth=4
	s_andn2_saveexec_b32 s16, s16
; %bb.1325:                             ;   in Loop: Header=BB6_356 Depth=4
	v_bfe_u32 v82, v31, 23, 1
; %bb.1326:                             ;   in Loop: Header=BB6_356 Depth=4
	s_or_b32 exec_lo, exec_lo, s16
	v_and_b32_sdwa v1, v4, v62 dst_sel:DWORD dst_unused:UNUSED_PAD src0_sel:BYTE_3 src1_sel:DWORD
	v_lshrrev_b32_e32 v4, 20, v31
	v_min_i32_e32 v5, 15, v82
	v_cmp_gt_i32_e32 vcc_lo, 16, v82
	v_lshlrev_b32_e32 v5, 3, v5
	v_cndmask_b32_e32 v4, 7, v4, vcc_lo
	v_and_b32_e32 v5, 0xf8, v5
	v_or_b32_e32 v31, v82, v4
	v_and_b32_e32 v4, 7, v4
	v_cmp_ne_u32_e32 vcc_lo, 0, v31
	v_or3_b32 v1, v5, v1, v4
	v_cndmask_b32_e32 v84, 0, v1, vcc_lo
.LBB6_1327:                             ;   in Loop: Header=BB6_356 Depth=4
	s_or_b32 exec_lo, exec_lo, s73
.LBB6_1328:                             ;   in Loop: Header=BB6_356 Depth=4
	s_or_b32 exec_lo, exec_lo, s72
	v_cmp_gt_i16_sdwa s72, v34, v61 src0_sel:BYTE_3 src1_sel:DWORD
	s_andn2_b32 vcc_lo, exec_lo, s63
	s_mov_b32 s16, -1
                                        ; implicit-def: $vgpr1
	s_cbranch_vccnz .LBB6_1342
; %bb.1329:                             ;   in Loop: Header=BB6_356 Depth=4
	s_mov_b32 s16, 0
	s_and_saveexec_b32 s73, s72
	s_xor_b32 s72, exec_lo, s73
	s_cbranch_execz .LBB6_2874
; %bb.1330:                             ;   in Loop: Header=BB6_356 Depth=4
	v_cmp_eq_u16_sdwa s74, v34, v62 src0_sel:BYTE_3 src1_sel:DWORD
	s_mov_b32 s16, -1
	s_and_saveexec_b32 s73, s74
; %bb.1331:                             ;   in Loop: Header=BB6_356 Depth=4
	s_xor_b32 s16, exec_lo, -1
; %bb.1332:                             ;   in Loop: Header=BB6_356 Depth=4
	s_or_b32 exec_lo, exec_lo, s73
	s_and_b32 s16, s16, exec_lo
	s_or_saveexec_b32 s72, s72
	v_mov_b32_e32 v1, 0x7f800001
	s_xor_b32 exec_lo, exec_lo, s72
	s_cbranch_execnz .LBB6_2875
.LBB6_1333:                             ;   in Loop: Header=BB6_356 Depth=4
	s_or_b32 exec_lo, exec_lo, s72
	s_and_saveexec_b32 s72, s16
	s_cbranch_execz .LBB6_1335
.LBB6_1334:                             ;   in Loop: Header=BB6_356 Depth=4
	v_bfe_u32 v1, v34, 24, 3
	v_bfe_u32 v31, v34, 27, 4
	v_ffbh_u32_e32 v4, v1
	v_cmp_eq_u32_e32 vcc_lo, 0, v31
	v_min_u32_e32 v4, 32, v4
	v_subrev_nc_u32_e32 v5, 28, v4
	v_sub_nc_u32_e32 v4, 29, v4
	v_lshlrev_b32_sdwa v5, v5, v34 dst_sel:DWORD dst_unused:UNUSED_PAD src0_sel:DWORD src1_sel:BYTE_3
	v_cndmask_b32_e32 v4, v31, v4, vcc_lo
	v_and_b32_e32 v5, 7, v5
	v_lshl_add_u32 v4, v4, 23, 0x3b800000
	v_cndmask_b32_e32 v1, v1, v5, vcc_lo
	v_and_b32_e32 v5, 0x80000000, v34
	v_lshlrev_b32_e32 v1, 20, v1
	v_or3_b32 v1, v5, v4, v1
.LBB6_1335:                             ;   in Loop: Header=BB6_356 Depth=4
	s_or_b32 exec_lo, exec_lo, s72
	v_cmp_gt_i16_sdwa s72, v26, v61 src0_sel:BYTE_3 src1_sel:DWORD
	s_mov_b32 s16, 0
	s_and_saveexec_b32 s73, s72
	s_xor_b32 s72, exec_lo, s73
	s_cbranch_execz .LBB6_2876
; %bb.1336:                             ;   in Loop: Header=BB6_356 Depth=4
	v_cmp_eq_u16_sdwa s74, v26, v62 src0_sel:BYTE_3 src1_sel:DWORD
	s_mov_b32 s16, -1
	s_and_saveexec_b32 s73, s74
; %bb.1337:                             ;   in Loop: Header=BB6_356 Depth=4
	s_xor_b32 s16, exec_lo, -1
; %bb.1338:                             ;   in Loop: Header=BB6_356 Depth=4
	s_or_b32 exec_lo, exec_lo, s73
	s_and_b32 s16, s16, exec_lo
	s_or_saveexec_b32 s72, s72
	v_mov_b32_e32 v4, 0x7f800001
	s_xor_b32 exec_lo, exec_lo, s72
	s_cbranch_execnz .LBB6_2877
.LBB6_1339:                             ;   in Loop: Header=BB6_356 Depth=4
	s_or_b32 exec_lo, exec_lo, s72
	s_and_saveexec_b32 s72, s16
	s_cbranch_execz .LBB6_1341
.LBB6_1340:                             ;   in Loop: Header=BB6_356 Depth=4
	v_bfe_u32 v4, v26, 24, 3
	v_bfe_u32 v82, v26, 27, 4
	v_ffbh_u32_e32 v5, v4
	v_cmp_eq_u32_e32 vcc_lo, 0, v82
	v_min_u32_e32 v5, 32, v5
	v_subrev_nc_u32_e32 v31, 28, v5
	v_sub_nc_u32_e32 v5, 29, v5
	v_lshlrev_b32_sdwa v31, v31, v26 dst_sel:DWORD dst_unused:UNUSED_PAD src0_sel:DWORD src1_sel:BYTE_3
	v_cndmask_b32_e32 v5, v82, v5, vcc_lo
	v_and_b32_e32 v31, 7, v31
	v_lshl_add_u32 v5, v5, 23, 0x3b800000
	v_cndmask_b32_e32 v4, v4, v31, vcc_lo
	v_and_b32_e32 v31, 0x80000000, v26
	v_lshlrev_b32_e32 v4, 20, v4
	v_or3_b32 v4, v31, v5, v4
.LBB6_1341:                             ;   in Loop: Header=BB6_356 Depth=4
	s_or_b32 exec_lo, exec_lo, s72
	v_max_f32_e32 v4, v4, v4
	v_max_f32_e32 v1, v1, v1
	s_mov_b32 s16, 0
	v_max_f32_e32 v1, v1, v4
.LBB6_1342:                             ;   in Loop: Header=BB6_356 Depth=4
	s_and_b32 vcc_lo, exec_lo, s16
	s_cbranch_vccz .LBB6_1356
; %bb.1343:                             ;   in Loop: Header=BB6_356 Depth=4
	v_cmp_gt_i16_sdwa s72, v34, v61 src0_sel:BYTE_3 src1_sel:DWORD
	s_mov_b32 s16, 0
	s_and_saveexec_b32 s73, s72
	s_xor_b32 s72, exec_lo, s73
	s_cbranch_execz .LBB6_2878
; %bb.1344:                             ;   in Loop: Header=BB6_356 Depth=4
	v_cmp_eq_u16_sdwa s74, v34, v62 src0_sel:BYTE_3 src1_sel:DWORD
	s_mov_b32 s16, -1
	s_and_saveexec_b32 s73, s74
; %bb.1345:                             ;   in Loop: Header=BB6_356 Depth=4
	s_xor_b32 s16, exec_lo, -1
; %bb.1346:                             ;   in Loop: Header=BB6_356 Depth=4
	s_or_b32 exec_lo, exec_lo, s73
	s_and_b32 s16, s16, exec_lo
	s_or_saveexec_b32 s72, s72
	v_mov_b32_e32 v1, 0x7f800001
	s_xor_b32 exec_lo, exec_lo, s72
	s_cbranch_execnz .LBB6_2879
.LBB6_1347:                             ;   in Loop: Header=BB6_356 Depth=4
	s_or_b32 exec_lo, exec_lo, s72
	s_and_saveexec_b32 s72, s16
	s_cbranch_execz .LBB6_1349
.LBB6_1348:                             ;   in Loop: Header=BB6_356 Depth=4
	v_bfe_u32 v1, v34, 24, 3
	v_bfe_u32 v31, v34, 27, 4
	v_ffbh_u32_e32 v4, v1
	v_cmp_eq_u32_e32 vcc_lo, 0, v31
	v_min_u32_e32 v4, 32, v4
	v_subrev_nc_u32_e32 v5, 28, v4
	v_sub_nc_u32_e32 v4, 29, v4
	v_lshlrev_b32_sdwa v5, v5, v34 dst_sel:DWORD dst_unused:UNUSED_PAD src0_sel:DWORD src1_sel:BYTE_3
	v_cndmask_b32_e32 v4, v31, v4, vcc_lo
	v_and_b32_e32 v5, 7, v5
	v_lshl_add_u32 v4, v4, 23, 0x3b800000
	v_cndmask_b32_e32 v1, v1, v5, vcc_lo
	v_and_b32_e32 v5, 0x80000000, v34
	v_lshlrev_b32_e32 v1, 20, v1
	v_or3_b32 v1, v5, v4, v1
.LBB6_1349:                             ;   in Loop: Header=BB6_356 Depth=4
	s_or_b32 exec_lo, exec_lo, s72
	v_cmp_gt_i16_sdwa s72, v26, v61 src0_sel:BYTE_3 src1_sel:DWORD
	s_mov_b32 s16, 0
	s_and_saveexec_b32 s73, s72
	s_xor_b32 s72, exec_lo, s73
	s_cbranch_execz .LBB6_2880
; %bb.1350:                             ;   in Loop: Header=BB6_356 Depth=4
	v_cmp_eq_u16_sdwa s74, v26, v62 src0_sel:BYTE_3 src1_sel:DWORD
	s_mov_b32 s16, -1
	s_and_saveexec_b32 s73, s74
; %bb.1351:                             ;   in Loop: Header=BB6_356 Depth=4
	s_xor_b32 s16, exec_lo, -1
; %bb.1352:                             ;   in Loop: Header=BB6_356 Depth=4
	s_or_b32 exec_lo, exec_lo, s73
	s_and_b32 s16, s16, exec_lo
	s_or_saveexec_b32 s72, s72
	v_mov_b32_e32 v4, 0x7f800001
	s_xor_b32 exec_lo, exec_lo, s72
	s_cbranch_execnz .LBB6_2881
.LBB6_1353:                             ;   in Loop: Header=BB6_356 Depth=4
	s_or_b32 exec_lo, exec_lo, s72
	s_and_saveexec_b32 s72, s16
	s_cbranch_execz .LBB6_1355
.LBB6_1354:                             ;   in Loop: Header=BB6_356 Depth=4
	v_bfe_u32 v4, v26, 24, 3
	v_bfe_u32 v34, v26, 27, 4
	v_ffbh_u32_e32 v5, v4
	v_cmp_eq_u32_e32 vcc_lo, 0, v34
	v_min_u32_e32 v5, 32, v5
	v_subrev_nc_u32_e32 v31, 28, v5
	v_sub_nc_u32_e32 v5, 29, v5
	v_lshlrev_b32_sdwa v31, v31, v26 dst_sel:DWORD dst_unused:UNUSED_PAD src0_sel:DWORD src1_sel:BYTE_3
	v_cndmask_b32_e32 v5, v34, v5, vcc_lo
	v_and_b32_e32 v26, 0x80000000, v26
	v_and_b32_e32 v31, 7, v31
	v_lshl_add_u32 v5, v5, 23, 0x3b800000
	v_cndmask_b32_e32 v4, v4, v31, vcc_lo
	v_lshlrev_b32_e32 v4, 20, v4
	v_or3_b32 v4, v26, v5, v4
.LBB6_1355:                             ;   in Loop: Header=BB6_356 Depth=4
	s_or_b32 exec_lo, exec_lo, s72
	v_max_f32_e32 v4, v4, v4
	v_max_f32_e32 v1, v1, v1
	v_min_f32_e32 v1, v1, v4
.LBB6_1356:                             ;   in Loop: Header=BB6_356 Depth=4
	v_and_b32_e32 v4, 0x7f800000, v1
	v_mov_b32_e32 v26, 0x8000
	s_mov_b32 s72, exec_lo
	v_cmpx_ne_u32_e32 0x7f800000, v4
	s_cbranch_execz .LBB6_1364
; %bb.1357:                             ;   in Loop: Header=BB6_356 Depth=4
	v_mov_b32_e32 v26, 0
	s_mov_b32 s73, exec_lo
	v_cmpx_ne_u32_e32 0, v1
	s_cbranch_execz .LBB6_1363
; %bb.1358:                             ;   in Loop: Header=BB6_356 Depth=4
	v_bfe_u32 v5, v1, 23, 8
	v_and_b32_e32 v4, 0x7fffff, v1
	v_cmp_gt_u32_e64 s16, 0x79, v5
	v_sub_nc_u32_e32 v26, 0x78, v5
	v_cmp_eq_u32_e32 vcc_lo, 0, v5
	v_or_b32_e32 v31, 0x800000, v4
	v_cndmask_b32_e64 v26, 0, v26, s16
	v_cndmask_b32_e32 v4, v31, v4, vcc_lo
	v_cndmask_b32_e64 v26, v26, 0x77, vcc_lo
	v_lshl_add_u32 v31, 0x100000, v26, -1
	v_lshlrev_b32_e64 v34, v26, 0x80000
	v_and_b32_e32 v31, v31, v4
	v_cmp_eq_u32_e64 s16, v31, v34
	v_lshrrev_b32_e32 v31, v26, v4
	v_add_nc_u32_e32 v4, 0xffffff89, v5
	v_lshrrev_b32_e32 v5, 23, v31
	v_cndmask_b32_e64 v4, v4, 0xffffff8a, vcc_lo
	v_xor_b32_e32 v5, 1, v5
	v_add_nc_u32_e32 v4, v26, v4
	v_bfe_u32 v26, v31, 20, 1
	v_add_nc_u32_e32 v26, -1, v26
	v_cndmask_b32_e64 v26, 0, v26, s16
	s_mov_b32 s16, exec_lo
	v_add_nc_u32_e32 v26, v26, v31
	v_and_b32_e32 v26, 0xfffff, v26
	v_add_nc_u32_e32 v26, v26, v31
                                        ; implicit-def: $vgpr31
	v_cmpx_ne_u32_e64 v4, v5
	s_xor_b32 s16, exec_lo, s16
; %bb.1359:                             ;   in Loop: Header=BB6_356 Depth=4
	v_cmp_lt_u32_e32 vcc_lo, 0xffffff, v26
	v_sub_nc_u32_e32 v4, v4, v5
	v_cndmask_b32_e64 v5, 0, 1, vcc_lo
	v_add_co_ci_u32_e64 v31, null, 0, v4, vcc_lo
	v_lshrrev_b32_e32 v26, v5, v26
; %bb.1360:                             ;   in Loop: Header=BB6_356 Depth=4
	s_andn2_saveexec_b32 s16, s16
; %bb.1361:                             ;   in Loop: Header=BB6_356 Depth=4
	v_bfe_u32 v31, v26, 23, 1
; %bb.1362:                             ;   in Loop: Header=BB6_356 Depth=4
	s_or_b32 exec_lo, exec_lo, s16
	v_lshrrev_b32_e32 v4, 20, v26
	v_min_i32_e32 v5, 15, v31
	v_cmp_gt_i32_e32 vcc_lo, 16, v31
	v_and_b32_sdwa v1, v1, v62 dst_sel:DWORD dst_unused:UNUSED_PAD src0_sel:BYTE_3 src1_sel:DWORD
	v_lshlrev_b32_e32 v5, 3, v5
	v_cndmask_b32_e32 v4, 7, v4, vcc_lo
	v_and_b32_e32 v5, 0xf8, v5
	v_or_b32_e32 v26, v31, v4
	v_and_b32_e32 v4, 7, v4
	v_cmp_ne_u32_e32 vcc_lo, 0, v26
	v_or3_b32 v1, v1, v5, v4
	v_lshlrev_b32_e32 v1, 8, v1
	v_cndmask_b32_e32 v26, 0, v1, vcc_lo
.LBB6_1363:                             ;   in Loop: Header=BB6_356 Depth=4
	s_or_b32 exec_lo, exec_lo, s73
.LBB6_1364:                             ;   in Loop: Header=BB6_356 Depth=4
	s_or_b32 exec_lo, exec_lo, s72
	v_cmp_gt_i16_sdwa s73, v35, v61 src0_sel:BYTE_0 src1_sel:DWORD
	s_andn2_b32 vcc_lo, exec_lo, s63
	s_mov_b32 s16, -1
                                        ; implicit-def: $vgpr1
	s_cbranch_vccnz .LBB6_1378
; %bb.1365:                             ;   in Loop: Header=BB6_356 Depth=4
	s_mov_b32 s72, 0
	s_and_saveexec_b32 s16, s73
	s_xor_b32 s16, exec_lo, s16
	s_cbranch_execz .LBB6_2882
; %bb.1366:                             ;   in Loop: Header=BB6_356 Depth=4
	v_cmp_eq_u16_sdwa s74, v35, v62 src0_sel:BYTE_0 src1_sel:DWORD
	s_mov_b32 s72, -1
	s_and_saveexec_b32 s73, s74
; %bb.1367:                             ;   in Loop: Header=BB6_356 Depth=4
	s_xor_b32 s72, exec_lo, -1
; %bb.1368:                             ;   in Loop: Header=BB6_356 Depth=4
	s_or_b32 exec_lo, exec_lo, s73
	s_and_b32 s72, s72, exec_lo
	s_or_saveexec_b32 s16, s16
	v_mov_b32_e32 v1, 0x7f800001
	s_xor_b32 exec_lo, exec_lo, s16
	s_cbranch_execnz .LBB6_2883
.LBB6_1369:                             ;   in Loop: Header=BB6_356 Depth=4
	s_or_b32 exec_lo, exec_lo, s16
	s_and_saveexec_b32 s16, s72
	s_cbranch_execz .LBB6_1371
.LBB6_1370:                             ;   in Loop: Header=BB6_356 Depth=4
	v_and_b32_e32 v1, 7, v35
	v_bfe_u32 v4, v35, 3, 4
	v_ffbh_u32_e32 v5, v1
	v_cmp_eq_u32_e32 vcc_lo, 0, v4
	v_min_u32_e32 v5, 32, v5
	v_subrev_nc_u32_e32 v31, 28, v5
	v_sub_nc_u32_e32 v5, 29, v5
	v_lshlrev_b32_e32 v31, v31, v35
	v_cndmask_b32_e32 v4, v4, v5, vcc_lo
	v_lshlrev_b32_e32 v5, 24, v35
	v_and_b32_e32 v31, 7, v31
	v_lshl_add_u32 v4, v4, 23, 0x3b800000
	v_and_b32_e32 v5, 0x80000000, v5
	v_cndmask_b32_e32 v1, v1, v31, vcc_lo
	v_lshlrev_b32_e32 v1, 20, v1
	v_or3_b32 v1, v5, v4, v1
.LBB6_1371:                             ;   in Loop: Header=BB6_356 Depth=4
	s_or_b32 exec_lo, exec_lo, s16
	v_cmp_gt_i16_sdwa s16, v27, v61 src0_sel:BYTE_0 src1_sel:DWORD
	s_mov_b32 s72, 0
	s_and_saveexec_b32 s73, s16
	s_xor_b32 s16, exec_lo, s73
	s_cbranch_execz .LBB6_2884
; %bb.1372:                             ;   in Loop: Header=BB6_356 Depth=4
	v_cmp_eq_u16_sdwa s74, v27, v62 src0_sel:BYTE_0 src1_sel:DWORD
	s_mov_b32 s72, -1
	s_and_saveexec_b32 s73, s74
; %bb.1373:                             ;   in Loop: Header=BB6_356 Depth=4
	s_xor_b32 s72, exec_lo, -1
; %bb.1374:                             ;   in Loop: Header=BB6_356 Depth=4
	s_or_b32 exec_lo, exec_lo, s73
	s_and_b32 s72, s72, exec_lo
	s_or_saveexec_b32 s16, s16
	v_mov_b32_e32 v4, 0x7f800001
	s_xor_b32 exec_lo, exec_lo, s16
	s_cbranch_execnz .LBB6_2885
.LBB6_1375:                             ;   in Loop: Header=BB6_356 Depth=4
	s_or_b32 exec_lo, exec_lo, s16
	s_and_saveexec_b32 s16, s72
	s_cbranch_execz .LBB6_1377
.LBB6_1376:                             ;   in Loop: Header=BB6_356 Depth=4
	v_and_b32_e32 v4, 7, v27
	v_bfe_u32 v5, v27, 3, 4
	v_ffbh_u32_e32 v31, v4
	v_cmp_eq_u32_e32 vcc_lo, 0, v5
	v_min_u32_e32 v31, 32, v31
	v_subrev_nc_u32_e32 v34, 28, v31
	v_sub_nc_u32_e32 v31, 29, v31
	v_lshlrev_b32_e32 v34, v34, v27
	v_cndmask_b32_e32 v5, v5, v31, vcc_lo
	v_lshlrev_b32_e32 v31, 24, v27
	v_and_b32_e32 v34, 7, v34
	v_lshl_add_u32 v5, v5, 23, 0x3b800000
	v_and_b32_e32 v31, 0x80000000, v31
	v_cndmask_b32_e32 v4, v4, v34, vcc_lo
	v_lshlrev_b32_e32 v4, 20, v4
	v_or3_b32 v4, v31, v5, v4
.LBB6_1377:                             ;   in Loop: Header=BB6_356 Depth=4
	s_or_b32 exec_lo, exec_lo, s16
	v_max_f32_e32 v4, v4, v4
	v_max_f32_e32 v1, v1, v1
	s_mov_b32 s16, 0
	v_max_f32_e32 v1, v1, v4
.LBB6_1378:                             ;   in Loop: Header=BB6_356 Depth=4
	s_and_b32 vcc_lo, exec_lo, s16
	s_cbranch_vccz .LBB6_1392
; %bb.1379:                             ;   in Loop: Header=BB6_356 Depth=4
	v_cmp_gt_i16_sdwa s16, v35, v61 src0_sel:BYTE_0 src1_sel:DWORD
	s_mov_b32 s72, 0
	s_and_saveexec_b32 s73, s16
	s_xor_b32 s16, exec_lo, s73
	s_cbranch_execz .LBB6_2886
; %bb.1380:                             ;   in Loop: Header=BB6_356 Depth=4
	v_cmp_eq_u16_sdwa s74, v35, v62 src0_sel:BYTE_0 src1_sel:DWORD
	s_mov_b32 s72, -1
	s_and_saveexec_b32 s73, s74
; %bb.1381:                             ;   in Loop: Header=BB6_356 Depth=4
	s_xor_b32 s72, exec_lo, -1
; %bb.1382:                             ;   in Loop: Header=BB6_356 Depth=4
	s_or_b32 exec_lo, exec_lo, s73
	s_and_b32 s72, s72, exec_lo
	s_or_saveexec_b32 s16, s16
	v_mov_b32_e32 v1, 0x7f800001
	s_xor_b32 exec_lo, exec_lo, s16
	s_cbranch_execnz .LBB6_2887
.LBB6_1383:                             ;   in Loop: Header=BB6_356 Depth=4
	s_or_b32 exec_lo, exec_lo, s16
	s_and_saveexec_b32 s16, s72
	s_cbranch_execz .LBB6_1385
.LBB6_1384:                             ;   in Loop: Header=BB6_356 Depth=4
	v_and_b32_e32 v1, 7, v35
	v_bfe_u32 v4, v35, 3, 4
	v_ffbh_u32_e32 v5, v1
	v_cmp_eq_u32_e32 vcc_lo, 0, v4
	v_min_u32_e32 v5, 32, v5
	v_subrev_nc_u32_e32 v31, 28, v5
	v_sub_nc_u32_e32 v5, 29, v5
	v_lshlrev_b32_e32 v31, v31, v35
	v_cndmask_b32_e32 v4, v4, v5, vcc_lo
	v_lshlrev_b32_e32 v5, 24, v35
	v_and_b32_e32 v31, 7, v31
	v_lshl_add_u32 v4, v4, 23, 0x3b800000
	v_and_b32_e32 v5, 0x80000000, v5
	v_cndmask_b32_e32 v1, v1, v31, vcc_lo
	v_lshlrev_b32_e32 v1, 20, v1
	v_or3_b32 v1, v5, v4, v1
.LBB6_1385:                             ;   in Loop: Header=BB6_356 Depth=4
	s_or_b32 exec_lo, exec_lo, s16
	v_cmp_gt_i16_sdwa s16, v27, v61 src0_sel:BYTE_0 src1_sel:DWORD
	s_mov_b32 s72, 0
	s_and_saveexec_b32 s73, s16
	s_xor_b32 s16, exec_lo, s73
	s_cbranch_execz .LBB6_2888
; %bb.1386:                             ;   in Loop: Header=BB6_356 Depth=4
	v_cmp_eq_u16_sdwa s74, v27, v62 src0_sel:BYTE_0 src1_sel:DWORD
	s_mov_b32 s72, -1
	s_and_saveexec_b32 s73, s74
; %bb.1387:                             ;   in Loop: Header=BB6_356 Depth=4
	s_xor_b32 s72, exec_lo, -1
; %bb.1388:                             ;   in Loop: Header=BB6_356 Depth=4
	s_or_b32 exec_lo, exec_lo, s73
	s_and_b32 s72, s72, exec_lo
	s_or_saveexec_b32 s16, s16
	v_mov_b32_e32 v4, 0x7f800001
	s_xor_b32 exec_lo, exec_lo, s16
	s_cbranch_execnz .LBB6_2889
.LBB6_1389:                             ;   in Loop: Header=BB6_356 Depth=4
	s_or_b32 exec_lo, exec_lo, s16
	s_and_saveexec_b32 s16, s72
	s_cbranch_execz .LBB6_1391
.LBB6_1390:                             ;   in Loop: Header=BB6_356 Depth=4
	v_and_b32_e32 v4, 7, v27
	v_bfe_u32 v5, v27, 3, 4
	v_ffbh_u32_e32 v31, v4
	v_cmp_eq_u32_e32 vcc_lo, 0, v5
	v_min_u32_e32 v31, 32, v31
	v_subrev_nc_u32_e32 v34, 28, v31
	v_sub_nc_u32_e32 v31, 29, v31
	v_lshlrev_b32_e32 v34, v34, v27
	v_cndmask_b32_e32 v5, v5, v31, vcc_lo
	v_lshlrev_b32_e32 v31, 24, v27
	v_and_b32_e32 v34, 7, v34
	v_lshl_add_u32 v5, v5, 23, 0x3b800000
	v_and_b32_e32 v31, 0x80000000, v31
	v_cndmask_b32_e32 v4, v4, v34, vcc_lo
	v_lshlrev_b32_e32 v4, 20, v4
	v_or3_b32 v4, v31, v5, v4
.LBB6_1391:                             ;   in Loop: Header=BB6_356 Depth=4
	s_or_b32 exec_lo, exec_lo, s16
	v_max_f32_e32 v4, v4, v4
	v_max_f32_e32 v1, v1, v1
	v_min_f32_e32 v1, v1, v4
.LBB6_1392:                             ;   in Loop: Header=BB6_356 Depth=4
	v_and_b32_e32 v4, 0x7f800000, v1
	v_mov_b32_e32 v34, 0x80
	s_mov_b32 s72, exec_lo
	v_cmpx_ne_u32_e32 0x7f800000, v4
	s_cbranch_execz .LBB6_1400
; %bb.1393:                             ;   in Loop: Header=BB6_356 Depth=4
	v_mov_b32_e32 v34, 0
	s_mov_b32 s73, exec_lo
	v_cmpx_ne_u32_e32 0, v1
	s_cbranch_execz .LBB6_1399
; %bb.1394:                             ;   in Loop: Header=BB6_356 Depth=4
	v_bfe_u32 v5, v1, 23, 8
	v_and_b32_e32 v4, 0x7fffff, v1
	v_cmp_gt_u32_e64 s16, 0x79, v5
	v_sub_nc_u32_e32 v31, 0x78, v5
	v_cmp_eq_u32_e32 vcc_lo, 0, v5
	v_or_b32_e32 v34, 0x800000, v4
	v_cndmask_b32_e64 v31, 0, v31, s16
	v_cndmask_b32_e32 v4, v34, v4, vcc_lo
	v_cndmask_b32_e64 v31, v31, 0x77, vcc_lo
	v_lshl_add_u32 v34, 0x100000, v31, -1
	v_lshlrev_b32_e64 v82, v31, 0x80000
	v_and_b32_e32 v34, v34, v4
	v_cmp_eq_u32_e64 s16, v34, v82
	v_lshrrev_b32_e32 v34, v31, v4
	v_add_nc_u32_e32 v4, 0xffffff89, v5
	v_lshrrev_b32_e32 v5, 23, v34
	v_cndmask_b32_e64 v4, v4, 0xffffff8a, vcc_lo
	v_xor_b32_e32 v5, 1, v5
	v_add_nc_u32_e32 v4, v31, v4
	v_bfe_u32 v31, v34, 20, 1
	v_add_nc_u32_e32 v31, -1, v31
	v_cndmask_b32_e64 v31, 0, v31, s16
	s_mov_b32 s16, exec_lo
	v_add_nc_u32_e32 v31, v31, v34
	v_and_b32_e32 v31, 0xfffff, v31
	v_add_nc_u32_e32 v31, v31, v34
                                        ; implicit-def: $vgpr34
	v_cmpx_ne_u32_e64 v4, v5
	s_xor_b32 s16, exec_lo, s16
; %bb.1395:                             ;   in Loop: Header=BB6_356 Depth=4
	v_cmp_lt_u32_e32 vcc_lo, 0xffffff, v31
	v_sub_nc_u32_e32 v4, v4, v5
	v_cndmask_b32_e64 v5, 0, 1, vcc_lo
	v_add_co_ci_u32_e64 v34, null, 0, v4, vcc_lo
	v_lshrrev_b32_e32 v31, v5, v31
; %bb.1396:                             ;   in Loop: Header=BB6_356 Depth=4
	s_andn2_saveexec_b32 s16, s16
; %bb.1397:                             ;   in Loop: Header=BB6_356 Depth=4
	v_bfe_u32 v34, v31, 23, 1
; %bb.1398:                             ;   in Loop: Header=BB6_356 Depth=4
	s_or_b32 exec_lo, exec_lo, s16
	v_lshrrev_b32_e32 v4, 20, v31
	v_min_i32_e32 v5, 15, v34
	v_cmp_gt_i32_e32 vcc_lo, 16, v34
	v_and_b32_sdwa v1, v1, v62 dst_sel:DWORD dst_unused:UNUSED_PAD src0_sel:BYTE_3 src1_sel:DWORD
	v_lshlrev_b32_e32 v5, 3, v5
	v_cndmask_b32_e32 v4, 7, v4, vcc_lo
	v_and_b32_e32 v5, 0xf8, v5
	v_or_b32_e32 v31, v34, v4
	v_and_b32_e32 v4, 7, v4
	v_cmp_ne_u32_e32 vcc_lo, 0, v31
	v_or3_b32 v1, v5, v1, v4
	v_cndmask_b32_e32 v34, 0, v1, vcc_lo
.LBB6_1399:                             ;   in Loop: Header=BB6_356 Depth=4
	s_or_b32 exec_lo, exec_lo, s73
.LBB6_1400:                             ;   in Loop: Header=BB6_356 Depth=4
	s_or_b32 exec_lo, exec_lo, s72
	v_cmp_gt_i16_sdwa s72, v35, v61 src0_sel:BYTE_1 src1_sel:DWORD
	s_andn2_b32 vcc_lo, exec_lo, s63
	s_mov_b32 s16, -1
                                        ; implicit-def: $vgpr1
	s_cbranch_vccnz .LBB6_1414
; %bb.1401:                             ;   in Loop: Header=BB6_356 Depth=4
	s_mov_b32 s16, 0
	s_and_saveexec_b32 s73, s72
	s_xor_b32 s72, exec_lo, s73
	s_cbranch_execz .LBB6_2890
; %bb.1402:                             ;   in Loop: Header=BB6_356 Depth=4
	v_cmp_eq_u16_sdwa s74, v35, v62 src0_sel:BYTE_1 src1_sel:DWORD
	s_mov_b32 s16, -1
	s_and_saveexec_b32 s73, s74
; %bb.1403:                             ;   in Loop: Header=BB6_356 Depth=4
	s_xor_b32 s16, exec_lo, -1
; %bb.1404:                             ;   in Loop: Header=BB6_356 Depth=4
	s_or_b32 exec_lo, exec_lo, s73
	s_and_b32 s16, s16, exec_lo
	s_or_saveexec_b32 s72, s72
	v_mov_b32_e32 v1, 0x7f800001
	s_xor_b32 exec_lo, exec_lo, s72
	s_cbranch_execnz .LBB6_2891
.LBB6_1405:                             ;   in Loop: Header=BB6_356 Depth=4
	s_or_b32 exec_lo, exec_lo, s72
	s_and_saveexec_b32 s72, s16
	s_cbranch_execz .LBB6_1407
.LBB6_1406:                             ;   in Loop: Header=BB6_356 Depth=4
	v_and_b32_sdwa v1, v63, v35 dst_sel:DWORD dst_unused:UNUSED_PAD src0_sel:DWORD src1_sel:BYTE_1
	v_and_b32_e32 v4, 7, v1
	v_bfe_u32 v82, v1, 3, 4
	v_ffbh_u32_e32 v5, v4
	v_cmp_eq_u32_e32 vcc_lo, 0, v82
	v_min_u32_e32 v5, 32, v5
	v_subrev_nc_u32_e32 v31, 28, v5
	v_sub_nc_u32_e32 v5, 29, v5
	v_lshlrev_b32_e32 v1, v31, v1
	v_lshlrev_b32_e32 v31, 16, v35
	v_cndmask_b32_e32 v5, v82, v5, vcc_lo
	v_and_b32_e32 v1, 7, v1
	v_lshl_add_u32 v5, v5, 23, 0x3b800000
	v_cndmask_b32_e32 v1, v4, v1, vcc_lo
	v_and_b32_e32 v4, 0x80000000, v31
	v_lshlrev_b32_e32 v1, 20, v1
	v_or3_b32 v1, v4, v5, v1
.LBB6_1407:                             ;   in Loop: Header=BB6_356 Depth=4
	s_or_b32 exec_lo, exec_lo, s72
	v_cmp_gt_i16_sdwa s72, v27, v61 src0_sel:BYTE_1 src1_sel:DWORD
	s_mov_b32 s16, 0
	s_and_saveexec_b32 s73, s72
	s_xor_b32 s72, exec_lo, s73
	s_cbranch_execz .LBB6_2892
; %bb.1408:                             ;   in Loop: Header=BB6_356 Depth=4
	v_cmp_eq_u16_sdwa s74, v27, v62 src0_sel:BYTE_1 src1_sel:DWORD
	s_mov_b32 s16, -1
	s_and_saveexec_b32 s73, s74
; %bb.1409:                             ;   in Loop: Header=BB6_356 Depth=4
	s_xor_b32 s16, exec_lo, -1
; %bb.1410:                             ;   in Loop: Header=BB6_356 Depth=4
	s_or_b32 exec_lo, exec_lo, s73
	s_and_b32 s16, s16, exec_lo
	s_or_saveexec_b32 s72, s72
	v_mov_b32_e32 v4, 0x7f800001
	s_xor_b32 exec_lo, exec_lo, s72
	s_cbranch_execnz .LBB6_2893
.LBB6_1411:                             ;   in Loop: Header=BB6_356 Depth=4
	s_or_b32 exec_lo, exec_lo, s72
	s_and_saveexec_b32 s72, s16
	s_cbranch_execz .LBB6_1413
.LBB6_1412:                             ;   in Loop: Header=BB6_356 Depth=4
	v_and_b32_sdwa v4, v63, v27 dst_sel:DWORD dst_unused:UNUSED_PAD src0_sel:DWORD src1_sel:BYTE_1
	v_and_b32_e32 v5, 7, v4
	v_bfe_u32 v83, v4, 3, 4
	v_ffbh_u32_e32 v31, v5
	v_cmp_eq_u32_e32 vcc_lo, 0, v83
	v_min_u32_e32 v31, 32, v31
	v_subrev_nc_u32_e32 v82, 28, v31
	v_sub_nc_u32_e32 v31, 29, v31
	v_lshlrev_b32_e32 v4, v82, v4
	v_lshlrev_b32_e32 v82, 16, v27
	v_cndmask_b32_e32 v31, v83, v31, vcc_lo
	v_and_b32_e32 v4, 7, v4
	v_lshl_add_u32 v31, v31, 23, 0x3b800000
	v_cndmask_b32_e32 v4, v5, v4, vcc_lo
	v_and_b32_e32 v5, 0x80000000, v82
	v_lshlrev_b32_e32 v4, 20, v4
	v_or3_b32 v4, v5, v31, v4
.LBB6_1413:                             ;   in Loop: Header=BB6_356 Depth=4
	s_or_b32 exec_lo, exec_lo, s72
	v_max_f32_e32 v4, v4, v4
	v_max_f32_e32 v1, v1, v1
	s_mov_b32 s16, 0
	v_max_f32_e32 v1, v1, v4
.LBB6_1414:                             ;   in Loop: Header=BB6_356 Depth=4
	s_and_b32 vcc_lo, exec_lo, s16
	s_cbranch_vccz .LBB6_1428
; %bb.1415:                             ;   in Loop: Header=BB6_356 Depth=4
	v_cmp_gt_i16_sdwa s72, v35, v61 src0_sel:BYTE_1 src1_sel:DWORD
	s_mov_b32 s16, 0
	s_and_saveexec_b32 s73, s72
	s_xor_b32 s72, exec_lo, s73
	s_cbranch_execz .LBB6_2894
; %bb.1416:                             ;   in Loop: Header=BB6_356 Depth=4
	v_cmp_eq_u16_sdwa s74, v35, v62 src0_sel:BYTE_1 src1_sel:DWORD
	s_mov_b32 s16, -1
	s_and_saveexec_b32 s73, s74
; %bb.1417:                             ;   in Loop: Header=BB6_356 Depth=4
	s_xor_b32 s16, exec_lo, -1
; %bb.1418:                             ;   in Loop: Header=BB6_356 Depth=4
	s_or_b32 exec_lo, exec_lo, s73
	s_and_b32 s16, s16, exec_lo
	s_or_saveexec_b32 s72, s72
	v_mov_b32_e32 v1, 0x7f800001
	s_xor_b32 exec_lo, exec_lo, s72
	s_cbranch_execnz .LBB6_2895
.LBB6_1419:                             ;   in Loop: Header=BB6_356 Depth=4
	s_or_b32 exec_lo, exec_lo, s72
	s_and_saveexec_b32 s72, s16
	s_cbranch_execz .LBB6_1421
.LBB6_1420:                             ;   in Loop: Header=BB6_356 Depth=4
	v_and_b32_sdwa v1, v63, v35 dst_sel:DWORD dst_unused:UNUSED_PAD src0_sel:DWORD src1_sel:BYTE_1
	v_and_b32_e32 v4, 7, v1
	v_bfe_u32 v82, v1, 3, 4
	v_ffbh_u32_e32 v5, v4
	v_cmp_eq_u32_e32 vcc_lo, 0, v82
	v_min_u32_e32 v5, 32, v5
	v_subrev_nc_u32_e32 v31, 28, v5
	v_sub_nc_u32_e32 v5, 29, v5
	v_lshlrev_b32_e32 v1, v31, v1
	v_lshlrev_b32_e32 v31, 16, v35
	v_cndmask_b32_e32 v5, v82, v5, vcc_lo
	v_and_b32_e32 v1, 7, v1
	v_lshl_add_u32 v5, v5, 23, 0x3b800000
	v_cndmask_b32_e32 v1, v4, v1, vcc_lo
	v_and_b32_e32 v4, 0x80000000, v31
	v_lshlrev_b32_e32 v1, 20, v1
	v_or3_b32 v1, v4, v5, v1
.LBB6_1421:                             ;   in Loop: Header=BB6_356 Depth=4
	s_or_b32 exec_lo, exec_lo, s72
	v_cmp_gt_i16_sdwa s72, v27, v61 src0_sel:BYTE_1 src1_sel:DWORD
	s_mov_b32 s16, 0
	s_and_saveexec_b32 s73, s72
	s_xor_b32 s72, exec_lo, s73
	s_cbranch_execz .LBB6_2896
; %bb.1422:                             ;   in Loop: Header=BB6_356 Depth=4
	v_cmp_eq_u16_sdwa s74, v27, v62 src0_sel:BYTE_1 src1_sel:DWORD
	s_mov_b32 s16, -1
	s_and_saveexec_b32 s73, s74
; %bb.1423:                             ;   in Loop: Header=BB6_356 Depth=4
	s_xor_b32 s16, exec_lo, -1
; %bb.1424:                             ;   in Loop: Header=BB6_356 Depth=4
	s_or_b32 exec_lo, exec_lo, s73
	s_and_b32 s16, s16, exec_lo
	s_or_saveexec_b32 s72, s72
	v_mov_b32_e32 v4, 0x7f800001
	s_xor_b32 exec_lo, exec_lo, s72
	s_cbranch_execnz .LBB6_2897
.LBB6_1425:                             ;   in Loop: Header=BB6_356 Depth=4
	s_or_b32 exec_lo, exec_lo, s72
	s_and_saveexec_b32 s72, s16
	s_cbranch_execz .LBB6_1427
.LBB6_1426:                             ;   in Loop: Header=BB6_356 Depth=4
	v_and_b32_sdwa v4, v63, v27 dst_sel:DWORD dst_unused:UNUSED_PAD src0_sel:DWORD src1_sel:BYTE_1
	v_and_b32_e32 v5, 7, v4
	v_bfe_u32 v83, v4, 3, 4
	v_ffbh_u32_e32 v31, v5
	v_cmp_eq_u32_e32 vcc_lo, 0, v83
	v_min_u32_e32 v31, 32, v31
	v_subrev_nc_u32_e32 v82, 28, v31
	v_sub_nc_u32_e32 v31, 29, v31
	v_lshlrev_b32_e32 v4, v82, v4
	v_lshlrev_b32_e32 v82, 16, v27
	v_cndmask_b32_e32 v31, v83, v31, vcc_lo
	v_and_b32_e32 v4, 7, v4
	v_lshl_add_u32 v31, v31, 23, 0x3b800000
	v_cndmask_b32_e32 v4, v5, v4, vcc_lo
	v_and_b32_e32 v5, 0x80000000, v82
	v_lshlrev_b32_e32 v4, 20, v4
	v_or3_b32 v4, v5, v31, v4
.LBB6_1427:                             ;   in Loop: Header=BB6_356 Depth=4
	s_or_b32 exec_lo, exec_lo, s72
	v_max_f32_e32 v4, v4, v4
	v_max_f32_e32 v1, v1, v1
	v_min_f32_e32 v1, v1, v4
.LBB6_1428:                             ;   in Loop: Header=BB6_356 Depth=4
	v_and_b32_e32 v4, 0x7f800000, v1
	v_mov_b32_e32 v85, 0x8000
	s_mov_b32 s72, exec_lo
	v_cmpx_ne_u32_e32 0x7f800000, v4
	s_cbranch_execz .LBB6_1436
; %bb.1429:                             ;   in Loop: Header=BB6_356 Depth=4
	v_mov_b32_e32 v85, 0
	s_mov_b32 s73, exec_lo
	v_cmpx_ne_u32_e32 0, v1
	s_cbranch_execz .LBB6_1435
; %bb.1430:                             ;   in Loop: Header=BB6_356 Depth=4
	v_bfe_u32 v5, v1, 23, 8
	v_and_b32_e32 v4, 0x7fffff, v1
	v_cmp_gt_u32_e64 s16, 0x79, v5
	v_sub_nc_u32_e32 v31, 0x78, v5
	v_cmp_eq_u32_e32 vcc_lo, 0, v5
	v_or_b32_e32 v82, 0x800000, v4
	v_cndmask_b32_e64 v31, 0, v31, s16
	v_cndmask_b32_e32 v4, v82, v4, vcc_lo
	v_cndmask_b32_e64 v31, v31, 0x77, vcc_lo
	v_lshl_add_u32 v82, 0x100000, v31, -1
	v_lshlrev_b32_e64 v83, v31, 0x80000
	v_and_b32_e32 v82, v82, v4
	v_cmp_eq_u32_e64 s16, v82, v83
	v_lshrrev_b32_e32 v82, v31, v4
	v_add_nc_u32_e32 v4, 0xffffff89, v5
	v_lshrrev_b32_e32 v5, 23, v82
	v_cndmask_b32_e64 v4, v4, 0xffffff8a, vcc_lo
	v_xor_b32_e32 v5, 1, v5
	v_add_nc_u32_e32 v4, v31, v4
	v_bfe_u32 v31, v82, 20, 1
	v_add_nc_u32_e32 v31, -1, v31
	v_cndmask_b32_e64 v31, 0, v31, s16
	s_mov_b32 s16, exec_lo
	v_add_nc_u32_e32 v31, v31, v82
	v_and_b32_e32 v31, 0xfffff, v31
	v_add_nc_u32_e32 v31, v31, v82
                                        ; implicit-def: $vgpr82
	v_cmpx_ne_u32_e64 v4, v5
	s_xor_b32 s16, exec_lo, s16
; %bb.1431:                             ;   in Loop: Header=BB6_356 Depth=4
	v_cmp_lt_u32_e32 vcc_lo, 0xffffff, v31
	v_sub_nc_u32_e32 v4, v4, v5
	v_cndmask_b32_e64 v5, 0, 1, vcc_lo
	v_add_co_ci_u32_e64 v82, null, 0, v4, vcc_lo
	v_lshrrev_b32_e32 v31, v5, v31
; %bb.1432:                             ;   in Loop: Header=BB6_356 Depth=4
	s_andn2_saveexec_b32 s16, s16
; %bb.1433:                             ;   in Loop: Header=BB6_356 Depth=4
	v_bfe_u32 v82, v31, 23, 1
; %bb.1434:                             ;   in Loop: Header=BB6_356 Depth=4
	s_or_b32 exec_lo, exec_lo, s16
	v_lshrrev_b32_e32 v4, 20, v31
	v_min_i32_e32 v5, 15, v82
	v_cmp_gt_i32_e32 vcc_lo, 16, v82
	v_and_b32_sdwa v1, v1, v62 dst_sel:DWORD dst_unused:UNUSED_PAD src0_sel:BYTE_3 src1_sel:DWORD
	v_lshlrev_b32_e32 v5, 3, v5
	v_cndmask_b32_e32 v4, 7, v4, vcc_lo
	v_and_b32_e32 v5, 0xf8, v5
	v_or_b32_e32 v31, v82, v4
	v_and_b32_e32 v4, 7, v4
	v_cmp_ne_u32_e32 vcc_lo, 0, v31
	v_or3_b32 v1, v1, v5, v4
	v_lshlrev_b32_e32 v1, 8, v1
	v_cndmask_b32_e32 v85, 0, v1, vcc_lo
.LBB6_1435:                             ;   in Loop: Header=BB6_356 Depth=4
	s_or_b32 exec_lo, exec_lo, s73
.LBB6_1436:                             ;   in Loop: Header=BB6_356 Depth=4
	s_or_b32 exec_lo, exec_lo, s72
	v_and_b32_sdwa v1, v35, v72 dst_sel:DWORD dst_unused:UNUSED_PAD src0_sel:WORD_1 src1_sel:DWORD
	s_andn2_b32 vcc_lo, exec_lo, s63
	s_mov_b32 s72, -1
                                        ; implicit-def: $vgpr5
	v_cmp_lt_i16_e64 s16, 0x7f, v1
	s_cbranch_vccnz .LBB6_1450
; %bb.1437:                             ;   in Loop: Header=BB6_356 Depth=4
	s_mov_b32 s72, 0
	s_and_saveexec_b32 s73, s16
	s_xor_b32 s16, exec_lo, s73
	s_cbranch_execz .LBB6_2898
; %bb.1438:                             ;   in Loop: Header=BB6_356 Depth=4
	s_mov_b32 s72, -1
	s_mov_b32 s73, exec_lo
	v_cmpx_eq_u16_e32 0x80, v1
; %bb.1439:                             ;   in Loop: Header=BB6_356 Depth=4
	s_xor_b32 s72, exec_lo, -1
; %bb.1440:                             ;   in Loop: Header=BB6_356 Depth=4
	s_or_b32 exec_lo, exec_lo, s73
	s_and_b32 s72, s72, exec_lo
	s_or_saveexec_b32 s16, s16
	v_mov_b32_e32 v4, 0x7f800001
	s_xor_b32 exec_lo, exec_lo, s16
	s_cbranch_execnz .LBB6_2899
.LBB6_1441:                             ;   in Loop: Header=BB6_356 Depth=4
	s_or_b32 exec_lo, exec_lo, s16
	s_and_saveexec_b32 s16, s72
	s_cbranch_execz .LBB6_1443
.LBB6_1442:                             ;   in Loop: Header=BB6_356 Depth=4
	v_bfe_u32 v4, v35, 16, 3
	v_bfe_u32 v5, v35, 19, 4
	v_ffbh_u32_e32 v31, v4
	v_cmp_eq_u32_e32 vcc_lo, 0, v5
	v_min_u32_e32 v31, 32, v31
	v_subrev_nc_u32_e32 v82, 28, v31
	v_sub_nc_u32_e32 v31, 29, v31
	v_lshlrev_b32_sdwa v82, v82, v35 dst_sel:DWORD dst_unused:UNUSED_PAD src0_sel:DWORD src1_sel:WORD_1
	v_cndmask_b32_e32 v5, v5, v31, vcc_lo
	v_lshlrev_b32_sdwa v31, v73, v35 dst_sel:DWORD dst_unused:UNUSED_PAD src0_sel:DWORD src1_sel:WORD_1
	v_and_b32_e32 v82, 7, v82
	v_lshl_add_u32 v5, v5, 23, 0x3b800000
	v_and_b32_e32 v31, 0x80000000, v31
	v_cndmask_b32_e32 v4, v4, v82, vcc_lo
	v_lshlrev_b32_e32 v4, 20, v4
	v_or3_b32 v4, v31, v5, v4
.LBB6_1443:                             ;   in Loop: Header=BB6_356 Depth=4
	s_or_b32 exec_lo, exec_lo, s16
	v_and_b32_sdwa v31, v27, v72 dst_sel:DWORD dst_unused:UNUSED_PAD src0_sel:WORD_1 src1_sel:DWORD
	s_mov_b32 s72, 0
	s_mov_b32 s16, exec_lo
	v_cmpx_lt_i16_e32 0x7f, v31
	s_xor_b32 s16, exec_lo, s16
	s_cbranch_execz .LBB6_2900
; %bb.1444:                             ;   in Loop: Header=BB6_356 Depth=4
	s_mov_b32 s72, -1
	s_mov_b32 s73, exec_lo
	v_cmpx_eq_u16_e32 0x80, v31
; %bb.1445:                             ;   in Loop: Header=BB6_356 Depth=4
	s_xor_b32 s72, exec_lo, -1
; %bb.1446:                             ;   in Loop: Header=BB6_356 Depth=4
	s_or_b32 exec_lo, exec_lo, s73
	s_and_b32 s72, s72, exec_lo
                                        ; implicit-def: $vgpr31
	s_or_saveexec_b32 s16, s16
	v_mov_b32_e32 v5, 0x7f800001
	s_xor_b32 exec_lo, exec_lo, s16
	s_cbranch_execnz .LBB6_2901
.LBB6_1447:                             ;   in Loop: Header=BB6_356 Depth=4
	s_or_b32 exec_lo, exec_lo, s16
	s_and_saveexec_b32 s16, s72
	s_cbranch_execz .LBB6_1449
.LBB6_1448:                             ;   in Loop: Header=BB6_356 Depth=4
	v_bfe_u32 v5, v27, 16, 3
	v_bfe_u32 v31, v27, 19, 4
	v_ffbh_u32_e32 v82, v5
	v_cmp_eq_u32_e32 vcc_lo, 0, v31
	v_min_u32_e32 v82, 32, v82
	v_subrev_nc_u32_e32 v83, 28, v82
	v_sub_nc_u32_e32 v82, 29, v82
	v_lshlrev_b32_sdwa v83, v83, v27 dst_sel:DWORD dst_unused:UNUSED_PAD src0_sel:DWORD src1_sel:WORD_1
	v_cndmask_b32_e32 v31, v31, v82, vcc_lo
	v_lshlrev_b32_sdwa v82, v73, v27 dst_sel:DWORD dst_unused:UNUSED_PAD src0_sel:DWORD src1_sel:WORD_1
	v_and_b32_e32 v83, 7, v83
	v_lshl_add_u32 v31, v31, 23, 0x3b800000
	v_and_b32_e32 v82, 0x80000000, v82
	v_cndmask_b32_e32 v5, v5, v83, vcc_lo
	v_lshlrev_b32_e32 v5, 20, v5
	v_or3_b32 v5, v82, v31, v5
.LBB6_1449:                             ;   in Loop: Header=BB6_356 Depth=4
	s_or_b32 exec_lo, exec_lo, s16
	v_max_f32_e32 v5, v5, v5
	v_max_f32_e32 v4, v4, v4
	s_mov_b32 s72, 0
	v_max_f32_e32 v5, v4, v5
.LBB6_1450:                             ;   in Loop: Header=BB6_356 Depth=4
	s_and_b32 vcc_lo, exec_lo, s72
	s_cbranch_vccz .LBB6_1464
; %bb.1451:                             ;   in Loop: Header=BB6_356 Depth=4
	s_mov_b32 s72, 0
	s_mov_b32 s16, exec_lo
	v_cmpx_lt_i16_e32 0x7f, v1
	s_xor_b32 s16, exec_lo, s16
	s_cbranch_execz .LBB6_2902
; %bb.1452:                             ;   in Loop: Header=BB6_356 Depth=4
	s_mov_b32 s72, -1
	s_mov_b32 s73, exec_lo
	v_cmpx_eq_u16_e32 0x80, v1
; %bb.1453:                             ;   in Loop: Header=BB6_356 Depth=4
	s_xor_b32 s72, exec_lo, -1
; %bb.1454:                             ;   in Loop: Header=BB6_356 Depth=4
	s_or_b32 exec_lo, exec_lo, s73
	s_and_b32 s72, s72, exec_lo
                                        ; implicit-def: $vgpr1
	s_or_saveexec_b32 s16, s16
	v_mov_b32_e32 v4, 0x7f800001
	s_xor_b32 exec_lo, exec_lo, s16
	s_cbranch_execnz .LBB6_2903
.LBB6_1455:                             ;   in Loop: Header=BB6_356 Depth=4
	s_or_b32 exec_lo, exec_lo, s16
	s_and_saveexec_b32 s16, s72
	s_cbranch_execz .LBB6_1457
.LBB6_1456:                             ;   in Loop: Header=BB6_356 Depth=4
	v_bfe_u32 v1, v35, 16, 3
	v_bfe_u32 v4, v35, 19, 4
	v_ffbh_u32_e32 v5, v1
	v_cmp_eq_u32_e32 vcc_lo, 0, v4
	v_min_u32_e32 v5, 32, v5
	v_subrev_nc_u32_e32 v31, 28, v5
	v_sub_nc_u32_e32 v5, 29, v5
	v_lshlrev_b32_sdwa v31, v31, v35 dst_sel:DWORD dst_unused:UNUSED_PAD src0_sel:DWORD src1_sel:WORD_1
	v_cndmask_b32_e32 v4, v4, v5, vcc_lo
	v_lshlrev_b32_sdwa v5, v73, v35 dst_sel:DWORD dst_unused:UNUSED_PAD src0_sel:DWORD src1_sel:WORD_1
	v_and_b32_e32 v31, 7, v31
	v_lshl_add_u32 v4, v4, 23, 0x3b800000
	v_and_b32_e32 v5, 0x80000000, v5
	v_cndmask_b32_e32 v1, v1, v31, vcc_lo
	v_lshlrev_b32_e32 v1, 20, v1
	v_or3_b32 v4, v5, v4, v1
.LBB6_1457:                             ;   in Loop: Header=BB6_356 Depth=4
	s_or_b32 exec_lo, exec_lo, s16
	v_and_b32_sdwa v5, v27, v72 dst_sel:DWORD dst_unused:UNUSED_PAD src0_sel:WORD_1 src1_sel:DWORD
	s_mov_b32 s72, 0
	s_mov_b32 s16, exec_lo
	v_cmpx_lt_i16_e32 0x7f, v5
	s_xor_b32 s16, exec_lo, s16
	s_cbranch_execz .LBB6_2904
; %bb.1458:                             ;   in Loop: Header=BB6_356 Depth=4
	s_mov_b32 s72, -1
	s_mov_b32 s73, exec_lo
	v_cmpx_eq_u16_e32 0x80, v5
; %bb.1459:                             ;   in Loop: Header=BB6_356 Depth=4
	s_xor_b32 s72, exec_lo, -1
; %bb.1460:                             ;   in Loop: Header=BB6_356 Depth=4
	s_or_b32 exec_lo, exec_lo, s73
	s_and_b32 s72, s72, exec_lo
                                        ; implicit-def: $vgpr5
	s_or_saveexec_b32 s16, s16
	v_mov_b32_e32 v1, 0x7f800001
	s_xor_b32 exec_lo, exec_lo, s16
	s_cbranch_execnz .LBB6_2905
.LBB6_1461:                             ;   in Loop: Header=BB6_356 Depth=4
	s_or_b32 exec_lo, exec_lo, s16
	s_and_saveexec_b32 s16, s72
	s_cbranch_execz .LBB6_1463
.LBB6_1462:                             ;   in Loop: Header=BB6_356 Depth=4
	v_bfe_u32 v1, v27, 16, 3
	v_bfe_u32 v5, v27, 19, 4
	v_ffbh_u32_e32 v31, v1
	v_cmp_eq_u32_e32 vcc_lo, 0, v5
	v_min_u32_e32 v31, 32, v31
	v_subrev_nc_u32_e32 v82, 28, v31
	v_sub_nc_u32_e32 v31, 29, v31
	v_lshlrev_b32_sdwa v82, v82, v27 dst_sel:DWORD dst_unused:UNUSED_PAD src0_sel:DWORD src1_sel:WORD_1
	v_cndmask_b32_e32 v5, v5, v31, vcc_lo
	v_lshlrev_b32_sdwa v31, v73, v27 dst_sel:DWORD dst_unused:UNUSED_PAD src0_sel:DWORD src1_sel:WORD_1
	v_and_b32_e32 v82, 7, v82
	v_lshl_add_u32 v5, v5, 23, 0x3b800000
	v_and_b32_e32 v31, 0x80000000, v31
	v_cndmask_b32_e32 v1, v1, v82, vcc_lo
	v_lshlrev_b32_e32 v1, 20, v1
	v_or3_b32 v1, v31, v5, v1
.LBB6_1463:                             ;   in Loop: Header=BB6_356 Depth=4
	s_or_b32 exec_lo, exec_lo, s16
	v_max_f32_e32 v1, v1, v1
	v_max_f32_e32 v4, v4, v4
	v_min_f32_e32 v5, v4, v1
.LBB6_1464:                             ;   in Loop: Header=BB6_356 Depth=4
	v_and_b32_e32 v1, 0x7f800000, v5
	v_mov_b32_e32 v4, 0x80
	s_mov_b32 s72, exec_lo
	v_cmpx_ne_u32_e32 0x7f800000, v1
	s_cbranch_execz .LBB6_1472
; %bb.1465:                             ;   in Loop: Header=BB6_356 Depth=4
	v_mov_b32_e32 v4, 0
	s_mov_b32 s73, exec_lo
	v_cmpx_ne_u32_e32 0, v5
	s_cbranch_execz .LBB6_1471
; %bb.1466:                             ;   in Loop: Header=BB6_356 Depth=4
	v_bfe_u32 v4, v5, 23, 8
	v_and_b32_e32 v1, 0x7fffff, v5
	v_cmp_gt_u32_e64 s16, 0x79, v4
	v_sub_nc_u32_e32 v31, 0x78, v4
	v_cmp_eq_u32_e32 vcc_lo, 0, v4
	v_or_b32_e32 v82, 0x800000, v1
	v_cndmask_b32_e64 v31, 0, v31, s16
	v_cndmask_b32_e32 v1, v82, v1, vcc_lo
	v_cndmask_b32_e64 v31, v31, 0x77, vcc_lo
	v_lshl_add_u32 v82, 0x100000, v31, -1
	v_lshlrev_b32_e64 v83, v31, 0x80000
	v_and_b32_e32 v82, v82, v1
	v_cmp_eq_u32_e64 s16, v82, v83
	v_lshrrev_b32_e32 v82, v31, v1
	v_add_nc_u32_e32 v1, 0xffffff89, v4
	v_lshrrev_b32_e32 v4, 23, v82
	v_cndmask_b32_e64 v1, v1, 0xffffff8a, vcc_lo
	v_xor_b32_e32 v4, 1, v4
	v_add_nc_u32_e32 v1, v31, v1
	v_bfe_u32 v31, v82, 20, 1
	v_add_nc_u32_e32 v31, -1, v31
	v_cndmask_b32_e64 v31, 0, v31, s16
	s_mov_b32 s16, exec_lo
	v_add_nc_u32_e32 v31, v31, v82
	v_and_b32_e32 v31, 0xfffff, v31
	v_add_nc_u32_e32 v31, v31, v82
                                        ; implicit-def: $vgpr82
	v_cmpx_ne_u32_e64 v1, v4
	s_xor_b32 s16, exec_lo, s16
; %bb.1467:                             ;   in Loop: Header=BB6_356 Depth=4
	v_cmp_lt_u32_e32 vcc_lo, 0xffffff, v31
	v_sub_nc_u32_e32 v1, v1, v4
	v_cndmask_b32_e64 v4, 0, 1, vcc_lo
	v_add_co_ci_u32_e64 v82, null, 0, v1, vcc_lo
	v_lshrrev_b32_e32 v31, v4, v31
; %bb.1468:                             ;   in Loop: Header=BB6_356 Depth=4
	s_andn2_saveexec_b32 s16, s16
; %bb.1469:                             ;   in Loop: Header=BB6_356 Depth=4
	v_bfe_u32 v82, v31, 23, 1
; %bb.1470:                             ;   in Loop: Header=BB6_356 Depth=4
	s_or_b32 exec_lo, exec_lo, s16
	v_and_b32_sdwa v1, v5, v62 dst_sel:DWORD dst_unused:UNUSED_PAD src0_sel:BYTE_3 src1_sel:DWORD
	v_lshrrev_b32_e32 v4, 20, v31
	v_min_i32_e32 v5, 15, v82
	v_cmp_gt_i32_e32 vcc_lo, 16, v82
	v_lshlrev_b32_e32 v5, 3, v5
	v_cndmask_b32_e32 v4, 7, v4, vcc_lo
	v_and_b32_e32 v5, 0xf8, v5
	v_or_b32_e32 v31, v82, v4
	v_and_b32_e32 v4, 7, v4
	v_cmp_ne_u32_e32 vcc_lo, 0, v31
	v_or3_b32 v1, v5, v1, v4
	v_cndmask_b32_e32 v4, 0, v1, vcc_lo
.LBB6_1471:                             ;   in Loop: Header=BB6_356 Depth=4
	s_or_b32 exec_lo, exec_lo, s73
.LBB6_1472:                             ;   in Loop: Header=BB6_356 Depth=4
	s_or_b32 exec_lo, exec_lo, s72
	v_cmp_gt_i16_sdwa s72, v35, v61 src0_sel:BYTE_3 src1_sel:DWORD
	s_andn2_b32 vcc_lo, exec_lo, s63
	s_mov_b32 s16, -1
                                        ; implicit-def: $vgpr1
	s_cbranch_vccnz .LBB6_1486
; %bb.1473:                             ;   in Loop: Header=BB6_356 Depth=4
	s_mov_b32 s16, 0
	s_and_saveexec_b32 s73, s72
	s_xor_b32 s72, exec_lo, s73
	s_cbranch_execz .LBB6_2906
; %bb.1474:                             ;   in Loop: Header=BB6_356 Depth=4
	v_cmp_eq_u16_sdwa s74, v35, v62 src0_sel:BYTE_3 src1_sel:DWORD
	s_mov_b32 s16, -1
	s_and_saveexec_b32 s73, s74
; %bb.1475:                             ;   in Loop: Header=BB6_356 Depth=4
	s_xor_b32 s16, exec_lo, -1
; %bb.1476:                             ;   in Loop: Header=BB6_356 Depth=4
	s_or_b32 exec_lo, exec_lo, s73
	s_and_b32 s16, s16, exec_lo
	s_or_saveexec_b32 s72, s72
	v_mov_b32_e32 v1, 0x7f800001
	s_xor_b32 exec_lo, exec_lo, s72
	s_cbranch_execnz .LBB6_2907
.LBB6_1477:                             ;   in Loop: Header=BB6_356 Depth=4
	s_or_b32 exec_lo, exec_lo, s72
	s_and_saveexec_b32 s72, s16
	s_cbranch_execz .LBB6_1479
.LBB6_1478:                             ;   in Loop: Header=BB6_356 Depth=4
	v_bfe_u32 v1, v35, 24, 3
	v_bfe_u32 v82, v35, 27, 4
	v_ffbh_u32_e32 v5, v1
	v_cmp_eq_u32_e32 vcc_lo, 0, v82
	v_min_u32_e32 v5, 32, v5
	v_subrev_nc_u32_e32 v31, 28, v5
	v_sub_nc_u32_e32 v5, 29, v5
	v_lshlrev_b32_sdwa v31, v31, v35 dst_sel:DWORD dst_unused:UNUSED_PAD src0_sel:DWORD src1_sel:BYTE_3
	v_cndmask_b32_e32 v5, v82, v5, vcc_lo
	v_and_b32_e32 v31, 7, v31
	v_lshl_add_u32 v5, v5, 23, 0x3b800000
	v_cndmask_b32_e32 v1, v1, v31, vcc_lo
	v_and_b32_e32 v31, 0x80000000, v35
	v_lshlrev_b32_e32 v1, 20, v1
	v_or3_b32 v1, v31, v5, v1
.LBB6_1479:                             ;   in Loop: Header=BB6_356 Depth=4
	s_or_b32 exec_lo, exec_lo, s72
	v_cmp_gt_i16_sdwa s72, v27, v61 src0_sel:BYTE_3 src1_sel:DWORD
	s_mov_b32 s16, 0
	s_and_saveexec_b32 s73, s72
	s_xor_b32 s72, exec_lo, s73
	s_cbranch_execz .LBB6_2908
; %bb.1480:                             ;   in Loop: Header=BB6_356 Depth=4
	v_cmp_eq_u16_sdwa s74, v27, v62 src0_sel:BYTE_3 src1_sel:DWORD
	s_mov_b32 s16, -1
	s_and_saveexec_b32 s73, s74
; %bb.1481:                             ;   in Loop: Header=BB6_356 Depth=4
	s_xor_b32 s16, exec_lo, -1
; %bb.1482:                             ;   in Loop: Header=BB6_356 Depth=4
	s_or_b32 exec_lo, exec_lo, s73
	s_and_b32 s16, s16, exec_lo
	s_or_saveexec_b32 s72, s72
	v_mov_b32_e32 v5, 0x7f800001
	s_xor_b32 exec_lo, exec_lo, s72
	s_cbranch_execnz .LBB6_2909
.LBB6_1483:                             ;   in Loop: Header=BB6_356 Depth=4
	s_or_b32 exec_lo, exec_lo, s72
	s_and_saveexec_b32 s72, s16
	s_cbranch_execz .LBB6_1485
.LBB6_1484:                             ;   in Loop: Header=BB6_356 Depth=4
	v_bfe_u32 v5, v27, 24, 3
	v_bfe_u32 v83, v27, 27, 4
	v_ffbh_u32_e32 v31, v5
	v_cmp_eq_u32_e32 vcc_lo, 0, v83
	v_min_u32_e32 v31, 32, v31
	v_subrev_nc_u32_e32 v82, 28, v31
	v_sub_nc_u32_e32 v31, 29, v31
	v_lshlrev_b32_sdwa v82, v82, v27 dst_sel:DWORD dst_unused:UNUSED_PAD src0_sel:DWORD src1_sel:BYTE_3
	v_cndmask_b32_e32 v31, v83, v31, vcc_lo
	v_and_b32_e32 v82, 7, v82
	v_lshl_add_u32 v31, v31, 23, 0x3b800000
	v_cndmask_b32_e32 v5, v5, v82, vcc_lo
	v_and_b32_e32 v82, 0x80000000, v27
	v_lshlrev_b32_e32 v5, 20, v5
	v_or3_b32 v5, v82, v31, v5
.LBB6_1485:                             ;   in Loop: Header=BB6_356 Depth=4
	s_or_b32 exec_lo, exec_lo, s72
	v_max_f32_e32 v5, v5, v5
	v_max_f32_e32 v1, v1, v1
	s_mov_b32 s16, 0
	v_max_f32_e32 v1, v1, v5
.LBB6_1486:                             ;   in Loop: Header=BB6_356 Depth=4
	s_and_b32 vcc_lo, exec_lo, s16
	s_cbranch_vccz .LBB6_1500
; %bb.1487:                             ;   in Loop: Header=BB6_356 Depth=4
	v_cmp_gt_i16_sdwa s72, v35, v61 src0_sel:BYTE_3 src1_sel:DWORD
	s_mov_b32 s16, 0
	s_and_saveexec_b32 s73, s72
	s_xor_b32 s72, exec_lo, s73
	s_cbranch_execz .LBB6_2910
; %bb.1488:                             ;   in Loop: Header=BB6_356 Depth=4
	v_cmp_eq_u16_sdwa s74, v35, v62 src0_sel:BYTE_3 src1_sel:DWORD
	s_mov_b32 s16, -1
	s_and_saveexec_b32 s73, s74
; %bb.1489:                             ;   in Loop: Header=BB6_356 Depth=4
	s_xor_b32 s16, exec_lo, -1
; %bb.1490:                             ;   in Loop: Header=BB6_356 Depth=4
	s_or_b32 exec_lo, exec_lo, s73
	s_and_b32 s16, s16, exec_lo
	s_or_saveexec_b32 s72, s72
	v_mov_b32_e32 v1, 0x7f800001
	s_xor_b32 exec_lo, exec_lo, s72
	s_cbranch_execnz .LBB6_2911
.LBB6_1491:                             ;   in Loop: Header=BB6_356 Depth=4
	s_or_b32 exec_lo, exec_lo, s72
	s_and_saveexec_b32 s72, s16
	s_cbranch_execz .LBB6_1493
.LBB6_1492:                             ;   in Loop: Header=BB6_356 Depth=4
	v_bfe_u32 v1, v35, 24, 3
	v_bfe_u32 v82, v35, 27, 4
	v_ffbh_u32_e32 v5, v1
	v_cmp_eq_u32_e32 vcc_lo, 0, v82
	v_min_u32_e32 v5, 32, v5
	v_subrev_nc_u32_e32 v31, 28, v5
	v_sub_nc_u32_e32 v5, 29, v5
	v_lshlrev_b32_sdwa v31, v31, v35 dst_sel:DWORD dst_unused:UNUSED_PAD src0_sel:DWORD src1_sel:BYTE_3
	v_cndmask_b32_e32 v5, v82, v5, vcc_lo
	v_and_b32_e32 v31, 7, v31
	v_lshl_add_u32 v5, v5, 23, 0x3b800000
	v_cndmask_b32_e32 v1, v1, v31, vcc_lo
	v_and_b32_e32 v31, 0x80000000, v35
	v_lshlrev_b32_e32 v1, 20, v1
	v_or3_b32 v1, v31, v5, v1
.LBB6_1493:                             ;   in Loop: Header=BB6_356 Depth=4
	s_or_b32 exec_lo, exec_lo, s72
	v_cmp_gt_i16_sdwa s72, v27, v61 src0_sel:BYTE_3 src1_sel:DWORD
	s_mov_b32 s16, 0
	s_and_saveexec_b32 s73, s72
	s_xor_b32 s72, exec_lo, s73
	s_cbranch_execz .LBB6_2912
; %bb.1494:                             ;   in Loop: Header=BB6_356 Depth=4
	v_cmp_eq_u16_sdwa s74, v27, v62 src0_sel:BYTE_3 src1_sel:DWORD
	s_mov_b32 s16, -1
	s_and_saveexec_b32 s73, s74
; %bb.1495:                             ;   in Loop: Header=BB6_356 Depth=4
	s_xor_b32 s16, exec_lo, -1
; %bb.1496:                             ;   in Loop: Header=BB6_356 Depth=4
	s_or_b32 exec_lo, exec_lo, s73
	s_and_b32 s16, s16, exec_lo
	s_or_saveexec_b32 s72, s72
	v_mov_b32_e32 v5, 0x7f800001
	s_xor_b32 exec_lo, exec_lo, s72
	s_cbranch_execnz .LBB6_2913
.LBB6_1497:                             ;   in Loop: Header=BB6_356 Depth=4
	s_or_b32 exec_lo, exec_lo, s72
	s_and_saveexec_b32 s72, s16
	s_cbranch_execz .LBB6_1499
.LBB6_1498:                             ;   in Loop: Header=BB6_356 Depth=4
	v_bfe_u32 v5, v27, 24, 3
	v_bfe_u32 v82, v27, 27, 4
	v_ffbh_u32_e32 v31, v5
	v_cmp_eq_u32_e32 vcc_lo, 0, v82
	v_min_u32_e32 v31, 32, v31
	v_subrev_nc_u32_e32 v35, 28, v31
	v_sub_nc_u32_e32 v31, 29, v31
	v_lshlrev_b32_sdwa v35, v35, v27 dst_sel:DWORD dst_unused:UNUSED_PAD src0_sel:DWORD src1_sel:BYTE_3
	v_cndmask_b32_e32 v31, v82, v31, vcc_lo
	v_and_b32_e32 v27, 0x80000000, v27
	v_and_b32_e32 v35, 7, v35
	v_lshl_add_u32 v31, v31, 23, 0x3b800000
	v_cndmask_b32_e32 v5, v5, v35, vcc_lo
	v_lshlrev_b32_e32 v5, 20, v5
	v_or3_b32 v5, v27, v31, v5
.LBB6_1499:                             ;   in Loop: Header=BB6_356 Depth=4
	s_or_b32 exec_lo, exec_lo, s72
	v_max_f32_e32 v5, v5, v5
	v_max_f32_e32 v1, v1, v1
	v_min_f32_e32 v1, v1, v5
.LBB6_1500:                             ;   in Loop: Header=BB6_356 Depth=4
	v_and_b32_e32 v5, 0x7f800000, v1
	v_cmp_ne_u32_e32 vcc_lo, 0x7f800000, v5
	v_mov_b32_e32 v5, 0x8000
	s_and_saveexec_b32 s72, vcc_lo
	s_cbranch_execz .LBB6_1508
; %bb.1501:                             ;   in Loop: Header=BB6_356 Depth=4
	v_mov_b32_e32 v5, 0
	s_mov_b32 s73, exec_lo
	v_cmpx_ne_u32_e32 0, v1
	s_cbranch_execz .LBB6_1507
; %bb.1502:                             ;   in Loop: Header=BB6_356 Depth=4
	v_bfe_u32 v27, v1, 23, 8
	v_and_b32_e32 v5, 0x7fffff, v1
	v_cmp_gt_u32_e64 s16, 0x79, v27
	v_sub_nc_u32_e32 v31, 0x78, v27
	v_cmp_eq_u32_e32 vcc_lo, 0, v27
	v_or_b32_e32 v35, 0x800000, v5
	v_cndmask_b32_e64 v31, 0, v31, s16
	v_cndmask_b32_e32 v5, v35, v5, vcc_lo
	v_cndmask_b32_e64 v31, v31, 0x77, vcc_lo
	v_lshl_add_u32 v35, 0x100000, v31, -1
	v_lshlrev_b32_e64 v82, v31, 0x80000
	v_and_b32_e32 v35, v35, v5
	v_cmp_eq_u32_e64 s16, v35, v82
	v_lshrrev_b32_e32 v35, v31, v5
	v_add_nc_u32_e32 v5, 0xffffff89, v27
	v_lshrrev_b32_e32 v27, 23, v35
	v_cndmask_b32_e64 v5, v5, 0xffffff8a, vcc_lo
	v_xor_b32_e32 v27, 1, v27
	v_add_nc_u32_e32 v5, v31, v5
	v_bfe_u32 v31, v35, 20, 1
	v_add_nc_u32_e32 v31, -1, v31
	v_cndmask_b32_e64 v31, 0, v31, s16
	s_mov_b32 s16, exec_lo
	v_add_nc_u32_e32 v31, v31, v35
	v_and_b32_e32 v31, 0xfffff, v31
	v_add_nc_u32_e32 v31, v31, v35
                                        ; implicit-def: $vgpr35
	v_cmpx_ne_u32_e64 v5, v27
	s_xor_b32 s16, exec_lo, s16
; %bb.1503:                             ;   in Loop: Header=BB6_356 Depth=4
	v_cmp_lt_u32_e32 vcc_lo, 0xffffff, v31
	v_sub_nc_u32_e32 v5, v5, v27
	v_cndmask_b32_e64 v27, 0, 1, vcc_lo
	v_add_co_ci_u32_e64 v35, null, 0, v5, vcc_lo
	v_lshrrev_b32_e32 v31, v27, v31
; %bb.1504:                             ;   in Loop: Header=BB6_356 Depth=4
	s_andn2_saveexec_b32 s16, s16
; %bb.1505:                             ;   in Loop: Header=BB6_356 Depth=4
	v_bfe_u32 v35, v31, 23, 1
; %bb.1506:                             ;   in Loop: Header=BB6_356 Depth=4
	s_or_b32 exec_lo, exec_lo, s16
	v_lshrrev_b32_e32 v5, 20, v31
	v_min_i32_e32 v27, 15, v35
	v_cmp_gt_i32_e32 vcc_lo, 16, v35
	v_and_b32_sdwa v1, v1, v62 dst_sel:DWORD dst_unused:UNUSED_PAD src0_sel:BYTE_3 src1_sel:DWORD
	v_lshlrev_b32_e32 v27, 3, v27
	v_cndmask_b32_e32 v5, 7, v5, vcc_lo
	v_and_b32_e32 v27, 0xf8, v27
	v_or_b32_e32 v31, v35, v5
	v_and_b32_e32 v5, 7, v5
	v_cmp_ne_u32_e32 vcc_lo, 0, v31
	v_or3_b32 v1, v1, v27, v5
	v_lshlrev_b32_e32 v1, 8, v1
	v_cndmask_b32_e32 v5, 0, v1, vcc_lo
.LBB6_1507:                             ;   in Loop: Header=BB6_356 Depth=4
	s_or_b32 exec_lo, exec_lo, s73
.LBB6_1508:                             ;   in Loop: Header=BB6_356 Depth=4
	s_or_b32 exec_lo, exec_lo, s72
	v_cmp_gt_i16_sdwa s73, v20, v61 src0_sel:BYTE_0 src1_sel:DWORD
	s_andn2_b32 vcc_lo, exec_lo, s63
	s_mov_b32 s16, -1
                                        ; implicit-def: $vgpr1
	s_cbranch_vccnz .LBB6_1522
; %bb.1509:                             ;   in Loop: Header=BB6_356 Depth=4
	s_mov_b32 s72, 0
	s_and_saveexec_b32 s16, s73
	s_xor_b32 s16, exec_lo, s16
	s_cbranch_execz .LBB6_2914
; %bb.1510:                             ;   in Loop: Header=BB6_356 Depth=4
	v_cmp_eq_u16_sdwa s74, v20, v62 src0_sel:BYTE_0 src1_sel:DWORD
	s_mov_b32 s72, -1
	s_and_saveexec_b32 s73, s74
; %bb.1511:                             ;   in Loop: Header=BB6_356 Depth=4
	s_xor_b32 s72, exec_lo, -1
; %bb.1512:                             ;   in Loop: Header=BB6_356 Depth=4
	s_or_b32 exec_lo, exec_lo, s73
	s_and_b32 s72, s72, exec_lo
	s_or_saveexec_b32 s16, s16
	v_mov_b32_e32 v1, 0x7f800001
	s_xor_b32 exec_lo, exec_lo, s16
	s_cbranch_execnz .LBB6_2915
.LBB6_1513:                             ;   in Loop: Header=BB6_356 Depth=4
	s_or_b32 exec_lo, exec_lo, s16
	s_and_saveexec_b32 s16, s72
	s_cbranch_execz .LBB6_1515
.LBB6_1514:                             ;   in Loop: Header=BB6_356 Depth=4
	v_and_b32_e32 v1, 7, v20
	v_bfe_u32 v27, v20, 3, 4
	v_ffbh_u32_e32 v31, v1
	v_cmp_eq_u32_e32 vcc_lo, 0, v27
	v_min_u32_e32 v31, 32, v31
	v_subrev_nc_u32_e32 v35, 28, v31
	v_sub_nc_u32_e32 v31, 29, v31
	v_lshlrev_b32_e32 v35, v35, v20
	v_cndmask_b32_e32 v27, v27, v31, vcc_lo
	v_lshlrev_b32_e32 v31, 24, v20
	v_and_b32_e32 v35, 7, v35
	v_lshl_add_u32 v27, v27, 23, 0x3b800000
	v_and_b32_e32 v31, 0x80000000, v31
	v_cndmask_b32_e32 v1, v1, v35, vcc_lo
	v_lshlrev_b32_e32 v1, 20, v1
	v_or3_b32 v1, v31, v27, v1
.LBB6_1515:                             ;   in Loop: Header=BB6_356 Depth=4
	s_or_b32 exec_lo, exec_lo, s16
	s_waitcnt vmcnt(1)
	v_cmp_gt_i16_sdwa s16, v16, v61 src0_sel:BYTE_0 src1_sel:DWORD
	s_mov_b32 s72, 0
	s_and_saveexec_b32 s73, s16
	s_xor_b32 s16, exec_lo, s73
	s_cbranch_execz .LBB6_2916
; %bb.1516:                             ;   in Loop: Header=BB6_356 Depth=4
	v_cmp_eq_u16_sdwa s74, v16, v62 src0_sel:BYTE_0 src1_sel:DWORD
	s_mov_b32 s72, -1
	s_and_saveexec_b32 s73, s74
; %bb.1517:                             ;   in Loop: Header=BB6_356 Depth=4
	s_xor_b32 s72, exec_lo, -1
; %bb.1518:                             ;   in Loop: Header=BB6_356 Depth=4
	s_or_b32 exec_lo, exec_lo, s73
	s_and_b32 s72, s72, exec_lo
	s_or_saveexec_b32 s16, s16
	v_mov_b32_e32 v27, 0x7f800001
	s_xor_b32 exec_lo, exec_lo, s16
	s_cbranch_execnz .LBB6_2917
.LBB6_1519:                             ;   in Loop: Header=BB6_356 Depth=4
	s_or_b32 exec_lo, exec_lo, s16
	s_and_saveexec_b32 s16, s72
	s_cbranch_execz .LBB6_1521
.LBB6_1520:                             ;   in Loop: Header=BB6_356 Depth=4
	v_and_b32_e32 v27, 7, v16
	v_bfe_u32 v31, v16, 3, 4
	v_ffbh_u32_e32 v35, v27
	v_cmp_eq_u32_e32 vcc_lo, 0, v31
	v_min_u32_e32 v35, 32, v35
	v_subrev_nc_u32_e32 v82, 28, v35
	v_sub_nc_u32_e32 v35, 29, v35
	v_lshlrev_b32_e32 v82, v82, v16
	v_cndmask_b32_e32 v31, v31, v35, vcc_lo
	v_lshlrev_b32_e32 v35, 24, v16
	v_and_b32_e32 v82, 7, v82
	v_lshl_add_u32 v31, v31, 23, 0x3b800000
	v_and_b32_e32 v35, 0x80000000, v35
	v_cndmask_b32_e32 v27, v27, v82, vcc_lo
	v_lshlrev_b32_e32 v27, 20, v27
	v_or3_b32 v27, v35, v31, v27
.LBB6_1521:                             ;   in Loop: Header=BB6_356 Depth=4
	s_or_b32 exec_lo, exec_lo, s16
	v_max_f32_e32 v27, v27, v27
	v_max_f32_e32 v1, v1, v1
	s_mov_b32 s16, 0
	v_max_f32_e32 v1, v1, v27
.LBB6_1522:                             ;   in Loop: Header=BB6_356 Depth=4
	s_and_b32 vcc_lo, exec_lo, s16
	s_cbranch_vccz .LBB6_1536
; %bb.1523:                             ;   in Loop: Header=BB6_356 Depth=4
	v_cmp_gt_i16_sdwa s16, v20, v61 src0_sel:BYTE_0 src1_sel:DWORD
	s_mov_b32 s72, 0
	s_and_saveexec_b32 s73, s16
	s_xor_b32 s16, exec_lo, s73
	s_cbranch_execz .LBB6_2918
; %bb.1524:                             ;   in Loop: Header=BB6_356 Depth=4
	v_cmp_eq_u16_sdwa s74, v20, v62 src0_sel:BYTE_0 src1_sel:DWORD
	s_mov_b32 s72, -1
	s_and_saveexec_b32 s73, s74
; %bb.1525:                             ;   in Loop: Header=BB6_356 Depth=4
	s_xor_b32 s72, exec_lo, -1
; %bb.1526:                             ;   in Loop: Header=BB6_356 Depth=4
	s_or_b32 exec_lo, exec_lo, s73
	s_and_b32 s72, s72, exec_lo
	s_or_saveexec_b32 s16, s16
	v_mov_b32_e32 v1, 0x7f800001
	s_xor_b32 exec_lo, exec_lo, s16
	s_cbranch_execnz .LBB6_2919
.LBB6_1527:                             ;   in Loop: Header=BB6_356 Depth=4
	s_or_b32 exec_lo, exec_lo, s16
	s_and_saveexec_b32 s16, s72
	s_cbranch_execz .LBB6_1529
.LBB6_1528:                             ;   in Loop: Header=BB6_356 Depth=4
	v_and_b32_e32 v1, 7, v20
	v_bfe_u32 v27, v20, 3, 4
	v_ffbh_u32_e32 v31, v1
	v_cmp_eq_u32_e32 vcc_lo, 0, v27
	v_min_u32_e32 v31, 32, v31
	v_subrev_nc_u32_e32 v35, 28, v31
	v_sub_nc_u32_e32 v31, 29, v31
	v_lshlrev_b32_e32 v35, v35, v20
	v_cndmask_b32_e32 v27, v27, v31, vcc_lo
	v_lshlrev_b32_e32 v31, 24, v20
	v_and_b32_e32 v35, 7, v35
	v_lshl_add_u32 v27, v27, 23, 0x3b800000
	v_and_b32_e32 v31, 0x80000000, v31
	v_cndmask_b32_e32 v1, v1, v35, vcc_lo
	v_lshlrev_b32_e32 v1, 20, v1
	v_or3_b32 v1, v31, v27, v1
.LBB6_1529:                             ;   in Loop: Header=BB6_356 Depth=4
	s_or_b32 exec_lo, exec_lo, s16
	s_waitcnt vmcnt(1)
	v_cmp_gt_i16_sdwa s16, v16, v61 src0_sel:BYTE_0 src1_sel:DWORD
	s_mov_b32 s72, 0
	s_and_saveexec_b32 s73, s16
	s_xor_b32 s16, exec_lo, s73
	s_cbranch_execz .LBB6_2920
; %bb.1530:                             ;   in Loop: Header=BB6_356 Depth=4
	v_cmp_eq_u16_sdwa s74, v16, v62 src0_sel:BYTE_0 src1_sel:DWORD
	s_mov_b32 s72, -1
	s_and_saveexec_b32 s73, s74
; %bb.1531:                             ;   in Loop: Header=BB6_356 Depth=4
	s_xor_b32 s72, exec_lo, -1
; %bb.1532:                             ;   in Loop: Header=BB6_356 Depth=4
	s_or_b32 exec_lo, exec_lo, s73
	s_and_b32 s72, s72, exec_lo
	s_or_saveexec_b32 s16, s16
	v_mov_b32_e32 v27, 0x7f800001
	s_xor_b32 exec_lo, exec_lo, s16
	s_cbranch_execnz .LBB6_2921
.LBB6_1533:                             ;   in Loop: Header=BB6_356 Depth=4
	s_or_b32 exec_lo, exec_lo, s16
	s_and_saveexec_b32 s16, s72
	s_cbranch_execz .LBB6_1535
.LBB6_1534:                             ;   in Loop: Header=BB6_356 Depth=4
	v_and_b32_e32 v27, 7, v16
	v_bfe_u32 v31, v16, 3, 4
	v_ffbh_u32_e32 v35, v27
	v_cmp_eq_u32_e32 vcc_lo, 0, v31
	v_min_u32_e32 v35, 32, v35
	v_subrev_nc_u32_e32 v82, 28, v35
	v_sub_nc_u32_e32 v35, 29, v35
	v_lshlrev_b32_e32 v82, v82, v16
	v_cndmask_b32_e32 v31, v31, v35, vcc_lo
	v_lshlrev_b32_e32 v35, 24, v16
	v_and_b32_e32 v82, 7, v82
	v_lshl_add_u32 v31, v31, 23, 0x3b800000
	v_and_b32_e32 v35, 0x80000000, v35
	v_cndmask_b32_e32 v27, v27, v82, vcc_lo
	v_lshlrev_b32_e32 v27, 20, v27
	v_or3_b32 v27, v35, v31, v27
.LBB6_1535:                             ;   in Loop: Header=BB6_356 Depth=4
	s_or_b32 exec_lo, exec_lo, s16
	v_max_f32_e32 v27, v27, v27
	v_max_f32_e32 v1, v1, v1
	v_min_f32_e32 v1, v1, v27
.LBB6_1536:                             ;   in Loop: Header=BB6_356 Depth=4
	v_and_b32_e32 v27, 0x7f800000, v1
	v_cmp_ne_u32_e32 vcc_lo, 0x7f800000, v27
	v_mov_b32_e32 v27, 0x80
	s_and_saveexec_b32 s72, vcc_lo
	s_cbranch_execz .LBB6_1544
; %bb.1537:                             ;   in Loop: Header=BB6_356 Depth=4
	v_mov_b32_e32 v27, 0
	s_mov_b32 s73, exec_lo
	v_cmpx_ne_u32_e32 0, v1
	s_cbranch_execz .LBB6_1543
; %bb.1538:                             ;   in Loop: Header=BB6_356 Depth=4
	v_bfe_u32 v31, v1, 23, 8
	v_and_b32_e32 v27, 0x7fffff, v1
	v_cmp_gt_u32_e64 s16, 0x79, v31
	v_sub_nc_u32_e32 v35, 0x78, v31
	v_cmp_eq_u32_e32 vcc_lo, 0, v31
	v_or_b32_e32 v82, 0x800000, v27
	v_cndmask_b32_e64 v35, 0, v35, s16
	v_cndmask_b32_e32 v27, v82, v27, vcc_lo
	v_cndmask_b32_e64 v35, v35, 0x77, vcc_lo
	v_lshl_add_u32 v82, 0x100000, v35, -1
	v_lshlrev_b32_e64 v83, v35, 0x80000
	v_and_b32_e32 v82, v82, v27
	v_cmp_eq_u32_e64 s16, v82, v83
	v_lshrrev_b32_e32 v82, v35, v27
	v_add_nc_u32_e32 v27, 0xffffff89, v31
	v_lshrrev_b32_e32 v31, 23, v82
	v_cndmask_b32_e64 v27, v27, 0xffffff8a, vcc_lo
	v_xor_b32_e32 v31, 1, v31
	v_add_nc_u32_e32 v27, v35, v27
	v_bfe_u32 v35, v82, 20, 1
	v_add_nc_u32_e32 v35, -1, v35
	v_cndmask_b32_e64 v35, 0, v35, s16
	s_mov_b32 s16, exec_lo
	v_add_nc_u32_e32 v35, v35, v82
	v_and_b32_e32 v35, 0xfffff, v35
	v_add_nc_u32_e32 v35, v35, v82
                                        ; implicit-def: $vgpr82
	v_cmpx_ne_u32_e64 v27, v31
	s_xor_b32 s16, exec_lo, s16
; %bb.1539:                             ;   in Loop: Header=BB6_356 Depth=4
	v_cmp_lt_u32_e32 vcc_lo, 0xffffff, v35
	v_sub_nc_u32_e32 v27, v27, v31
	v_cndmask_b32_e64 v31, 0, 1, vcc_lo
	v_add_co_ci_u32_e64 v82, null, 0, v27, vcc_lo
	v_lshrrev_b32_e32 v35, v31, v35
; %bb.1540:                             ;   in Loop: Header=BB6_356 Depth=4
	s_andn2_saveexec_b32 s16, s16
; %bb.1541:                             ;   in Loop: Header=BB6_356 Depth=4
	v_bfe_u32 v82, v35, 23, 1
; %bb.1542:                             ;   in Loop: Header=BB6_356 Depth=4
	s_or_b32 exec_lo, exec_lo, s16
	v_lshrrev_b32_e32 v27, 20, v35
	v_min_i32_e32 v31, 15, v82
	v_cmp_gt_i32_e32 vcc_lo, 16, v82
	v_and_b32_sdwa v1, v1, v62 dst_sel:DWORD dst_unused:UNUSED_PAD src0_sel:BYTE_3 src1_sel:DWORD
	v_lshlrev_b32_e32 v31, 3, v31
	v_cndmask_b32_e32 v27, 7, v27, vcc_lo
	v_and_b32_e32 v31, 0xf8, v31
	v_or_b32_e32 v35, v82, v27
	v_and_b32_e32 v27, 7, v27
	v_cmp_ne_u32_e32 vcc_lo, 0, v35
	v_or3_b32 v1, v31, v1, v27
	v_cndmask_b32_e32 v27, 0, v1, vcc_lo
.LBB6_1543:                             ;   in Loop: Header=BB6_356 Depth=4
	s_or_b32 exec_lo, exec_lo, s73
.LBB6_1544:                             ;   in Loop: Header=BB6_356 Depth=4
	s_or_b32 exec_lo, exec_lo, s72
	v_cmp_gt_i16_sdwa s72, v20, v61 src0_sel:BYTE_1 src1_sel:DWORD
	s_andn2_b32 vcc_lo, exec_lo, s63
	s_mov_b32 s16, -1
                                        ; implicit-def: $vgpr1
	s_cbranch_vccnz .LBB6_1558
; %bb.1545:                             ;   in Loop: Header=BB6_356 Depth=4
	s_mov_b32 s16, 0
	s_and_saveexec_b32 s73, s72
	s_xor_b32 s72, exec_lo, s73
	s_cbranch_execz .LBB6_2922
; %bb.1546:                             ;   in Loop: Header=BB6_356 Depth=4
	v_cmp_eq_u16_sdwa s74, v20, v62 src0_sel:BYTE_1 src1_sel:DWORD
	s_mov_b32 s16, -1
	s_and_saveexec_b32 s73, s74
; %bb.1547:                             ;   in Loop: Header=BB6_356 Depth=4
	s_xor_b32 s16, exec_lo, -1
; %bb.1548:                             ;   in Loop: Header=BB6_356 Depth=4
	s_or_b32 exec_lo, exec_lo, s73
	s_and_b32 s16, s16, exec_lo
	s_or_saveexec_b32 s72, s72
	v_mov_b32_e32 v1, 0x7f800001
	s_xor_b32 exec_lo, exec_lo, s72
	s_cbranch_execnz .LBB6_2923
.LBB6_1549:                             ;   in Loop: Header=BB6_356 Depth=4
	s_or_b32 exec_lo, exec_lo, s72
	s_and_saveexec_b32 s72, s16
	s_cbranch_execz .LBB6_1551
.LBB6_1550:                             ;   in Loop: Header=BB6_356 Depth=4
	v_and_b32_sdwa v1, v63, v20 dst_sel:DWORD dst_unused:UNUSED_PAD src0_sel:DWORD src1_sel:BYTE_1
	v_and_b32_e32 v31, 7, v1
	v_bfe_u32 v83, v1, 3, 4
	v_ffbh_u32_e32 v35, v31
	v_cmp_eq_u32_e32 vcc_lo, 0, v83
	v_min_u32_e32 v35, 32, v35
	v_subrev_nc_u32_e32 v82, 28, v35
	v_sub_nc_u32_e32 v35, 29, v35
	v_lshlrev_b32_e32 v1, v82, v1
	v_lshlrev_b32_e32 v82, 16, v20
	v_cndmask_b32_e32 v35, v83, v35, vcc_lo
	v_and_b32_e32 v1, 7, v1
	v_lshl_add_u32 v35, v35, 23, 0x3b800000
	v_cndmask_b32_e32 v1, v31, v1, vcc_lo
	v_and_b32_e32 v31, 0x80000000, v82
	v_lshlrev_b32_e32 v1, 20, v1
	v_or3_b32 v1, v31, v35, v1
.LBB6_1551:                             ;   in Loop: Header=BB6_356 Depth=4
	s_or_b32 exec_lo, exec_lo, s72
	s_waitcnt vmcnt(1)
	v_cmp_gt_i16_sdwa s72, v16, v61 src0_sel:BYTE_1 src1_sel:DWORD
	s_mov_b32 s16, 0
	s_and_saveexec_b32 s73, s72
	s_xor_b32 s72, exec_lo, s73
	s_cbranch_execz .LBB6_2924
; %bb.1552:                             ;   in Loop: Header=BB6_356 Depth=4
	v_cmp_eq_u16_sdwa s74, v16, v62 src0_sel:BYTE_1 src1_sel:DWORD
	s_mov_b32 s16, -1
	s_and_saveexec_b32 s73, s74
; %bb.1553:                             ;   in Loop: Header=BB6_356 Depth=4
	s_xor_b32 s16, exec_lo, -1
; %bb.1554:                             ;   in Loop: Header=BB6_356 Depth=4
	s_or_b32 exec_lo, exec_lo, s73
	s_and_b32 s16, s16, exec_lo
	s_or_saveexec_b32 s72, s72
	v_mov_b32_e32 v31, 0x7f800001
	s_xor_b32 exec_lo, exec_lo, s72
	s_cbranch_execnz .LBB6_2925
.LBB6_1555:                             ;   in Loop: Header=BB6_356 Depth=4
	s_or_b32 exec_lo, exec_lo, s72
	s_and_saveexec_b32 s72, s16
	s_cbranch_execz .LBB6_1557
.LBB6_1556:                             ;   in Loop: Header=BB6_356 Depth=4
	v_and_b32_sdwa v31, v63, v16 dst_sel:DWORD dst_unused:UNUSED_PAD src0_sel:DWORD src1_sel:BYTE_1
	v_and_b32_e32 v35, 7, v31
	v_bfe_u32 v86, v31, 3, 4
	v_ffbh_u32_e32 v82, v35
	v_cmp_eq_u32_e32 vcc_lo, 0, v86
	v_min_u32_e32 v82, 32, v82
	v_subrev_nc_u32_e32 v83, 28, v82
	v_sub_nc_u32_e32 v82, 29, v82
	v_lshlrev_b32_e32 v31, v83, v31
	v_lshlrev_b32_e32 v83, 16, v16
	v_cndmask_b32_e32 v82, v86, v82, vcc_lo
	v_and_b32_e32 v31, 7, v31
	v_lshl_add_u32 v82, v82, 23, 0x3b800000
	v_cndmask_b32_e32 v31, v35, v31, vcc_lo
	v_and_b32_e32 v35, 0x80000000, v83
	v_lshlrev_b32_e32 v31, 20, v31
	v_or3_b32 v31, v35, v82, v31
.LBB6_1557:                             ;   in Loop: Header=BB6_356 Depth=4
	s_or_b32 exec_lo, exec_lo, s72
	v_max_f32_e32 v31, v31, v31
	v_max_f32_e32 v1, v1, v1
	s_mov_b32 s16, 0
	v_max_f32_e32 v1, v1, v31
.LBB6_1558:                             ;   in Loop: Header=BB6_356 Depth=4
	s_and_b32 vcc_lo, exec_lo, s16
	s_cbranch_vccz .LBB6_1572
; %bb.1559:                             ;   in Loop: Header=BB6_356 Depth=4
	v_cmp_gt_i16_sdwa s72, v20, v61 src0_sel:BYTE_1 src1_sel:DWORD
	s_mov_b32 s16, 0
	s_and_saveexec_b32 s73, s72
	s_xor_b32 s72, exec_lo, s73
	s_cbranch_execz .LBB6_2926
; %bb.1560:                             ;   in Loop: Header=BB6_356 Depth=4
	v_cmp_eq_u16_sdwa s74, v20, v62 src0_sel:BYTE_1 src1_sel:DWORD
	s_mov_b32 s16, -1
	s_and_saveexec_b32 s73, s74
; %bb.1561:                             ;   in Loop: Header=BB6_356 Depth=4
	s_xor_b32 s16, exec_lo, -1
; %bb.1562:                             ;   in Loop: Header=BB6_356 Depth=4
	s_or_b32 exec_lo, exec_lo, s73
	s_and_b32 s16, s16, exec_lo
	s_or_saveexec_b32 s72, s72
	v_mov_b32_e32 v1, 0x7f800001
	s_xor_b32 exec_lo, exec_lo, s72
	s_cbranch_execnz .LBB6_2927
.LBB6_1563:                             ;   in Loop: Header=BB6_356 Depth=4
	s_or_b32 exec_lo, exec_lo, s72
	s_and_saveexec_b32 s72, s16
	s_cbranch_execz .LBB6_1565
.LBB6_1564:                             ;   in Loop: Header=BB6_356 Depth=4
	v_and_b32_sdwa v1, v63, v20 dst_sel:DWORD dst_unused:UNUSED_PAD src0_sel:DWORD src1_sel:BYTE_1
	v_and_b32_e32 v31, 7, v1
	v_bfe_u32 v83, v1, 3, 4
	v_ffbh_u32_e32 v35, v31
	v_cmp_eq_u32_e32 vcc_lo, 0, v83
	v_min_u32_e32 v35, 32, v35
	v_subrev_nc_u32_e32 v82, 28, v35
	v_sub_nc_u32_e32 v35, 29, v35
	v_lshlrev_b32_e32 v1, v82, v1
	v_lshlrev_b32_e32 v82, 16, v20
	v_cndmask_b32_e32 v35, v83, v35, vcc_lo
	v_and_b32_e32 v1, 7, v1
	v_lshl_add_u32 v35, v35, 23, 0x3b800000
	v_cndmask_b32_e32 v1, v31, v1, vcc_lo
	v_and_b32_e32 v31, 0x80000000, v82
	v_lshlrev_b32_e32 v1, 20, v1
	v_or3_b32 v1, v31, v35, v1
.LBB6_1565:                             ;   in Loop: Header=BB6_356 Depth=4
	s_or_b32 exec_lo, exec_lo, s72
	s_waitcnt vmcnt(1)
	v_cmp_gt_i16_sdwa s72, v16, v61 src0_sel:BYTE_1 src1_sel:DWORD
	s_mov_b32 s16, 0
	s_and_saveexec_b32 s73, s72
	s_xor_b32 s72, exec_lo, s73
	s_cbranch_execz .LBB6_2928
; %bb.1566:                             ;   in Loop: Header=BB6_356 Depth=4
	v_cmp_eq_u16_sdwa s74, v16, v62 src0_sel:BYTE_1 src1_sel:DWORD
	s_mov_b32 s16, -1
	s_and_saveexec_b32 s73, s74
; %bb.1567:                             ;   in Loop: Header=BB6_356 Depth=4
	s_xor_b32 s16, exec_lo, -1
; %bb.1568:                             ;   in Loop: Header=BB6_356 Depth=4
	s_or_b32 exec_lo, exec_lo, s73
	s_and_b32 s16, s16, exec_lo
	s_or_saveexec_b32 s72, s72
	v_mov_b32_e32 v31, 0x7f800001
	s_xor_b32 exec_lo, exec_lo, s72
	s_cbranch_execnz .LBB6_2929
.LBB6_1569:                             ;   in Loop: Header=BB6_356 Depth=4
	s_or_b32 exec_lo, exec_lo, s72
	s_and_saveexec_b32 s72, s16
	s_cbranch_execz .LBB6_1571
.LBB6_1570:                             ;   in Loop: Header=BB6_356 Depth=4
	v_and_b32_sdwa v31, v63, v16 dst_sel:DWORD dst_unused:UNUSED_PAD src0_sel:DWORD src1_sel:BYTE_1
	v_and_b32_e32 v35, 7, v31
	v_bfe_u32 v86, v31, 3, 4
	v_ffbh_u32_e32 v82, v35
	v_cmp_eq_u32_e32 vcc_lo, 0, v86
	v_min_u32_e32 v82, 32, v82
	v_subrev_nc_u32_e32 v83, 28, v82
	v_sub_nc_u32_e32 v82, 29, v82
	v_lshlrev_b32_e32 v31, v83, v31
	v_lshlrev_b32_e32 v83, 16, v16
	v_cndmask_b32_e32 v82, v86, v82, vcc_lo
	v_and_b32_e32 v31, 7, v31
	v_lshl_add_u32 v82, v82, 23, 0x3b800000
	v_cndmask_b32_e32 v31, v35, v31, vcc_lo
	v_and_b32_e32 v35, 0x80000000, v83
	v_lshlrev_b32_e32 v31, 20, v31
	v_or3_b32 v31, v35, v82, v31
.LBB6_1571:                             ;   in Loop: Header=BB6_356 Depth=4
	s_or_b32 exec_lo, exec_lo, s72
	v_max_f32_e32 v31, v31, v31
	v_max_f32_e32 v1, v1, v1
	v_min_f32_e32 v1, v1, v31
.LBB6_1572:                             ;   in Loop: Header=BB6_356 Depth=4
	v_and_b32_e32 v31, 0x7f800000, v1
	v_mov_b32_e32 v35, 0x8000
	s_mov_b32 s72, exec_lo
	v_cmpx_ne_u32_e32 0x7f800000, v31
	s_cbranch_execz .LBB6_1580
; %bb.1573:                             ;   in Loop: Header=BB6_356 Depth=4
	v_mov_b32_e32 v35, 0
	s_mov_b32 s73, exec_lo
	v_cmpx_ne_u32_e32 0, v1
	s_cbranch_execz .LBB6_1579
; %bb.1574:                             ;   in Loop: Header=BB6_356 Depth=4
	v_bfe_u32 v35, v1, 23, 8
	v_and_b32_e32 v31, 0x7fffff, v1
	v_cmp_gt_u32_e64 s16, 0x79, v35
	v_sub_nc_u32_e32 v82, 0x78, v35
	v_cmp_eq_u32_e32 vcc_lo, 0, v35
	v_or_b32_e32 v83, 0x800000, v31
	v_cndmask_b32_e64 v82, 0, v82, s16
	v_cndmask_b32_e32 v31, v83, v31, vcc_lo
	v_cndmask_b32_e64 v82, v82, 0x77, vcc_lo
	v_lshl_add_u32 v83, 0x100000, v82, -1
	v_lshlrev_b32_e64 v86, v82, 0x80000
	v_and_b32_e32 v83, v83, v31
	v_cmp_eq_u32_e64 s16, v83, v86
	v_lshrrev_b32_e32 v83, v82, v31
	v_add_nc_u32_e32 v31, 0xffffff89, v35
	v_lshrrev_b32_e32 v35, 23, v83
	v_cndmask_b32_e64 v31, v31, 0xffffff8a, vcc_lo
	v_xor_b32_e32 v35, 1, v35
	v_add_nc_u32_e32 v31, v82, v31
	v_bfe_u32 v82, v83, 20, 1
	v_add_nc_u32_e32 v82, -1, v82
	v_cndmask_b32_e64 v82, 0, v82, s16
	s_mov_b32 s16, exec_lo
	v_add_nc_u32_e32 v82, v82, v83
	v_and_b32_e32 v82, 0xfffff, v82
	v_add_nc_u32_e32 v82, v82, v83
                                        ; implicit-def: $vgpr83
	v_cmpx_ne_u32_e64 v31, v35
	s_xor_b32 s16, exec_lo, s16
; %bb.1575:                             ;   in Loop: Header=BB6_356 Depth=4
	v_cmp_lt_u32_e32 vcc_lo, 0xffffff, v82
	v_sub_nc_u32_e32 v31, v31, v35
	v_cndmask_b32_e64 v35, 0, 1, vcc_lo
	v_add_co_ci_u32_e64 v83, null, 0, v31, vcc_lo
	v_lshrrev_b32_e32 v82, v35, v82
; %bb.1576:                             ;   in Loop: Header=BB6_356 Depth=4
	s_andn2_saveexec_b32 s16, s16
; %bb.1577:                             ;   in Loop: Header=BB6_356 Depth=4
	v_bfe_u32 v83, v82, 23, 1
; %bb.1578:                             ;   in Loop: Header=BB6_356 Depth=4
	s_or_b32 exec_lo, exec_lo, s16
	v_lshrrev_b32_e32 v31, 20, v82
	v_min_i32_e32 v35, 15, v83
	v_cmp_gt_i32_e32 vcc_lo, 16, v83
	v_and_b32_sdwa v1, v1, v62 dst_sel:DWORD dst_unused:UNUSED_PAD src0_sel:BYTE_3 src1_sel:DWORD
	v_lshlrev_b32_e32 v35, 3, v35
	v_cndmask_b32_e32 v31, 7, v31, vcc_lo
	v_and_b32_e32 v35, 0xf8, v35
	v_or_b32_e32 v82, v83, v31
	v_and_b32_e32 v31, 7, v31
	v_cmp_ne_u32_e32 vcc_lo, 0, v82
	v_or3_b32 v1, v1, v35, v31
	v_lshlrev_b32_e32 v1, 8, v1
	v_cndmask_b32_e32 v35, 0, v1, vcc_lo
.LBB6_1579:                             ;   in Loop: Header=BB6_356 Depth=4
	s_or_b32 exec_lo, exec_lo, s73
.LBB6_1580:                             ;   in Loop: Header=BB6_356 Depth=4
	s_or_b32 exec_lo, exec_lo, s72
	v_and_b32_sdwa v1, v20, v72 dst_sel:DWORD dst_unused:UNUSED_PAD src0_sel:WORD_1 src1_sel:DWORD
	s_andn2_b32 vcc_lo, exec_lo, s63
	s_mov_b32 s72, -1
                                        ; implicit-def: $vgpr31
	v_cmp_lt_i16_e64 s16, 0x7f, v1
	s_cbranch_vccnz .LBB6_1594
; %bb.1581:                             ;   in Loop: Header=BB6_356 Depth=4
	s_mov_b32 s72, 0
	s_and_saveexec_b32 s73, s16
	s_xor_b32 s16, exec_lo, s73
	s_cbranch_execz .LBB6_2930
; %bb.1582:                             ;   in Loop: Header=BB6_356 Depth=4
	s_mov_b32 s72, -1
	s_mov_b32 s73, exec_lo
	v_cmpx_eq_u16_e32 0x80, v1
; %bb.1583:                             ;   in Loop: Header=BB6_356 Depth=4
	s_xor_b32 s72, exec_lo, -1
; %bb.1584:                             ;   in Loop: Header=BB6_356 Depth=4
	s_or_b32 exec_lo, exec_lo, s73
	s_and_b32 s72, s72, exec_lo
	s_or_saveexec_b32 s16, s16
	v_mov_b32_e32 v31, 0x7f800001
	s_xor_b32 exec_lo, exec_lo, s16
	s_cbranch_execnz .LBB6_2931
.LBB6_1585:                             ;   in Loop: Header=BB6_356 Depth=4
	s_or_b32 exec_lo, exec_lo, s16
	s_and_saveexec_b32 s16, s72
	s_cbranch_execz .LBB6_1587
.LBB6_1586:                             ;   in Loop: Header=BB6_356 Depth=4
	v_bfe_u32 v31, v20, 16, 3
	v_bfe_u32 v82, v20, 19, 4
	v_ffbh_u32_e32 v83, v31
	v_cmp_eq_u32_e32 vcc_lo, 0, v82
	v_min_u32_e32 v83, 32, v83
	v_subrev_nc_u32_e32 v86, 28, v83
	v_sub_nc_u32_e32 v83, 29, v83
	v_lshlrev_b32_sdwa v86, v86, v20 dst_sel:DWORD dst_unused:UNUSED_PAD src0_sel:DWORD src1_sel:WORD_1
	v_cndmask_b32_e32 v82, v82, v83, vcc_lo
	v_lshlrev_b32_sdwa v83, v73, v20 dst_sel:DWORD dst_unused:UNUSED_PAD src0_sel:DWORD src1_sel:WORD_1
	v_and_b32_e32 v86, 7, v86
	v_lshl_add_u32 v82, v82, 23, 0x3b800000
	v_and_b32_e32 v83, 0x80000000, v83
	v_cndmask_b32_e32 v31, v31, v86, vcc_lo
	v_lshlrev_b32_e32 v31, 20, v31
	v_or3_b32 v31, v83, v82, v31
.LBB6_1587:                             ;   in Loop: Header=BB6_356 Depth=4
	s_or_b32 exec_lo, exec_lo, s16
	s_waitcnt vmcnt(1)
	v_and_b32_sdwa v83, v16, v72 dst_sel:DWORD dst_unused:UNUSED_PAD src0_sel:WORD_1 src1_sel:DWORD
	s_mov_b32 s72, 0
	s_mov_b32 s16, exec_lo
	v_cmpx_lt_i16_e32 0x7f, v83
	s_xor_b32 s16, exec_lo, s16
	s_cbranch_execz .LBB6_2932
; %bb.1588:                             ;   in Loop: Header=BB6_356 Depth=4
	s_mov_b32 s72, -1
	s_mov_b32 s73, exec_lo
	v_cmpx_eq_u16_e32 0x80, v83
; %bb.1589:                             ;   in Loop: Header=BB6_356 Depth=4
	s_xor_b32 s72, exec_lo, -1
; %bb.1590:                             ;   in Loop: Header=BB6_356 Depth=4
	s_or_b32 exec_lo, exec_lo, s73
	s_and_b32 s72, s72, exec_lo
                                        ; implicit-def: $vgpr83
	s_or_saveexec_b32 s16, s16
	v_mov_b32_e32 v82, 0x7f800001
	s_xor_b32 exec_lo, exec_lo, s16
	s_cbranch_execnz .LBB6_2933
.LBB6_1591:                             ;   in Loop: Header=BB6_356 Depth=4
	s_or_b32 exec_lo, exec_lo, s16
	s_and_saveexec_b32 s16, s72
	s_cbranch_execz .LBB6_1593
.LBB6_1592:                             ;   in Loop: Header=BB6_356 Depth=4
	v_bfe_u32 v82, v16, 16, 3
	v_bfe_u32 v83, v16, 19, 4
	v_ffbh_u32_e32 v86, v82
	v_cmp_eq_u32_e32 vcc_lo, 0, v83
	v_min_u32_e32 v86, 32, v86
	v_subrev_nc_u32_e32 v87, 28, v86
	v_sub_nc_u32_e32 v86, 29, v86
	v_lshlrev_b32_sdwa v87, v87, v16 dst_sel:DWORD dst_unused:UNUSED_PAD src0_sel:DWORD src1_sel:WORD_1
	v_cndmask_b32_e32 v83, v83, v86, vcc_lo
	v_lshlrev_b32_sdwa v86, v73, v16 dst_sel:DWORD dst_unused:UNUSED_PAD src0_sel:DWORD src1_sel:WORD_1
	v_and_b32_e32 v87, 7, v87
	v_lshl_add_u32 v83, v83, 23, 0x3b800000
	v_and_b32_e32 v86, 0x80000000, v86
	v_cndmask_b32_e32 v82, v82, v87, vcc_lo
	v_lshlrev_b32_e32 v82, 20, v82
	v_or3_b32 v82, v86, v83, v82
.LBB6_1593:                             ;   in Loop: Header=BB6_356 Depth=4
	s_or_b32 exec_lo, exec_lo, s16
	v_max_f32_e32 v82, v82, v82
	v_max_f32_e32 v31, v31, v31
	s_mov_b32 s72, 0
	v_max_f32_e32 v31, v31, v82
.LBB6_1594:                             ;   in Loop: Header=BB6_356 Depth=4
	s_and_b32 vcc_lo, exec_lo, s72
	s_cbranch_vccz .LBB6_1608
; %bb.1595:                             ;   in Loop: Header=BB6_356 Depth=4
	s_mov_b32 s72, 0
	s_mov_b32 s16, exec_lo
	v_cmpx_lt_i16_e32 0x7f, v1
	s_xor_b32 s16, exec_lo, s16
	s_cbranch_execz .LBB6_2934
; %bb.1596:                             ;   in Loop: Header=BB6_356 Depth=4
	s_mov_b32 s72, -1
	s_mov_b32 s73, exec_lo
	v_cmpx_eq_u16_e32 0x80, v1
; %bb.1597:                             ;   in Loop: Header=BB6_356 Depth=4
	s_xor_b32 s72, exec_lo, -1
; %bb.1598:                             ;   in Loop: Header=BB6_356 Depth=4
	s_or_b32 exec_lo, exec_lo, s73
	s_and_b32 s72, s72, exec_lo
                                        ; implicit-def: $vgpr1
	s_or_saveexec_b32 s16, s16
	v_mov_b32_e32 v31, 0x7f800001
	s_xor_b32 exec_lo, exec_lo, s16
	s_cbranch_execnz .LBB6_2935
.LBB6_1599:                             ;   in Loop: Header=BB6_356 Depth=4
	s_or_b32 exec_lo, exec_lo, s16
	s_and_saveexec_b32 s16, s72
	s_cbranch_execz .LBB6_1601
.LBB6_1600:                             ;   in Loop: Header=BB6_356 Depth=4
	v_bfe_u32 v1, v20, 16, 3
	v_bfe_u32 v31, v20, 19, 4
	v_ffbh_u32_e32 v82, v1
	v_cmp_eq_u32_e32 vcc_lo, 0, v31
	v_min_u32_e32 v82, 32, v82
	v_subrev_nc_u32_e32 v83, 28, v82
	v_sub_nc_u32_e32 v82, 29, v82
	v_lshlrev_b32_sdwa v83, v83, v20 dst_sel:DWORD dst_unused:UNUSED_PAD src0_sel:DWORD src1_sel:WORD_1
	v_cndmask_b32_e32 v31, v31, v82, vcc_lo
	v_lshlrev_b32_sdwa v82, v73, v20 dst_sel:DWORD dst_unused:UNUSED_PAD src0_sel:DWORD src1_sel:WORD_1
	v_and_b32_e32 v83, 7, v83
	v_lshl_add_u32 v31, v31, 23, 0x3b800000
	v_and_b32_e32 v82, 0x80000000, v82
	v_cndmask_b32_e32 v1, v1, v83, vcc_lo
	v_lshlrev_b32_e32 v1, 20, v1
	v_or3_b32 v31, v82, v31, v1
.LBB6_1601:                             ;   in Loop: Header=BB6_356 Depth=4
	s_or_b32 exec_lo, exec_lo, s16
	s_waitcnt vmcnt(1)
	v_and_b32_sdwa v82, v16, v72 dst_sel:DWORD dst_unused:UNUSED_PAD src0_sel:WORD_1 src1_sel:DWORD
	s_mov_b32 s72, 0
	s_mov_b32 s16, exec_lo
	v_cmpx_lt_i16_e32 0x7f, v82
	s_xor_b32 s16, exec_lo, s16
	s_cbranch_execz .LBB6_2936
; %bb.1602:                             ;   in Loop: Header=BB6_356 Depth=4
	s_mov_b32 s72, -1
	s_mov_b32 s73, exec_lo
	v_cmpx_eq_u16_e32 0x80, v82
; %bb.1603:                             ;   in Loop: Header=BB6_356 Depth=4
	s_xor_b32 s72, exec_lo, -1
; %bb.1604:                             ;   in Loop: Header=BB6_356 Depth=4
	s_or_b32 exec_lo, exec_lo, s73
	s_and_b32 s72, s72, exec_lo
                                        ; implicit-def: $vgpr82
	s_or_saveexec_b32 s16, s16
	v_mov_b32_e32 v1, 0x7f800001
	s_xor_b32 exec_lo, exec_lo, s16
	s_cbranch_execnz .LBB6_2937
.LBB6_1605:                             ;   in Loop: Header=BB6_356 Depth=4
	s_or_b32 exec_lo, exec_lo, s16
	s_and_saveexec_b32 s16, s72
	s_cbranch_execz .LBB6_1607
.LBB6_1606:                             ;   in Loop: Header=BB6_356 Depth=4
	v_bfe_u32 v1, v16, 16, 3
	v_bfe_u32 v82, v16, 19, 4
	v_ffbh_u32_e32 v83, v1
	v_cmp_eq_u32_e32 vcc_lo, 0, v82
	v_min_u32_e32 v83, 32, v83
	v_subrev_nc_u32_e32 v86, 28, v83
	v_sub_nc_u32_e32 v83, 29, v83
	v_lshlrev_b32_sdwa v86, v86, v16 dst_sel:DWORD dst_unused:UNUSED_PAD src0_sel:DWORD src1_sel:WORD_1
	v_cndmask_b32_e32 v82, v82, v83, vcc_lo
	v_lshlrev_b32_sdwa v83, v73, v16 dst_sel:DWORD dst_unused:UNUSED_PAD src0_sel:DWORD src1_sel:WORD_1
	v_and_b32_e32 v86, 7, v86
	v_lshl_add_u32 v82, v82, 23, 0x3b800000
	v_and_b32_e32 v83, 0x80000000, v83
	v_cndmask_b32_e32 v1, v1, v86, vcc_lo
	v_lshlrev_b32_e32 v1, 20, v1
	v_or3_b32 v1, v83, v82, v1
.LBB6_1607:                             ;   in Loop: Header=BB6_356 Depth=4
	s_or_b32 exec_lo, exec_lo, s16
	v_max_f32_e32 v1, v1, v1
	v_max_f32_e32 v31, v31, v31
	v_min_f32_e32 v31, v31, v1
.LBB6_1608:                             ;   in Loop: Header=BB6_356 Depth=4
	v_and_b32_e32 v1, 0x7f800000, v31
	v_mov_b32_e32 v82, 0x80
	s_mov_b32 s72, exec_lo
	v_cmpx_ne_u32_e32 0x7f800000, v1
	s_cbranch_execz .LBB6_1616
; %bb.1609:                             ;   in Loop: Header=BB6_356 Depth=4
	v_mov_b32_e32 v82, 0
	s_mov_b32 s73, exec_lo
	v_cmpx_ne_u32_e32 0, v31
	s_cbranch_execz .LBB6_1615
; %bb.1610:                             ;   in Loop: Header=BB6_356 Depth=4
	v_bfe_u32 v82, v31, 23, 8
	v_and_b32_e32 v1, 0x7fffff, v31
                                        ; implicit-def: $vgpr98
	v_cmp_gt_u32_e64 s16, 0x79, v82
	v_sub_nc_u32_e32 v83, 0x78, v82
	v_cmp_eq_u32_e32 vcc_lo, 0, v82
	v_or_b32_e32 v86, 0x800000, v1
	v_cndmask_b32_e64 v83, 0, v83, s16
	v_cndmask_b32_e32 v1, v86, v1, vcc_lo
	v_cndmask_b32_e64 v83, v83, 0x77, vcc_lo
	v_lshl_add_u32 v86, 0x100000, v83, -1
	v_lshlrev_b32_e64 v87, v83, 0x80000
	v_and_b32_e32 v86, v86, v1
	v_cmp_eq_u32_e64 s16, v86, v87
	v_lshrrev_b32_e32 v86, v83, v1
	v_add_nc_u32_e32 v1, 0xffffff89, v82
	v_lshrrev_b32_e32 v82, 23, v86
	v_cndmask_b32_e64 v1, v1, 0xffffff8a, vcc_lo
	v_xor_b32_e32 v82, 1, v82
	v_add_nc_u32_e32 v1, v83, v1
	v_bfe_u32 v83, v86, 20, 1
	v_add_nc_u32_e32 v83, -1, v83
	v_cndmask_b32_e64 v83, 0, v83, s16
	s_mov_b32 s16, exec_lo
	v_add_nc_u32_e32 v83, v83, v86
	v_and_b32_e32 v83, 0xfffff, v83
	v_add_nc_u32_e32 v83, v83, v86
	v_cmpx_ne_u32_e64 v1, v82
	s_xor_b32 s16, exec_lo, s16
; %bb.1611:                             ;   in Loop: Header=BB6_356 Depth=4
	v_cmp_lt_u32_e32 vcc_lo, 0xffffff, v83
	v_sub_nc_u32_e32 v1, v1, v82
	v_cndmask_b32_e64 v82, 0, 1, vcc_lo
	v_add_co_ci_u32_e64 v98, null, 0, v1, vcc_lo
	v_lshrrev_b32_e32 v83, v82, v83
; %bb.1612:                             ;   in Loop: Header=BB6_356 Depth=4
	s_andn2_saveexec_b32 s16, s16
; %bb.1613:                             ;   in Loop: Header=BB6_356 Depth=4
	v_bfe_u32 v98, v83, 23, 1
; %bb.1614:                             ;   in Loop: Header=BB6_356 Depth=4
	s_or_b32 exec_lo, exec_lo, s16
	v_and_b32_sdwa v1, v31, v62 dst_sel:DWORD dst_unused:UNUSED_PAD src0_sel:BYTE_3 src1_sel:DWORD
	v_lshrrev_b32_e32 v31, 20, v83
	v_min_i32_e32 v82, 15, v98
	v_cmp_gt_i32_e32 vcc_lo, 16, v98
	v_lshlrev_b32_e32 v82, 3, v82
	v_cndmask_b32_e32 v31, 7, v31, vcc_lo
	v_and_b32_e32 v82, 0xf8, v82
	v_or_b32_e32 v83, v98, v31
	v_and_b32_e32 v31, 7, v31
	v_cmp_ne_u32_e32 vcc_lo, 0, v83
	v_or3_b32 v1, v82, v1, v31
	v_cndmask_b32_e32 v82, 0, v1, vcc_lo
.LBB6_1615:                             ;   in Loop: Header=BB6_356 Depth=4
	s_or_b32 exec_lo, exec_lo, s73
.LBB6_1616:                             ;   in Loop: Header=BB6_356 Depth=4
	s_or_b32 exec_lo, exec_lo, s72
	v_cmp_gt_i16_sdwa s72, v20, v61 src0_sel:BYTE_3 src1_sel:DWORD
	s_andn2_b32 vcc_lo, exec_lo, s63
	s_mov_b32 s16, -1
                                        ; implicit-def: $vgpr1
	s_cbranch_vccnz .LBB6_1630
; %bb.1617:                             ;   in Loop: Header=BB6_356 Depth=4
	s_mov_b32 s16, 0
	s_and_saveexec_b32 s73, s72
	s_xor_b32 s72, exec_lo, s73
	s_cbranch_execz .LBB6_2938
; %bb.1618:                             ;   in Loop: Header=BB6_356 Depth=4
	v_cmp_eq_u16_sdwa s74, v20, v62 src0_sel:BYTE_3 src1_sel:DWORD
	s_mov_b32 s16, -1
	s_and_saveexec_b32 s73, s74
; %bb.1619:                             ;   in Loop: Header=BB6_356 Depth=4
	s_xor_b32 s16, exec_lo, -1
; %bb.1620:                             ;   in Loop: Header=BB6_356 Depth=4
	s_or_b32 exec_lo, exec_lo, s73
	s_and_b32 s16, s16, exec_lo
	s_or_saveexec_b32 s72, s72
	v_mov_b32_e32 v1, 0x7f800001
	s_xor_b32 exec_lo, exec_lo, s72
	s_cbranch_execnz .LBB6_2939
.LBB6_1621:                             ;   in Loop: Header=BB6_356 Depth=4
	s_or_b32 exec_lo, exec_lo, s72
	s_and_saveexec_b32 s72, s16
	s_cbranch_execz .LBB6_1623
.LBB6_1622:                             ;   in Loop: Header=BB6_356 Depth=4
	v_bfe_u32 v1, v20, 24, 3
	v_bfe_u32 v86, v20, 27, 4
	v_ffbh_u32_e32 v31, v1
	v_cmp_eq_u32_e32 vcc_lo, 0, v86
	v_min_u32_e32 v31, 32, v31
	v_subrev_nc_u32_e32 v83, 28, v31
	v_sub_nc_u32_e32 v31, 29, v31
	v_lshlrev_b32_sdwa v83, v83, v20 dst_sel:DWORD dst_unused:UNUSED_PAD src0_sel:DWORD src1_sel:BYTE_3
	v_cndmask_b32_e32 v31, v86, v31, vcc_lo
	v_and_b32_e32 v83, 7, v83
	v_lshl_add_u32 v31, v31, 23, 0x3b800000
	v_cndmask_b32_e32 v1, v1, v83, vcc_lo
	v_and_b32_e32 v83, 0x80000000, v20
	v_lshlrev_b32_e32 v1, 20, v1
	v_or3_b32 v1, v83, v31, v1
.LBB6_1623:                             ;   in Loop: Header=BB6_356 Depth=4
	s_or_b32 exec_lo, exec_lo, s72
	s_waitcnt vmcnt(1)
	v_cmp_gt_i16_sdwa s72, v16, v61 src0_sel:BYTE_3 src1_sel:DWORD
	s_mov_b32 s16, 0
	s_and_saveexec_b32 s73, s72
	s_xor_b32 s72, exec_lo, s73
	s_cbranch_execz .LBB6_2940
; %bb.1624:                             ;   in Loop: Header=BB6_356 Depth=4
	v_cmp_eq_u16_sdwa s74, v16, v62 src0_sel:BYTE_3 src1_sel:DWORD
	s_mov_b32 s16, -1
	s_and_saveexec_b32 s73, s74
; %bb.1625:                             ;   in Loop: Header=BB6_356 Depth=4
	s_xor_b32 s16, exec_lo, -1
; %bb.1626:                             ;   in Loop: Header=BB6_356 Depth=4
	s_or_b32 exec_lo, exec_lo, s73
	s_and_b32 s16, s16, exec_lo
	s_or_saveexec_b32 s72, s72
	v_mov_b32_e32 v31, 0x7f800001
	s_xor_b32 exec_lo, exec_lo, s72
	s_cbranch_execnz .LBB6_2941
.LBB6_1627:                             ;   in Loop: Header=BB6_356 Depth=4
	s_or_b32 exec_lo, exec_lo, s72
	s_and_saveexec_b32 s72, s16
	s_cbranch_execz .LBB6_1629
.LBB6_1628:                             ;   in Loop: Header=BB6_356 Depth=4
	v_bfe_u32 v31, v16, 24, 3
	v_bfe_u32 v87, v16, 27, 4
	v_ffbh_u32_e32 v83, v31
	v_cmp_eq_u32_e32 vcc_lo, 0, v87
	v_min_u32_e32 v83, 32, v83
	v_subrev_nc_u32_e32 v86, 28, v83
	v_sub_nc_u32_e32 v83, 29, v83
	v_lshlrev_b32_sdwa v86, v86, v16 dst_sel:DWORD dst_unused:UNUSED_PAD src0_sel:DWORD src1_sel:BYTE_3
	v_cndmask_b32_e32 v83, v87, v83, vcc_lo
	v_and_b32_e32 v86, 7, v86
	v_lshl_add_u32 v83, v83, 23, 0x3b800000
	v_cndmask_b32_e32 v31, v31, v86, vcc_lo
	v_and_b32_e32 v86, 0x80000000, v16
	v_lshlrev_b32_e32 v31, 20, v31
	v_or3_b32 v31, v86, v83, v31
.LBB6_1629:                             ;   in Loop: Header=BB6_356 Depth=4
	s_or_b32 exec_lo, exec_lo, s72
	v_max_f32_e32 v31, v31, v31
	v_max_f32_e32 v1, v1, v1
	s_mov_b32 s16, 0
	v_max_f32_e32 v1, v1, v31
.LBB6_1630:                             ;   in Loop: Header=BB6_356 Depth=4
	s_and_b32 vcc_lo, exec_lo, s16
	s_cbranch_vccz .LBB6_1644
; %bb.1631:                             ;   in Loop: Header=BB6_356 Depth=4
	v_cmp_gt_i16_sdwa s72, v20, v61 src0_sel:BYTE_3 src1_sel:DWORD
	s_mov_b32 s16, 0
	s_and_saveexec_b32 s73, s72
	s_xor_b32 s72, exec_lo, s73
	s_cbranch_execz .LBB6_2942
; %bb.1632:                             ;   in Loop: Header=BB6_356 Depth=4
	v_cmp_eq_u16_sdwa s74, v20, v62 src0_sel:BYTE_3 src1_sel:DWORD
	s_mov_b32 s16, -1
	s_and_saveexec_b32 s73, s74
; %bb.1633:                             ;   in Loop: Header=BB6_356 Depth=4
	s_xor_b32 s16, exec_lo, -1
; %bb.1634:                             ;   in Loop: Header=BB6_356 Depth=4
	s_or_b32 exec_lo, exec_lo, s73
	s_and_b32 s16, s16, exec_lo
	s_or_saveexec_b32 s72, s72
	v_mov_b32_e32 v1, 0x7f800001
	s_xor_b32 exec_lo, exec_lo, s72
	s_cbranch_execnz .LBB6_2943
.LBB6_1635:                             ;   in Loop: Header=BB6_356 Depth=4
	s_or_b32 exec_lo, exec_lo, s72
	s_and_saveexec_b32 s72, s16
	s_cbranch_execz .LBB6_1637
.LBB6_1636:                             ;   in Loop: Header=BB6_356 Depth=4
	v_bfe_u32 v1, v20, 24, 3
	v_bfe_u32 v86, v20, 27, 4
	v_ffbh_u32_e32 v31, v1
	v_cmp_eq_u32_e32 vcc_lo, 0, v86
	v_min_u32_e32 v31, 32, v31
	v_subrev_nc_u32_e32 v83, 28, v31
	v_sub_nc_u32_e32 v31, 29, v31
	v_lshlrev_b32_sdwa v83, v83, v20 dst_sel:DWORD dst_unused:UNUSED_PAD src0_sel:DWORD src1_sel:BYTE_3
	v_cndmask_b32_e32 v31, v86, v31, vcc_lo
	v_and_b32_e32 v20, 0x80000000, v20
	v_and_b32_e32 v83, 7, v83
	v_lshl_add_u32 v31, v31, 23, 0x3b800000
	v_cndmask_b32_e32 v1, v1, v83, vcc_lo
	v_lshlrev_b32_e32 v1, 20, v1
	v_or3_b32 v1, v20, v31, v1
.LBB6_1637:                             ;   in Loop: Header=BB6_356 Depth=4
	s_or_b32 exec_lo, exec_lo, s72
	s_waitcnt vmcnt(1)
	v_cmp_gt_i16_sdwa s72, v16, v61 src0_sel:BYTE_3 src1_sel:DWORD
	s_mov_b32 s16, 0
	s_and_saveexec_b32 s73, s72
	s_xor_b32 s72, exec_lo, s73
	s_cbranch_execz .LBB6_2944
; %bb.1638:                             ;   in Loop: Header=BB6_356 Depth=4
	v_cmp_eq_u16_sdwa s74, v16, v62 src0_sel:BYTE_3 src1_sel:DWORD
	s_mov_b32 s16, -1
	s_and_saveexec_b32 s73, s74
; %bb.1639:                             ;   in Loop: Header=BB6_356 Depth=4
	s_xor_b32 s16, exec_lo, -1
; %bb.1640:                             ;   in Loop: Header=BB6_356 Depth=4
	s_or_b32 exec_lo, exec_lo, s73
	s_and_b32 s16, s16, exec_lo
	s_or_saveexec_b32 s72, s72
	v_mov_b32_e32 v20, 0x7f800001
	s_xor_b32 exec_lo, exec_lo, s72
	s_cbranch_execnz .LBB6_2945
.LBB6_1641:                             ;   in Loop: Header=BB6_356 Depth=4
	s_or_b32 exec_lo, exec_lo, s72
	s_and_saveexec_b32 s72, s16
	s_cbranch_execz .LBB6_1643
.LBB6_1642:                             ;   in Loop: Header=BB6_356 Depth=4
	v_bfe_u32 v20, v16, 24, 3
	v_bfe_u32 v86, v16, 27, 4
	v_ffbh_u32_e32 v31, v20
	v_cmp_eq_u32_e32 vcc_lo, 0, v86
	v_min_u32_e32 v31, 32, v31
	v_subrev_nc_u32_e32 v83, 28, v31
	v_sub_nc_u32_e32 v31, 29, v31
	v_lshlrev_b32_sdwa v83, v83, v16 dst_sel:DWORD dst_unused:UNUSED_PAD src0_sel:DWORD src1_sel:BYTE_3
	v_cndmask_b32_e32 v31, v86, v31, vcc_lo
	v_and_b32_e32 v16, 0x80000000, v16
	v_and_b32_e32 v83, 7, v83
	v_lshl_add_u32 v31, v31, 23, 0x3b800000
	v_cndmask_b32_e32 v20, v20, v83, vcc_lo
	v_lshlrev_b32_e32 v20, 20, v20
	v_or3_b32 v20, v16, v31, v20
.LBB6_1643:                             ;   in Loop: Header=BB6_356 Depth=4
	s_or_b32 exec_lo, exec_lo, s72
	v_max_f32_e32 v16, v20, v20
	v_max_f32_e32 v1, v1, v1
	v_min_f32_e32 v1, v1, v16
.LBB6_1644:                             ;   in Loop: Header=BB6_356 Depth=4
	s_waitcnt vmcnt(1)
	v_and_b32_e32 v16, 0x7f800000, v1
	v_cmp_ne_u32_e32 vcc_lo, 0x7f800000, v16
	v_mov_b32_e32 v16, 0x8000
	s_and_saveexec_b32 s72, vcc_lo
	s_cbranch_execz .LBB6_1652
; %bb.1645:                             ;   in Loop: Header=BB6_356 Depth=4
	v_mov_b32_e32 v16, 0
	s_mov_b32 s73, exec_lo
	v_cmpx_ne_u32_e32 0, v1
	s_cbranch_execz .LBB6_1651
; %bb.1646:                             ;   in Loop: Header=BB6_356 Depth=4
	v_bfe_u32 v20, v1, 23, 8
	v_and_b32_e32 v16, 0x7fffff, v1
	v_cmp_gt_u32_e64 s16, 0x79, v20
	v_sub_nc_u32_e32 v31, 0x78, v20
	v_cmp_eq_u32_e32 vcc_lo, 0, v20
	v_or_b32_e32 v83, 0x800000, v16
	v_cndmask_b32_e64 v31, 0, v31, s16
	v_cndmask_b32_e32 v16, v83, v16, vcc_lo
	v_cndmask_b32_e64 v31, v31, 0x77, vcc_lo
	v_lshl_add_u32 v83, 0x100000, v31, -1
	v_lshlrev_b32_e64 v86, v31, 0x80000
	v_and_b32_e32 v83, v83, v16
	v_cmp_eq_u32_e64 s16, v83, v86
	v_lshrrev_b32_e32 v83, v31, v16
	v_add_nc_u32_e32 v16, 0xffffff89, v20
	v_lshrrev_b32_e32 v20, 23, v83
	v_cndmask_b32_e64 v16, v16, 0xffffff8a, vcc_lo
	v_xor_b32_e32 v20, 1, v20
	v_add_nc_u32_e32 v16, v31, v16
	v_bfe_u32 v31, v83, 20, 1
	v_add_nc_u32_e32 v31, -1, v31
	v_cndmask_b32_e64 v31, 0, v31, s16
	s_mov_b32 s16, exec_lo
	v_add_nc_u32_e32 v31, v31, v83
	v_and_b32_e32 v31, 0xfffff, v31
	v_add_nc_u32_e32 v31, v31, v83
                                        ; implicit-def: $vgpr83
	v_cmpx_ne_u32_e64 v16, v20
	s_xor_b32 s16, exec_lo, s16
; %bb.1647:                             ;   in Loop: Header=BB6_356 Depth=4
	v_cmp_lt_u32_e32 vcc_lo, 0xffffff, v31
	v_sub_nc_u32_e32 v16, v16, v20
	v_cndmask_b32_e64 v20, 0, 1, vcc_lo
	v_add_co_ci_u32_e64 v83, null, 0, v16, vcc_lo
	v_lshrrev_b32_e32 v31, v20, v31
; %bb.1648:                             ;   in Loop: Header=BB6_356 Depth=4
	s_andn2_saveexec_b32 s16, s16
; %bb.1649:                             ;   in Loop: Header=BB6_356 Depth=4
	v_bfe_u32 v83, v31, 23, 1
; %bb.1650:                             ;   in Loop: Header=BB6_356 Depth=4
	s_or_b32 exec_lo, exec_lo, s16
	v_lshrrev_b32_e32 v16, 20, v31
	v_min_i32_e32 v20, 15, v83
	v_cmp_gt_i32_e32 vcc_lo, 16, v83
	v_and_b32_sdwa v1, v1, v62 dst_sel:DWORD dst_unused:UNUSED_PAD src0_sel:BYTE_3 src1_sel:DWORD
	v_lshlrev_b32_e32 v20, 3, v20
	v_cndmask_b32_e32 v16, 7, v16, vcc_lo
	v_and_b32_e32 v20, 0xf8, v20
	v_or_b32_e32 v31, v83, v16
	v_and_b32_e32 v16, 7, v16
	v_cmp_ne_u32_e32 vcc_lo, 0, v31
	v_or3_b32 v1, v1, v20, v16
	v_lshlrev_b32_e32 v1, 8, v1
	v_cndmask_b32_e32 v16, 0, v1, vcc_lo
.LBB6_1651:                             ;   in Loop: Header=BB6_356 Depth=4
	s_or_b32 exec_lo, exec_lo, s73
.LBB6_1652:                             ;   in Loop: Header=BB6_356 Depth=4
	s_or_b32 exec_lo, exec_lo, s72
	v_cmp_gt_i16_sdwa s73, v21, v61 src0_sel:BYTE_0 src1_sel:DWORD
	s_andn2_b32 vcc_lo, exec_lo, s63
	s_mov_b32 s16, -1
                                        ; implicit-def: $vgpr1
	s_cbranch_vccnz .LBB6_1666
; %bb.1653:                             ;   in Loop: Header=BB6_356 Depth=4
	s_mov_b32 s72, 0
	s_and_saveexec_b32 s16, s73
	s_xor_b32 s16, exec_lo, s16
	s_cbranch_execz .LBB6_2946
; %bb.1654:                             ;   in Loop: Header=BB6_356 Depth=4
	v_cmp_eq_u16_sdwa s74, v21, v62 src0_sel:BYTE_0 src1_sel:DWORD
	s_mov_b32 s72, -1
	s_and_saveexec_b32 s73, s74
; %bb.1655:                             ;   in Loop: Header=BB6_356 Depth=4
	s_xor_b32 s72, exec_lo, -1
; %bb.1656:                             ;   in Loop: Header=BB6_356 Depth=4
	s_or_b32 exec_lo, exec_lo, s73
	s_and_b32 s72, s72, exec_lo
	s_or_saveexec_b32 s16, s16
	v_mov_b32_e32 v1, 0x7f800001
	s_xor_b32 exec_lo, exec_lo, s16
	s_cbranch_execnz .LBB6_2947
.LBB6_1657:                             ;   in Loop: Header=BB6_356 Depth=4
	s_or_b32 exec_lo, exec_lo, s16
	s_and_saveexec_b32 s16, s72
	s_cbranch_execz .LBB6_1659
.LBB6_1658:                             ;   in Loop: Header=BB6_356 Depth=4
	v_and_b32_e32 v1, 7, v21
	v_bfe_u32 v20, v21, 3, 4
	v_ffbh_u32_e32 v31, v1
	v_cmp_eq_u32_e32 vcc_lo, 0, v20
	v_min_u32_e32 v31, 32, v31
	v_subrev_nc_u32_e32 v83, 28, v31
	v_sub_nc_u32_e32 v31, 29, v31
	v_lshlrev_b32_e32 v83, v83, v21
	v_cndmask_b32_e32 v20, v20, v31, vcc_lo
	v_lshlrev_b32_e32 v31, 24, v21
	v_and_b32_e32 v83, 7, v83
	v_lshl_add_u32 v20, v20, 23, 0x3b800000
	v_and_b32_e32 v31, 0x80000000, v31
	v_cndmask_b32_e32 v1, v1, v83, vcc_lo
	v_lshlrev_b32_e32 v1, 20, v1
	v_or3_b32 v1, v31, v20, v1
.LBB6_1659:                             ;   in Loop: Header=BB6_356 Depth=4
	s_or_b32 exec_lo, exec_lo, s16
	v_cmp_gt_i16_sdwa s16, v17, v61 src0_sel:BYTE_0 src1_sel:DWORD
	s_mov_b32 s72, 0
	s_and_saveexec_b32 s73, s16
	s_xor_b32 s16, exec_lo, s73
	s_cbranch_execz .LBB6_2948
; %bb.1660:                             ;   in Loop: Header=BB6_356 Depth=4
	v_cmp_eq_u16_sdwa s74, v17, v62 src0_sel:BYTE_0 src1_sel:DWORD
	s_mov_b32 s72, -1
	s_and_saveexec_b32 s73, s74
; %bb.1661:                             ;   in Loop: Header=BB6_356 Depth=4
	s_xor_b32 s72, exec_lo, -1
; %bb.1662:                             ;   in Loop: Header=BB6_356 Depth=4
	s_or_b32 exec_lo, exec_lo, s73
	s_and_b32 s72, s72, exec_lo
	s_or_saveexec_b32 s16, s16
	v_mov_b32_e32 v20, 0x7f800001
	s_xor_b32 exec_lo, exec_lo, s16
	s_cbranch_execnz .LBB6_2949
.LBB6_1663:                             ;   in Loop: Header=BB6_356 Depth=4
	s_or_b32 exec_lo, exec_lo, s16
	s_and_saveexec_b32 s16, s72
	s_cbranch_execz .LBB6_1665
.LBB6_1664:                             ;   in Loop: Header=BB6_356 Depth=4
	v_and_b32_e32 v20, 7, v17
	v_bfe_u32 v31, v17, 3, 4
	v_ffbh_u32_e32 v83, v20
	v_cmp_eq_u32_e32 vcc_lo, 0, v31
	v_min_u32_e32 v83, 32, v83
	v_subrev_nc_u32_e32 v86, 28, v83
	v_sub_nc_u32_e32 v83, 29, v83
	v_lshlrev_b32_e32 v86, v86, v17
	v_cndmask_b32_e32 v31, v31, v83, vcc_lo
	v_lshlrev_b32_e32 v83, 24, v17
	v_and_b32_e32 v86, 7, v86
	v_lshl_add_u32 v31, v31, 23, 0x3b800000
	v_and_b32_e32 v83, 0x80000000, v83
	v_cndmask_b32_e32 v20, v20, v86, vcc_lo
	v_lshlrev_b32_e32 v20, 20, v20
	v_or3_b32 v20, v83, v31, v20
.LBB6_1665:                             ;   in Loop: Header=BB6_356 Depth=4
	s_or_b32 exec_lo, exec_lo, s16
	v_max_f32_e32 v20, v20, v20
	v_max_f32_e32 v1, v1, v1
	s_mov_b32 s16, 0
	v_max_f32_e32 v1, v1, v20
.LBB6_1666:                             ;   in Loop: Header=BB6_356 Depth=4
	s_and_b32 vcc_lo, exec_lo, s16
	s_cbranch_vccz .LBB6_1680
; %bb.1667:                             ;   in Loop: Header=BB6_356 Depth=4
	v_cmp_gt_i16_sdwa s16, v21, v61 src0_sel:BYTE_0 src1_sel:DWORD
	s_mov_b32 s72, 0
	s_and_saveexec_b32 s73, s16
	s_xor_b32 s16, exec_lo, s73
	s_cbranch_execz .LBB6_2950
; %bb.1668:                             ;   in Loop: Header=BB6_356 Depth=4
	v_cmp_eq_u16_sdwa s74, v21, v62 src0_sel:BYTE_0 src1_sel:DWORD
	s_mov_b32 s72, -1
	s_and_saveexec_b32 s73, s74
; %bb.1669:                             ;   in Loop: Header=BB6_356 Depth=4
	s_xor_b32 s72, exec_lo, -1
; %bb.1670:                             ;   in Loop: Header=BB6_356 Depth=4
	s_or_b32 exec_lo, exec_lo, s73
	s_and_b32 s72, s72, exec_lo
	s_or_saveexec_b32 s16, s16
	v_mov_b32_e32 v1, 0x7f800001
	s_xor_b32 exec_lo, exec_lo, s16
	s_cbranch_execnz .LBB6_2951
.LBB6_1671:                             ;   in Loop: Header=BB6_356 Depth=4
	s_or_b32 exec_lo, exec_lo, s16
	s_and_saveexec_b32 s16, s72
	s_cbranch_execz .LBB6_1673
.LBB6_1672:                             ;   in Loop: Header=BB6_356 Depth=4
	v_and_b32_e32 v1, 7, v21
	v_bfe_u32 v20, v21, 3, 4
	v_ffbh_u32_e32 v31, v1
	v_cmp_eq_u32_e32 vcc_lo, 0, v20
	v_min_u32_e32 v31, 32, v31
	v_subrev_nc_u32_e32 v83, 28, v31
	v_sub_nc_u32_e32 v31, 29, v31
	v_lshlrev_b32_e32 v83, v83, v21
	v_cndmask_b32_e32 v20, v20, v31, vcc_lo
	v_lshlrev_b32_e32 v31, 24, v21
	v_and_b32_e32 v83, 7, v83
	v_lshl_add_u32 v20, v20, 23, 0x3b800000
	v_and_b32_e32 v31, 0x80000000, v31
	v_cndmask_b32_e32 v1, v1, v83, vcc_lo
	v_lshlrev_b32_e32 v1, 20, v1
	v_or3_b32 v1, v31, v20, v1
.LBB6_1673:                             ;   in Loop: Header=BB6_356 Depth=4
	s_or_b32 exec_lo, exec_lo, s16
	v_cmp_gt_i16_sdwa s16, v17, v61 src0_sel:BYTE_0 src1_sel:DWORD
	s_mov_b32 s72, 0
	s_and_saveexec_b32 s73, s16
	s_xor_b32 s16, exec_lo, s73
	s_cbranch_execz .LBB6_2952
; %bb.1674:                             ;   in Loop: Header=BB6_356 Depth=4
	v_cmp_eq_u16_sdwa s74, v17, v62 src0_sel:BYTE_0 src1_sel:DWORD
	s_mov_b32 s72, -1
	s_and_saveexec_b32 s73, s74
; %bb.1675:                             ;   in Loop: Header=BB6_356 Depth=4
	s_xor_b32 s72, exec_lo, -1
; %bb.1676:                             ;   in Loop: Header=BB6_356 Depth=4
	s_or_b32 exec_lo, exec_lo, s73
	s_and_b32 s72, s72, exec_lo
	s_or_saveexec_b32 s16, s16
	v_mov_b32_e32 v20, 0x7f800001
	s_xor_b32 exec_lo, exec_lo, s16
	s_cbranch_execnz .LBB6_2953
.LBB6_1677:                             ;   in Loop: Header=BB6_356 Depth=4
	s_or_b32 exec_lo, exec_lo, s16
	s_and_saveexec_b32 s16, s72
	s_cbranch_execz .LBB6_1679
.LBB6_1678:                             ;   in Loop: Header=BB6_356 Depth=4
	v_and_b32_e32 v20, 7, v17
	v_bfe_u32 v31, v17, 3, 4
	v_ffbh_u32_e32 v83, v20
	v_cmp_eq_u32_e32 vcc_lo, 0, v31
	v_min_u32_e32 v83, 32, v83
	v_subrev_nc_u32_e32 v86, 28, v83
	v_sub_nc_u32_e32 v83, 29, v83
	v_lshlrev_b32_e32 v86, v86, v17
	v_cndmask_b32_e32 v31, v31, v83, vcc_lo
	v_lshlrev_b32_e32 v83, 24, v17
	v_and_b32_e32 v86, 7, v86
	v_lshl_add_u32 v31, v31, 23, 0x3b800000
	v_and_b32_e32 v83, 0x80000000, v83
	v_cndmask_b32_e32 v20, v20, v86, vcc_lo
	v_lshlrev_b32_e32 v20, 20, v20
	v_or3_b32 v20, v83, v31, v20
.LBB6_1679:                             ;   in Loop: Header=BB6_356 Depth=4
	s_or_b32 exec_lo, exec_lo, s16
	v_max_f32_e32 v20, v20, v20
	v_max_f32_e32 v1, v1, v1
	v_min_f32_e32 v1, v1, v20
.LBB6_1680:                             ;   in Loop: Header=BB6_356 Depth=4
	v_and_b32_e32 v20, 0x7f800000, v1
	v_cmp_ne_u32_e32 vcc_lo, 0x7f800000, v20
	v_mov_b32_e32 v20, 0x80
	s_and_saveexec_b32 s72, vcc_lo
	s_cbranch_execz .LBB6_1688
; %bb.1681:                             ;   in Loop: Header=BB6_356 Depth=4
	v_mov_b32_e32 v20, 0
	s_mov_b32 s73, exec_lo
	v_cmpx_ne_u32_e32 0, v1
	s_cbranch_execz .LBB6_1687
; %bb.1682:                             ;   in Loop: Header=BB6_356 Depth=4
	v_bfe_u32 v31, v1, 23, 8
	v_and_b32_e32 v20, 0x7fffff, v1
                                        ; implicit-def: $vgpr98
	v_cmp_gt_u32_e64 s16, 0x79, v31
	v_sub_nc_u32_e32 v83, 0x78, v31
	v_cmp_eq_u32_e32 vcc_lo, 0, v31
	v_or_b32_e32 v86, 0x800000, v20
	v_cndmask_b32_e64 v83, 0, v83, s16
	v_cndmask_b32_e32 v20, v86, v20, vcc_lo
	v_cndmask_b32_e64 v83, v83, 0x77, vcc_lo
	v_lshl_add_u32 v86, 0x100000, v83, -1
	v_lshlrev_b32_e64 v87, v83, 0x80000
	v_and_b32_e32 v86, v86, v20
	v_cmp_eq_u32_e64 s16, v86, v87
	v_lshrrev_b32_e32 v86, v83, v20
	v_add_nc_u32_e32 v20, 0xffffff89, v31
	v_lshrrev_b32_e32 v31, 23, v86
	v_cndmask_b32_e64 v20, v20, 0xffffff8a, vcc_lo
	v_xor_b32_e32 v31, 1, v31
	v_add_nc_u32_e32 v20, v83, v20
	v_bfe_u32 v83, v86, 20, 1
	v_add_nc_u32_e32 v83, -1, v83
	v_cndmask_b32_e64 v83, 0, v83, s16
	s_mov_b32 s16, exec_lo
	v_add_nc_u32_e32 v83, v83, v86
	v_and_b32_e32 v83, 0xfffff, v83
	v_add_nc_u32_e32 v83, v83, v86
	v_cmpx_ne_u32_e64 v20, v31
	s_xor_b32 s16, exec_lo, s16
; %bb.1683:                             ;   in Loop: Header=BB6_356 Depth=4
	v_cmp_lt_u32_e32 vcc_lo, 0xffffff, v83
	v_sub_nc_u32_e32 v20, v20, v31
	v_cndmask_b32_e64 v31, 0, 1, vcc_lo
	v_add_co_ci_u32_e64 v98, null, 0, v20, vcc_lo
	v_lshrrev_b32_e32 v83, v31, v83
; %bb.1684:                             ;   in Loop: Header=BB6_356 Depth=4
	s_andn2_saveexec_b32 s16, s16
; %bb.1685:                             ;   in Loop: Header=BB6_356 Depth=4
	v_bfe_u32 v98, v83, 23, 1
; %bb.1686:                             ;   in Loop: Header=BB6_356 Depth=4
	s_or_b32 exec_lo, exec_lo, s16
	v_lshrrev_b32_e32 v20, 20, v83
	v_min_i32_e32 v31, 15, v98
	v_cmp_gt_i32_e32 vcc_lo, 16, v98
	v_and_b32_sdwa v1, v1, v62 dst_sel:DWORD dst_unused:UNUSED_PAD src0_sel:BYTE_3 src1_sel:DWORD
	v_lshlrev_b32_e32 v31, 3, v31
	v_cndmask_b32_e32 v20, 7, v20, vcc_lo
	v_and_b32_e32 v31, 0xf8, v31
	v_or_b32_e32 v83, v98, v20
	v_and_b32_e32 v20, 7, v20
	v_cmp_ne_u32_e32 vcc_lo, 0, v83
	v_or3_b32 v1, v31, v1, v20
	v_cndmask_b32_e32 v20, 0, v1, vcc_lo
.LBB6_1687:                             ;   in Loop: Header=BB6_356 Depth=4
	s_or_b32 exec_lo, exec_lo, s73
.LBB6_1688:                             ;   in Loop: Header=BB6_356 Depth=4
	s_or_b32 exec_lo, exec_lo, s72
	v_cmp_gt_i16_sdwa s72, v21, v61 src0_sel:BYTE_1 src1_sel:DWORD
	s_andn2_b32 vcc_lo, exec_lo, s63
	s_mov_b32 s16, -1
                                        ; implicit-def: $vgpr1
	s_cbranch_vccnz .LBB6_1702
; %bb.1689:                             ;   in Loop: Header=BB6_356 Depth=4
	s_mov_b32 s16, 0
	s_and_saveexec_b32 s73, s72
	s_xor_b32 s72, exec_lo, s73
	s_cbranch_execz .LBB6_2954
; %bb.1690:                             ;   in Loop: Header=BB6_356 Depth=4
	v_cmp_eq_u16_sdwa s74, v21, v62 src0_sel:BYTE_1 src1_sel:DWORD
	s_mov_b32 s16, -1
	s_and_saveexec_b32 s73, s74
; %bb.1691:                             ;   in Loop: Header=BB6_356 Depth=4
	s_xor_b32 s16, exec_lo, -1
; %bb.1692:                             ;   in Loop: Header=BB6_356 Depth=4
	s_or_b32 exec_lo, exec_lo, s73
	s_and_b32 s16, s16, exec_lo
	s_or_saveexec_b32 s72, s72
	v_mov_b32_e32 v1, 0x7f800001
	s_xor_b32 exec_lo, exec_lo, s72
	s_cbranch_execnz .LBB6_2955
.LBB6_1693:                             ;   in Loop: Header=BB6_356 Depth=4
	s_or_b32 exec_lo, exec_lo, s72
	s_and_saveexec_b32 s72, s16
	s_cbranch_execz .LBB6_1695
.LBB6_1694:                             ;   in Loop: Header=BB6_356 Depth=4
	v_and_b32_sdwa v1, v63, v21 dst_sel:DWORD dst_unused:UNUSED_PAD src0_sel:DWORD src1_sel:BYTE_1
	v_and_b32_e32 v31, 7, v1
	v_bfe_u32 v87, v1, 3, 4
	v_ffbh_u32_e32 v83, v31
	v_cmp_eq_u32_e32 vcc_lo, 0, v87
	v_min_u32_e32 v83, 32, v83
	v_subrev_nc_u32_e32 v86, 28, v83
	v_sub_nc_u32_e32 v83, 29, v83
	v_lshlrev_b32_e32 v1, v86, v1
	v_lshlrev_b32_e32 v86, 16, v21
	v_cndmask_b32_e32 v83, v87, v83, vcc_lo
	v_and_b32_e32 v1, 7, v1
	v_lshl_add_u32 v83, v83, 23, 0x3b800000
	v_cndmask_b32_e32 v1, v31, v1, vcc_lo
	v_and_b32_e32 v31, 0x80000000, v86
	v_lshlrev_b32_e32 v1, 20, v1
	v_or3_b32 v1, v31, v83, v1
.LBB6_1695:                             ;   in Loop: Header=BB6_356 Depth=4
	s_or_b32 exec_lo, exec_lo, s72
	v_cmp_gt_i16_sdwa s72, v17, v61 src0_sel:BYTE_1 src1_sel:DWORD
	s_mov_b32 s16, 0
	s_and_saveexec_b32 s73, s72
	s_xor_b32 s72, exec_lo, s73
	s_cbranch_execz .LBB6_2956
; %bb.1696:                             ;   in Loop: Header=BB6_356 Depth=4
	v_cmp_eq_u16_sdwa s74, v17, v62 src0_sel:BYTE_1 src1_sel:DWORD
	s_mov_b32 s16, -1
	s_and_saveexec_b32 s73, s74
; %bb.1697:                             ;   in Loop: Header=BB6_356 Depth=4
	s_xor_b32 s16, exec_lo, -1
; %bb.1698:                             ;   in Loop: Header=BB6_356 Depth=4
	s_or_b32 exec_lo, exec_lo, s73
	s_and_b32 s16, s16, exec_lo
	s_or_saveexec_b32 s72, s72
	v_mov_b32_e32 v31, 0x7f800001
	s_xor_b32 exec_lo, exec_lo, s72
	s_cbranch_execnz .LBB6_2957
.LBB6_1699:                             ;   in Loop: Header=BB6_356 Depth=4
	s_or_b32 exec_lo, exec_lo, s72
	s_and_saveexec_b32 s72, s16
	s_cbranch_execz .LBB6_1701
.LBB6_1700:                             ;   in Loop: Header=BB6_356 Depth=4
	v_and_b32_sdwa v31, v63, v17 dst_sel:DWORD dst_unused:UNUSED_PAD src0_sel:DWORD src1_sel:BYTE_1
	v_and_b32_e32 v83, 7, v31
	v_bfe_u32 v98, v31, 3, 4
	v_ffbh_u32_e32 v86, v83
	v_cmp_eq_u32_e32 vcc_lo, 0, v98
	v_min_u32_e32 v86, 32, v86
	v_subrev_nc_u32_e32 v87, 28, v86
	v_sub_nc_u32_e32 v86, 29, v86
	v_lshlrev_b32_e32 v31, v87, v31
	v_lshlrev_b32_e32 v87, 16, v17
	v_cndmask_b32_e32 v86, v98, v86, vcc_lo
	v_and_b32_e32 v31, 7, v31
	v_lshl_add_u32 v86, v86, 23, 0x3b800000
	v_cndmask_b32_e32 v31, v83, v31, vcc_lo
	v_and_b32_e32 v83, 0x80000000, v87
	v_lshlrev_b32_e32 v31, 20, v31
	v_or3_b32 v31, v83, v86, v31
.LBB6_1701:                             ;   in Loop: Header=BB6_356 Depth=4
	s_or_b32 exec_lo, exec_lo, s72
	v_max_f32_e32 v31, v31, v31
	v_max_f32_e32 v1, v1, v1
	s_mov_b32 s16, 0
	v_max_f32_e32 v1, v1, v31
.LBB6_1702:                             ;   in Loop: Header=BB6_356 Depth=4
	s_and_b32 vcc_lo, exec_lo, s16
	s_cbranch_vccz .LBB6_1716
; %bb.1703:                             ;   in Loop: Header=BB6_356 Depth=4
	v_cmp_gt_i16_sdwa s72, v21, v61 src0_sel:BYTE_1 src1_sel:DWORD
	s_mov_b32 s16, 0
	s_and_saveexec_b32 s73, s72
	s_xor_b32 s72, exec_lo, s73
	s_cbranch_execz .LBB6_2958
; %bb.1704:                             ;   in Loop: Header=BB6_356 Depth=4
	v_cmp_eq_u16_sdwa s74, v21, v62 src0_sel:BYTE_1 src1_sel:DWORD
	s_mov_b32 s16, -1
	s_and_saveexec_b32 s73, s74
; %bb.1705:                             ;   in Loop: Header=BB6_356 Depth=4
	s_xor_b32 s16, exec_lo, -1
; %bb.1706:                             ;   in Loop: Header=BB6_356 Depth=4
	s_or_b32 exec_lo, exec_lo, s73
	s_and_b32 s16, s16, exec_lo
	s_or_saveexec_b32 s72, s72
	v_mov_b32_e32 v1, 0x7f800001
	s_xor_b32 exec_lo, exec_lo, s72
	s_cbranch_execnz .LBB6_2959
.LBB6_1707:                             ;   in Loop: Header=BB6_356 Depth=4
	s_or_b32 exec_lo, exec_lo, s72
	s_and_saveexec_b32 s72, s16
	s_cbranch_execz .LBB6_1709
.LBB6_1708:                             ;   in Loop: Header=BB6_356 Depth=4
	v_and_b32_sdwa v1, v63, v21 dst_sel:DWORD dst_unused:UNUSED_PAD src0_sel:DWORD src1_sel:BYTE_1
	v_and_b32_e32 v31, 7, v1
	v_bfe_u32 v87, v1, 3, 4
	v_ffbh_u32_e32 v83, v31
	v_cmp_eq_u32_e32 vcc_lo, 0, v87
	v_min_u32_e32 v83, 32, v83
	v_subrev_nc_u32_e32 v86, 28, v83
	v_sub_nc_u32_e32 v83, 29, v83
	v_lshlrev_b32_e32 v1, v86, v1
	v_lshlrev_b32_e32 v86, 16, v21
	v_cndmask_b32_e32 v83, v87, v83, vcc_lo
	v_and_b32_e32 v1, 7, v1
	v_lshl_add_u32 v83, v83, 23, 0x3b800000
	v_cndmask_b32_e32 v1, v31, v1, vcc_lo
	v_and_b32_e32 v31, 0x80000000, v86
	v_lshlrev_b32_e32 v1, 20, v1
	v_or3_b32 v1, v31, v83, v1
.LBB6_1709:                             ;   in Loop: Header=BB6_356 Depth=4
	s_or_b32 exec_lo, exec_lo, s72
	v_cmp_gt_i16_sdwa s72, v17, v61 src0_sel:BYTE_1 src1_sel:DWORD
	s_mov_b32 s16, 0
	s_and_saveexec_b32 s73, s72
	s_xor_b32 s72, exec_lo, s73
	s_cbranch_execz .LBB6_2960
; %bb.1710:                             ;   in Loop: Header=BB6_356 Depth=4
	v_cmp_eq_u16_sdwa s74, v17, v62 src0_sel:BYTE_1 src1_sel:DWORD
	s_mov_b32 s16, -1
	s_and_saveexec_b32 s73, s74
; %bb.1711:                             ;   in Loop: Header=BB6_356 Depth=4
	s_xor_b32 s16, exec_lo, -1
; %bb.1712:                             ;   in Loop: Header=BB6_356 Depth=4
	s_or_b32 exec_lo, exec_lo, s73
	s_and_b32 s16, s16, exec_lo
	s_or_saveexec_b32 s72, s72
	v_mov_b32_e32 v31, 0x7f800001
	s_xor_b32 exec_lo, exec_lo, s72
	s_cbranch_execnz .LBB6_2961
.LBB6_1713:                             ;   in Loop: Header=BB6_356 Depth=4
	s_or_b32 exec_lo, exec_lo, s72
	s_and_saveexec_b32 s72, s16
	s_cbranch_execz .LBB6_1715
.LBB6_1714:                             ;   in Loop: Header=BB6_356 Depth=4
	v_and_b32_sdwa v31, v63, v17 dst_sel:DWORD dst_unused:UNUSED_PAD src0_sel:DWORD src1_sel:BYTE_1
	v_and_b32_e32 v83, 7, v31
	v_bfe_u32 v98, v31, 3, 4
	v_ffbh_u32_e32 v86, v83
	v_cmp_eq_u32_e32 vcc_lo, 0, v98
	v_min_u32_e32 v86, 32, v86
	v_subrev_nc_u32_e32 v87, 28, v86
	v_sub_nc_u32_e32 v86, 29, v86
	v_lshlrev_b32_e32 v31, v87, v31
	v_lshlrev_b32_e32 v87, 16, v17
	v_cndmask_b32_e32 v86, v98, v86, vcc_lo
	v_and_b32_e32 v31, 7, v31
	v_lshl_add_u32 v86, v86, 23, 0x3b800000
	v_cndmask_b32_e32 v31, v83, v31, vcc_lo
	v_and_b32_e32 v83, 0x80000000, v87
	v_lshlrev_b32_e32 v31, 20, v31
	v_or3_b32 v31, v83, v86, v31
.LBB6_1715:                             ;   in Loop: Header=BB6_356 Depth=4
	s_or_b32 exec_lo, exec_lo, s72
	v_max_f32_e32 v31, v31, v31
	v_max_f32_e32 v1, v1, v1
	v_min_f32_e32 v1, v1, v31
.LBB6_1716:                             ;   in Loop: Header=BB6_356 Depth=4
	v_and_b32_e32 v31, 0x7f800000, v1
	v_mov_b32_e32 v83, 0x8000
	s_mov_b32 s72, exec_lo
	v_cmpx_ne_u32_e32 0x7f800000, v31
	s_cbranch_execz .LBB6_1724
; %bb.1717:                             ;   in Loop: Header=BB6_356 Depth=4
	v_mov_b32_e32 v83, 0
	s_mov_b32 s73, exec_lo
	v_cmpx_ne_u32_e32 0, v1
	s_cbranch_execz .LBB6_1723
; %bb.1718:                             ;   in Loop: Header=BB6_356 Depth=4
	v_bfe_u32 v83, v1, 23, 8
	v_and_b32_e32 v31, 0x7fffff, v1
                                        ; implicit-def: $vgpr99
	v_cmp_gt_u32_e64 s16, 0x79, v83
	v_sub_nc_u32_e32 v86, 0x78, v83
	v_cmp_eq_u32_e32 vcc_lo, 0, v83
	v_or_b32_e32 v87, 0x800000, v31
	v_cndmask_b32_e64 v86, 0, v86, s16
	v_cndmask_b32_e32 v31, v87, v31, vcc_lo
	v_cndmask_b32_e64 v86, v86, 0x77, vcc_lo
	v_lshl_add_u32 v87, 0x100000, v86, -1
	v_lshlrev_b32_e64 v98, v86, 0x80000
	v_and_b32_e32 v87, v87, v31
	v_cmp_eq_u32_e64 s16, v87, v98
	v_lshrrev_b32_e32 v87, v86, v31
	v_add_nc_u32_e32 v31, 0xffffff89, v83
	v_lshrrev_b32_e32 v83, 23, v87
	v_cndmask_b32_e64 v31, v31, 0xffffff8a, vcc_lo
	v_xor_b32_e32 v83, 1, v83
	v_add_nc_u32_e32 v31, v86, v31
	v_bfe_u32 v86, v87, 20, 1
	v_add_nc_u32_e32 v86, -1, v86
	v_cndmask_b32_e64 v86, 0, v86, s16
	s_mov_b32 s16, exec_lo
	v_add_nc_u32_e32 v86, v86, v87
	v_and_b32_e32 v86, 0xfffff, v86
	v_add_nc_u32_e32 v98, v86, v87
	v_cmpx_ne_u32_e64 v31, v83
	s_xor_b32 s16, exec_lo, s16
; %bb.1719:                             ;   in Loop: Header=BB6_356 Depth=4
	v_cmp_lt_u32_e32 vcc_lo, 0xffffff, v98
	v_sub_nc_u32_e32 v31, v31, v83
	v_cndmask_b32_e64 v83, 0, 1, vcc_lo
	v_add_co_ci_u32_e64 v99, null, 0, v31, vcc_lo
	v_lshrrev_b32_e32 v98, v83, v98
; %bb.1720:                             ;   in Loop: Header=BB6_356 Depth=4
	s_andn2_saveexec_b32 s16, s16
; %bb.1721:                             ;   in Loop: Header=BB6_356 Depth=4
	v_bfe_u32 v99, v98, 23, 1
; %bb.1722:                             ;   in Loop: Header=BB6_356 Depth=4
	s_or_b32 exec_lo, exec_lo, s16
	v_lshrrev_b32_e32 v31, 20, v98
	v_min_i32_e32 v83, 15, v99
	v_cmp_gt_i32_e32 vcc_lo, 16, v99
	v_and_b32_sdwa v1, v1, v62 dst_sel:DWORD dst_unused:UNUSED_PAD src0_sel:BYTE_3 src1_sel:DWORD
	v_lshlrev_b32_e32 v83, 3, v83
	v_cndmask_b32_e32 v31, 7, v31, vcc_lo
	v_and_b32_e32 v83, 0xf8, v83
	v_or_b32_e32 v86, v99, v31
	v_and_b32_e32 v31, 7, v31
	v_cmp_ne_u32_e32 vcc_lo, 0, v86
	v_or3_b32 v1, v1, v83, v31
	v_lshlrev_b32_e32 v1, 8, v1
	v_cndmask_b32_e32 v83, 0, v1, vcc_lo
.LBB6_1723:                             ;   in Loop: Header=BB6_356 Depth=4
	s_or_b32 exec_lo, exec_lo, s73
.LBB6_1724:                             ;   in Loop: Header=BB6_356 Depth=4
	s_or_b32 exec_lo, exec_lo, s72
	v_and_b32_sdwa v1, v21, v72 dst_sel:DWORD dst_unused:UNUSED_PAD src0_sel:WORD_1 src1_sel:DWORD
	s_andn2_b32 vcc_lo, exec_lo, s63
	s_mov_b32 s72, -1
                                        ; implicit-def: $vgpr31
	v_cmp_lt_i16_e64 s16, 0x7f, v1
	s_cbranch_vccnz .LBB6_1738
; %bb.1725:                             ;   in Loop: Header=BB6_356 Depth=4
	s_mov_b32 s72, 0
	s_and_saveexec_b32 s73, s16
	s_xor_b32 s16, exec_lo, s73
	s_cbranch_execz .LBB6_2962
; %bb.1726:                             ;   in Loop: Header=BB6_356 Depth=4
	s_mov_b32 s72, -1
	s_mov_b32 s73, exec_lo
	v_cmpx_eq_u16_e32 0x80, v1
; %bb.1727:                             ;   in Loop: Header=BB6_356 Depth=4
	s_xor_b32 s72, exec_lo, -1
; %bb.1728:                             ;   in Loop: Header=BB6_356 Depth=4
	s_or_b32 exec_lo, exec_lo, s73
	s_and_b32 s72, s72, exec_lo
	s_or_saveexec_b32 s16, s16
	v_mov_b32_e32 v31, 0x7f800001
	s_xor_b32 exec_lo, exec_lo, s16
	s_cbranch_execnz .LBB6_2963
.LBB6_1729:                             ;   in Loop: Header=BB6_356 Depth=4
	s_or_b32 exec_lo, exec_lo, s16
	s_and_saveexec_b32 s16, s72
	s_cbranch_execz .LBB6_1731
.LBB6_1730:                             ;   in Loop: Header=BB6_356 Depth=4
	v_bfe_u32 v31, v21, 16, 3
	v_bfe_u32 v86, v21, 19, 4
	v_ffbh_u32_e32 v87, v31
	v_cmp_eq_u32_e32 vcc_lo, 0, v86
	v_min_u32_e32 v87, 32, v87
	v_subrev_nc_u32_e32 v98, 28, v87
	v_sub_nc_u32_e32 v87, 29, v87
	v_lshlrev_b32_sdwa v98, v98, v21 dst_sel:DWORD dst_unused:UNUSED_PAD src0_sel:DWORD src1_sel:WORD_1
	v_cndmask_b32_e32 v86, v86, v87, vcc_lo
	v_lshlrev_b32_sdwa v87, v73, v21 dst_sel:DWORD dst_unused:UNUSED_PAD src0_sel:DWORD src1_sel:WORD_1
	v_and_b32_e32 v98, 7, v98
	v_lshl_add_u32 v86, v86, 23, 0x3b800000
	v_and_b32_e32 v87, 0x80000000, v87
	v_cndmask_b32_e32 v31, v31, v98, vcc_lo
	v_lshlrev_b32_e32 v31, 20, v31
	v_or3_b32 v31, v87, v86, v31
.LBB6_1731:                             ;   in Loop: Header=BB6_356 Depth=4
	s_or_b32 exec_lo, exec_lo, s16
	v_and_b32_sdwa v87, v17, v72 dst_sel:DWORD dst_unused:UNUSED_PAD src0_sel:WORD_1 src1_sel:DWORD
	s_mov_b32 s72, 0
	s_mov_b32 s16, exec_lo
	v_cmpx_lt_i16_e32 0x7f, v87
	s_xor_b32 s16, exec_lo, s16
	s_cbranch_execz .LBB6_2964
; %bb.1732:                             ;   in Loop: Header=BB6_356 Depth=4
	s_mov_b32 s72, -1
	s_mov_b32 s73, exec_lo
	v_cmpx_eq_u16_e32 0x80, v87
; %bb.1733:                             ;   in Loop: Header=BB6_356 Depth=4
	s_xor_b32 s72, exec_lo, -1
; %bb.1734:                             ;   in Loop: Header=BB6_356 Depth=4
	s_or_b32 exec_lo, exec_lo, s73
	s_and_b32 s72, s72, exec_lo
                                        ; implicit-def: $vgpr87
	s_or_saveexec_b32 s16, s16
	v_mov_b32_e32 v86, 0x7f800001
	s_xor_b32 exec_lo, exec_lo, s16
	s_cbranch_execnz .LBB6_2965
.LBB6_1735:                             ;   in Loop: Header=BB6_356 Depth=4
	s_or_b32 exec_lo, exec_lo, s16
	s_and_saveexec_b32 s16, s72
	s_cbranch_execz .LBB6_1737
.LBB6_1736:                             ;   in Loop: Header=BB6_356 Depth=4
	v_bfe_u32 v86, v17, 16, 3
	v_bfe_u32 v87, v17, 19, 4
	v_ffbh_u32_e32 v98, v86
	v_cmp_eq_u32_e32 vcc_lo, 0, v87
	v_min_u32_e32 v98, 32, v98
	v_subrev_nc_u32_e32 v99, 28, v98
	v_sub_nc_u32_e32 v98, 29, v98
	v_lshlrev_b32_sdwa v99, v99, v17 dst_sel:DWORD dst_unused:UNUSED_PAD src0_sel:DWORD src1_sel:WORD_1
	v_cndmask_b32_e32 v87, v87, v98, vcc_lo
	v_lshlrev_b32_sdwa v98, v73, v17 dst_sel:DWORD dst_unused:UNUSED_PAD src0_sel:DWORD src1_sel:WORD_1
	v_and_b32_e32 v99, 7, v99
	v_lshl_add_u32 v87, v87, 23, 0x3b800000
	v_and_b32_e32 v98, 0x80000000, v98
	v_cndmask_b32_e32 v86, v86, v99, vcc_lo
	v_lshlrev_b32_e32 v86, 20, v86
	v_or3_b32 v86, v98, v87, v86
.LBB6_1737:                             ;   in Loop: Header=BB6_356 Depth=4
	s_or_b32 exec_lo, exec_lo, s16
	v_max_f32_e32 v86, v86, v86
	v_max_f32_e32 v31, v31, v31
	s_mov_b32 s72, 0
	v_max_f32_e32 v31, v31, v86
.LBB6_1738:                             ;   in Loop: Header=BB6_356 Depth=4
	s_and_b32 vcc_lo, exec_lo, s72
	s_cbranch_vccz .LBB6_1752
; %bb.1739:                             ;   in Loop: Header=BB6_356 Depth=4
	s_mov_b32 s72, 0
	s_mov_b32 s16, exec_lo
	v_cmpx_lt_i16_e32 0x7f, v1
	s_xor_b32 s16, exec_lo, s16
	s_cbranch_execz .LBB6_2966
; %bb.1740:                             ;   in Loop: Header=BB6_356 Depth=4
	s_mov_b32 s72, -1
	s_mov_b32 s73, exec_lo
	v_cmpx_eq_u16_e32 0x80, v1
; %bb.1741:                             ;   in Loop: Header=BB6_356 Depth=4
	s_xor_b32 s72, exec_lo, -1
; %bb.1742:                             ;   in Loop: Header=BB6_356 Depth=4
	s_or_b32 exec_lo, exec_lo, s73
	s_and_b32 s72, s72, exec_lo
                                        ; implicit-def: $vgpr1
	s_or_saveexec_b32 s16, s16
	v_mov_b32_e32 v31, 0x7f800001
	s_xor_b32 exec_lo, exec_lo, s16
	s_cbranch_execnz .LBB6_2967
.LBB6_1743:                             ;   in Loop: Header=BB6_356 Depth=4
	s_or_b32 exec_lo, exec_lo, s16
	s_and_saveexec_b32 s16, s72
	s_cbranch_execz .LBB6_1745
.LBB6_1744:                             ;   in Loop: Header=BB6_356 Depth=4
	v_bfe_u32 v1, v21, 16, 3
	v_bfe_u32 v31, v21, 19, 4
	v_ffbh_u32_e32 v86, v1
	v_cmp_eq_u32_e32 vcc_lo, 0, v31
	v_min_u32_e32 v86, 32, v86
	v_subrev_nc_u32_e32 v87, 28, v86
	v_sub_nc_u32_e32 v86, 29, v86
	v_lshlrev_b32_sdwa v87, v87, v21 dst_sel:DWORD dst_unused:UNUSED_PAD src0_sel:DWORD src1_sel:WORD_1
	v_cndmask_b32_e32 v31, v31, v86, vcc_lo
	v_lshlrev_b32_sdwa v86, v73, v21 dst_sel:DWORD dst_unused:UNUSED_PAD src0_sel:DWORD src1_sel:WORD_1
	v_and_b32_e32 v87, 7, v87
	v_lshl_add_u32 v31, v31, 23, 0x3b800000
	v_and_b32_e32 v86, 0x80000000, v86
	v_cndmask_b32_e32 v1, v1, v87, vcc_lo
	v_lshlrev_b32_e32 v1, 20, v1
	v_or3_b32 v31, v86, v31, v1
.LBB6_1745:                             ;   in Loop: Header=BB6_356 Depth=4
	s_or_b32 exec_lo, exec_lo, s16
	v_and_b32_sdwa v86, v17, v72 dst_sel:DWORD dst_unused:UNUSED_PAD src0_sel:WORD_1 src1_sel:DWORD
	s_mov_b32 s72, 0
	s_mov_b32 s16, exec_lo
	v_cmpx_lt_i16_e32 0x7f, v86
	s_xor_b32 s16, exec_lo, s16
	s_cbranch_execz .LBB6_2968
; %bb.1746:                             ;   in Loop: Header=BB6_356 Depth=4
	s_mov_b32 s72, -1
	s_mov_b32 s73, exec_lo
	v_cmpx_eq_u16_e32 0x80, v86
; %bb.1747:                             ;   in Loop: Header=BB6_356 Depth=4
	s_xor_b32 s72, exec_lo, -1
; %bb.1748:                             ;   in Loop: Header=BB6_356 Depth=4
	s_or_b32 exec_lo, exec_lo, s73
	s_and_b32 s72, s72, exec_lo
                                        ; implicit-def: $vgpr86
	s_or_saveexec_b32 s16, s16
	v_mov_b32_e32 v1, 0x7f800001
	s_xor_b32 exec_lo, exec_lo, s16
	s_cbranch_execnz .LBB6_2969
.LBB6_1749:                             ;   in Loop: Header=BB6_356 Depth=4
	s_or_b32 exec_lo, exec_lo, s16
	s_and_saveexec_b32 s16, s72
	s_cbranch_execz .LBB6_1751
.LBB6_1750:                             ;   in Loop: Header=BB6_356 Depth=4
	v_bfe_u32 v1, v17, 16, 3
	v_bfe_u32 v86, v17, 19, 4
	v_ffbh_u32_e32 v87, v1
	v_cmp_eq_u32_e32 vcc_lo, 0, v86
	v_min_u32_e32 v87, 32, v87
	v_subrev_nc_u32_e32 v98, 28, v87
	v_sub_nc_u32_e32 v87, 29, v87
	v_lshlrev_b32_sdwa v98, v98, v17 dst_sel:DWORD dst_unused:UNUSED_PAD src0_sel:DWORD src1_sel:WORD_1
	v_cndmask_b32_e32 v86, v86, v87, vcc_lo
	v_lshlrev_b32_sdwa v87, v73, v17 dst_sel:DWORD dst_unused:UNUSED_PAD src0_sel:DWORD src1_sel:WORD_1
	v_and_b32_e32 v98, 7, v98
	v_lshl_add_u32 v86, v86, 23, 0x3b800000
	v_and_b32_e32 v87, 0x80000000, v87
	v_cndmask_b32_e32 v1, v1, v98, vcc_lo
	v_lshlrev_b32_e32 v1, 20, v1
	v_or3_b32 v1, v87, v86, v1
.LBB6_1751:                             ;   in Loop: Header=BB6_356 Depth=4
	s_or_b32 exec_lo, exec_lo, s16
	v_max_f32_e32 v1, v1, v1
	v_max_f32_e32 v31, v31, v31
	v_min_f32_e32 v31, v31, v1
.LBB6_1752:                             ;   in Loop: Header=BB6_356 Depth=4
	v_and_b32_e32 v1, 0x7f800000, v31
	v_mov_b32_e32 v56, 0x80
	s_mov_b32 s72, exec_lo
	v_cmpx_ne_u32_e32 0x7f800000, v1
	s_cbranch_execz .LBB6_1760
; %bb.1753:                             ;   in Loop: Header=BB6_356 Depth=4
	v_mov_b32_e32 v56, 0
	s_mov_b32 s73, exec_lo
	v_cmpx_ne_u32_e32 0, v31
	s_cbranch_execz .LBB6_1759
; %bb.1754:                             ;   in Loop: Header=BB6_356 Depth=4
	v_bfe_u32 v86, v31, 23, 8
	v_and_b32_e32 v1, 0x7fffff, v31
                                        ; implicit-def: $vgpr46
	v_cmp_gt_u32_e64 s16, 0x79, v86
	v_sub_nc_u32_e32 v87, 0x78, v86
	v_cmp_eq_u32_e32 vcc_lo, 0, v86
	v_or_b32_e32 v98, 0x800000, v1
	v_cndmask_b32_e64 v87, 0, v87, s16
	v_cndmask_b32_e32 v1, v98, v1, vcc_lo
	v_cndmask_b32_e64 v87, v87, 0x77, vcc_lo
	v_lshl_add_u32 v98, 0x100000, v87, -1
	v_lshlrev_b32_e64 v99, v87, 0x80000
	v_and_b32_e32 v98, v98, v1
	v_cmp_eq_u32_e64 s16, v98, v99
	v_lshrrev_b32_e32 v99, v87, v1
	v_add_nc_u32_e32 v1, 0xffffff89, v86
	v_lshrrev_b32_e32 v86, 23, v99
	v_cndmask_b32_e64 v1, v1, 0xffffff8a, vcc_lo
	v_xor_b32_e32 v98, 1, v86
	v_bfe_u32 v86, v99, 20, 1
	v_add_nc_u32_e32 v1, v87, v1
	v_add_nc_u32_e32 v86, -1, v86
	v_cndmask_b32_e64 v86, 0, v86, s16
	s_mov_b32 s16, exec_lo
	v_add_nc_u32_e32 v86, v86, v99
	v_and_b32_e32 v86, 0xfffff, v86
	v_add_nc_u32_e32 v99, v86, v99
	v_cmpx_ne_u32_e64 v1, v98
	s_xor_b32 s16, exec_lo, s16
; %bb.1755:                             ;   in Loop: Header=BB6_356 Depth=4
	v_cmp_lt_u32_e32 vcc_lo, 0xffffff, v99
	v_sub_nc_u32_e32 v1, v1, v98
	v_cndmask_b32_e64 v86, 0, 1, vcc_lo
	v_add_co_ci_u32_e64 v46, null, 0, v1, vcc_lo
	v_lshrrev_b32_e32 v99, v86, v99
; %bb.1756:                             ;   in Loop: Header=BB6_356 Depth=4
	s_andn2_saveexec_b32 s16, s16
; %bb.1757:                             ;   in Loop: Header=BB6_356 Depth=4
	v_bfe_u32 v46, v99, 23, 1
; %bb.1758:                             ;   in Loop: Header=BB6_356 Depth=4
	s_or_b32 exec_lo, exec_lo, s16
	v_and_b32_sdwa v1, v31, v62 dst_sel:DWORD dst_unused:UNUSED_PAD src0_sel:BYTE_3 src1_sel:DWORD
	v_lshrrev_b32_e32 v31, 20, v99
	v_min_i32_e32 v86, 15, v46
	v_cmp_gt_i32_e32 vcc_lo, 16, v46
	v_lshlrev_b32_e32 v86, 3, v86
	v_cndmask_b32_e32 v31, 7, v31, vcc_lo
	v_and_b32_e32 v86, 0xf8, v86
	v_or_b32_e32 v87, v46, v31
	v_and_b32_e32 v31, 7, v31
	v_cmp_ne_u32_e32 vcc_lo, 0, v87
	v_or3_b32 v1, v86, v1, v31
	v_cndmask_b32_e32 v56, 0, v1, vcc_lo
.LBB6_1759:                             ;   in Loop: Header=BB6_356 Depth=4
	s_or_b32 exec_lo, exec_lo, s73
.LBB6_1760:                             ;   in Loop: Header=BB6_356 Depth=4
	s_or_b32 exec_lo, exec_lo, s72
	v_cmp_gt_i16_sdwa s72, v21, v61 src0_sel:BYTE_3 src1_sel:DWORD
	s_andn2_b32 vcc_lo, exec_lo, s63
	s_mov_b32 s16, -1
                                        ; implicit-def: $vgpr1
	s_cbranch_vccnz .LBB6_1774
; %bb.1761:                             ;   in Loop: Header=BB6_356 Depth=4
	s_mov_b32 s16, 0
	s_and_saveexec_b32 s73, s72
	s_xor_b32 s72, exec_lo, s73
	s_cbranch_execz .LBB6_2970
; %bb.1762:                             ;   in Loop: Header=BB6_356 Depth=4
	v_cmp_eq_u16_sdwa s74, v21, v62 src0_sel:BYTE_3 src1_sel:DWORD
	s_mov_b32 s16, -1
	s_and_saveexec_b32 s73, s74
; %bb.1763:                             ;   in Loop: Header=BB6_356 Depth=4
	s_xor_b32 s16, exec_lo, -1
; %bb.1764:                             ;   in Loop: Header=BB6_356 Depth=4
	s_or_b32 exec_lo, exec_lo, s73
	s_and_b32 s16, s16, exec_lo
	s_or_saveexec_b32 s72, s72
	v_mov_b32_e32 v1, 0x7f800001
	s_xor_b32 exec_lo, exec_lo, s72
	s_cbranch_execnz .LBB6_2971
.LBB6_1765:                             ;   in Loop: Header=BB6_356 Depth=4
	s_or_b32 exec_lo, exec_lo, s72
	s_and_saveexec_b32 s72, s16
	s_cbranch_execz .LBB6_1767
.LBB6_1766:                             ;   in Loop: Header=BB6_356 Depth=4
	v_bfe_u32 v1, v21, 24, 3
	v_bfe_u32 v87, v21, 27, 4
	v_ffbh_u32_e32 v31, v1
	v_cmp_eq_u32_e32 vcc_lo, 0, v87
	v_min_u32_e32 v31, 32, v31
	v_subrev_nc_u32_e32 v86, 28, v31
	v_sub_nc_u32_e32 v31, 29, v31
	v_lshlrev_b32_sdwa v86, v86, v21 dst_sel:DWORD dst_unused:UNUSED_PAD src0_sel:DWORD src1_sel:BYTE_3
	v_cndmask_b32_e32 v31, v87, v31, vcc_lo
	v_and_b32_e32 v86, 7, v86
	v_lshl_add_u32 v31, v31, 23, 0x3b800000
	v_cndmask_b32_e32 v1, v1, v86, vcc_lo
	v_and_b32_e32 v86, 0x80000000, v21
	v_lshlrev_b32_e32 v1, 20, v1
	v_or3_b32 v1, v86, v31, v1
.LBB6_1767:                             ;   in Loop: Header=BB6_356 Depth=4
	s_or_b32 exec_lo, exec_lo, s72
	v_cmp_gt_i16_sdwa s72, v17, v61 src0_sel:BYTE_3 src1_sel:DWORD
	s_mov_b32 s16, 0
	s_and_saveexec_b32 s73, s72
	s_xor_b32 s72, exec_lo, s73
	s_cbranch_execz .LBB6_2972
; %bb.1768:                             ;   in Loop: Header=BB6_356 Depth=4
	v_cmp_eq_u16_sdwa s74, v17, v62 src0_sel:BYTE_3 src1_sel:DWORD
	s_mov_b32 s16, -1
	s_and_saveexec_b32 s73, s74
; %bb.1769:                             ;   in Loop: Header=BB6_356 Depth=4
	s_xor_b32 s16, exec_lo, -1
; %bb.1770:                             ;   in Loop: Header=BB6_356 Depth=4
	s_or_b32 exec_lo, exec_lo, s73
	s_and_b32 s16, s16, exec_lo
	s_or_saveexec_b32 s72, s72
	v_mov_b32_e32 v31, 0x7f800001
	s_xor_b32 exec_lo, exec_lo, s72
	s_cbranch_execnz .LBB6_2973
.LBB6_1771:                             ;   in Loop: Header=BB6_356 Depth=4
	s_or_b32 exec_lo, exec_lo, s72
	s_and_saveexec_b32 s72, s16
	s_cbranch_execz .LBB6_1773
.LBB6_1772:                             ;   in Loop: Header=BB6_356 Depth=4
	v_bfe_u32 v31, v17, 24, 3
	v_bfe_u32 v98, v17, 27, 4
	v_ffbh_u32_e32 v86, v31
	v_cmp_eq_u32_e32 vcc_lo, 0, v98
	v_min_u32_e32 v86, 32, v86
	v_subrev_nc_u32_e32 v87, 28, v86
	v_sub_nc_u32_e32 v86, 29, v86
	v_lshlrev_b32_sdwa v87, v87, v17 dst_sel:DWORD dst_unused:UNUSED_PAD src0_sel:DWORD src1_sel:BYTE_3
	v_cndmask_b32_e32 v86, v98, v86, vcc_lo
	v_and_b32_e32 v87, 7, v87
	v_lshl_add_u32 v86, v86, 23, 0x3b800000
	v_cndmask_b32_e32 v31, v31, v87, vcc_lo
	v_and_b32_e32 v87, 0x80000000, v17
	v_lshlrev_b32_e32 v31, 20, v31
	v_or3_b32 v31, v87, v86, v31
.LBB6_1773:                             ;   in Loop: Header=BB6_356 Depth=4
	s_or_b32 exec_lo, exec_lo, s72
	v_max_f32_e32 v31, v31, v31
	v_max_f32_e32 v1, v1, v1
	s_mov_b32 s16, 0
	v_max_f32_e32 v1, v1, v31
.LBB6_1774:                             ;   in Loop: Header=BB6_356 Depth=4
	s_and_b32 vcc_lo, exec_lo, s16
	s_cbranch_vccz .LBB6_1788
; %bb.1775:                             ;   in Loop: Header=BB6_356 Depth=4
	v_cmp_gt_i16_sdwa s72, v21, v61 src0_sel:BYTE_3 src1_sel:DWORD
	s_mov_b32 s16, 0
	s_and_saveexec_b32 s73, s72
	s_xor_b32 s72, exec_lo, s73
	s_cbranch_execz .LBB6_2974
; %bb.1776:                             ;   in Loop: Header=BB6_356 Depth=4
	v_cmp_eq_u16_sdwa s74, v21, v62 src0_sel:BYTE_3 src1_sel:DWORD
	s_mov_b32 s16, -1
	s_and_saveexec_b32 s73, s74
; %bb.1777:                             ;   in Loop: Header=BB6_356 Depth=4
	s_xor_b32 s16, exec_lo, -1
; %bb.1778:                             ;   in Loop: Header=BB6_356 Depth=4
	s_or_b32 exec_lo, exec_lo, s73
	s_and_b32 s16, s16, exec_lo
	s_or_saveexec_b32 s72, s72
	v_mov_b32_e32 v1, 0x7f800001
	s_xor_b32 exec_lo, exec_lo, s72
	s_cbranch_execnz .LBB6_2975
.LBB6_1779:                             ;   in Loop: Header=BB6_356 Depth=4
	s_or_b32 exec_lo, exec_lo, s72
	s_and_saveexec_b32 s72, s16
	s_cbranch_execz .LBB6_1781
.LBB6_1780:                             ;   in Loop: Header=BB6_356 Depth=4
	v_bfe_u32 v1, v21, 24, 3
	v_bfe_u32 v87, v21, 27, 4
	v_ffbh_u32_e32 v31, v1
	v_cmp_eq_u32_e32 vcc_lo, 0, v87
	v_min_u32_e32 v31, 32, v31
	v_subrev_nc_u32_e32 v86, 28, v31
	v_sub_nc_u32_e32 v31, 29, v31
	v_lshlrev_b32_sdwa v86, v86, v21 dst_sel:DWORD dst_unused:UNUSED_PAD src0_sel:DWORD src1_sel:BYTE_3
	v_cndmask_b32_e32 v31, v87, v31, vcc_lo
	v_and_b32_e32 v21, 0x80000000, v21
	v_and_b32_e32 v86, 7, v86
	v_lshl_add_u32 v31, v31, 23, 0x3b800000
	v_cndmask_b32_e32 v1, v1, v86, vcc_lo
	v_lshlrev_b32_e32 v1, 20, v1
	v_or3_b32 v1, v21, v31, v1
.LBB6_1781:                             ;   in Loop: Header=BB6_356 Depth=4
	s_or_b32 exec_lo, exec_lo, s72
	v_cmp_gt_i16_sdwa s72, v17, v61 src0_sel:BYTE_3 src1_sel:DWORD
	s_mov_b32 s16, 0
	s_and_saveexec_b32 s73, s72
	s_xor_b32 s72, exec_lo, s73
	s_cbranch_execz .LBB6_2976
; %bb.1782:                             ;   in Loop: Header=BB6_356 Depth=4
	v_cmp_eq_u16_sdwa s74, v17, v62 src0_sel:BYTE_3 src1_sel:DWORD
	s_mov_b32 s16, -1
	s_and_saveexec_b32 s73, s74
; %bb.1783:                             ;   in Loop: Header=BB6_356 Depth=4
	s_xor_b32 s16, exec_lo, -1
; %bb.1784:                             ;   in Loop: Header=BB6_356 Depth=4
	s_or_b32 exec_lo, exec_lo, s73
	s_and_b32 s16, s16, exec_lo
	s_or_saveexec_b32 s72, s72
	v_mov_b32_e32 v21, 0x7f800001
	s_xor_b32 exec_lo, exec_lo, s72
	s_cbranch_execnz .LBB6_2977
.LBB6_1785:                             ;   in Loop: Header=BB6_356 Depth=4
	s_or_b32 exec_lo, exec_lo, s72
	s_and_saveexec_b32 s72, s16
	s_cbranch_execz .LBB6_1787
.LBB6_1786:                             ;   in Loop: Header=BB6_356 Depth=4
	v_bfe_u32 v21, v17, 24, 3
	v_bfe_u32 v87, v17, 27, 4
	v_ffbh_u32_e32 v31, v21
	v_cmp_eq_u32_e32 vcc_lo, 0, v87
	v_min_u32_e32 v31, 32, v31
	v_subrev_nc_u32_e32 v86, 28, v31
	v_sub_nc_u32_e32 v31, 29, v31
	v_lshlrev_b32_sdwa v86, v86, v17 dst_sel:DWORD dst_unused:UNUSED_PAD src0_sel:DWORD src1_sel:BYTE_3
	v_cndmask_b32_e32 v31, v87, v31, vcc_lo
	v_and_b32_e32 v17, 0x80000000, v17
	v_and_b32_e32 v86, 7, v86
	v_lshl_add_u32 v31, v31, 23, 0x3b800000
	v_cndmask_b32_e32 v21, v21, v86, vcc_lo
	v_lshlrev_b32_e32 v21, 20, v21
	v_or3_b32 v21, v17, v31, v21
.LBB6_1787:                             ;   in Loop: Header=BB6_356 Depth=4
	s_or_b32 exec_lo, exec_lo, s72
	v_max_f32_e32 v17, v21, v21
	v_max_f32_e32 v1, v1, v1
	v_min_f32_e32 v1, v1, v17
.LBB6_1788:                             ;   in Loop: Header=BB6_356 Depth=4
	v_and_b32_e32 v17, 0x7f800000, v1
	v_cmp_ne_u32_e32 vcc_lo, 0x7f800000, v17
	v_mov_b32_e32 v17, 0x8000
	s_and_saveexec_b32 s72, vcc_lo
	s_cbranch_execz .LBB6_1796
; %bb.1789:                             ;   in Loop: Header=BB6_356 Depth=4
	v_mov_b32_e32 v17, 0
	s_mov_b32 s73, exec_lo
	v_cmpx_ne_u32_e32 0, v1
	s_cbranch_execz .LBB6_1795
; %bb.1790:                             ;   in Loop: Header=BB6_356 Depth=4
	v_bfe_u32 v21, v1, 23, 8
	v_and_b32_e32 v17, 0x7fffff, v1
                                        ; implicit-def: $vgpr98
	v_cmp_gt_u32_e64 s16, 0x79, v21
	v_sub_nc_u32_e32 v31, 0x78, v21
	v_cmp_eq_u32_e32 vcc_lo, 0, v21
	v_or_b32_e32 v86, 0x800000, v17
	v_cndmask_b32_e64 v31, 0, v31, s16
	v_cndmask_b32_e32 v17, v86, v17, vcc_lo
	v_cndmask_b32_e64 v31, v31, 0x77, vcc_lo
	v_lshl_add_u32 v86, 0x100000, v31, -1
	v_lshlrev_b32_e64 v87, v31, 0x80000
	v_and_b32_e32 v86, v86, v17
	v_cmp_eq_u32_e64 s16, v86, v87
	v_lshrrev_b32_e32 v86, v31, v17
	v_add_nc_u32_e32 v17, 0xffffff89, v21
	v_lshrrev_b32_e32 v21, 23, v86
	v_cndmask_b32_e64 v17, v17, 0xffffff8a, vcc_lo
	v_xor_b32_e32 v21, 1, v21
	v_add_nc_u32_e32 v17, v31, v17
	v_bfe_u32 v31, v86, 20, 1
	v_add_nc_u32_e32 v31, -1, v31
	v_cndmask_b32_e64 v31, 0, v31, s16
	s_mov_b32 s16, exec_lo
	v_add_nc_u32_e32 v31, v31, v86
	v_and_b32_e32 v31, 0xfffff, v31
	v_add_nc_u32_e32 v31, v31, v86
	v_cmpx_ne_u32_e64 v17, v21
	s_xor_b32 s16, exec_lo, s16
; %bb.1791:                             ;   in Loop: Header=BB6_356 Depth=4
	v_cmp_lt_u32_e32 vcc_lo, 0xffffff, v31
	v_sub_nc_u32_e32 v17, v17, v21
	v_cndmask_b32_e64 v21, 0, 1, vcc_lo
	v_add_co_ci_u32_e64 v98, null, 0, v17, vcc_lo
	v_lshrrev_b32_e32 v31, v21, v31
; %bb.1792:                             ;   in Loop: Header=BB6_356 Depth=4
	s_andn2_saveexec_b32 s16, s16
; %bb.1793:                             ;   in Loop: Header=BB6_356 Depth=4
	v_bfe_u32 v98, v31, 23, 1
; %bb.1794:                             ;   in Loop: Header=BB6_356 Depth=4
	s_or_b32 exec_lo, exec_lo, s16
	v_lshrrev_b32_e32 v17, 20, v31
	v_min_i32_e32 v21, 15, v98
	v_cmp_gt_i32_e32 vcc_lo, 16, v98
	v_and_b32_sdwa v1, v1, v62 dst_sel:DWORD dst_unused:UNUSED_PAD src0_sel:BYTE_3 src1_sel:DWORD
	v_lshlrev_b32_e32 v21, 3, v21
	v_cndmask_b32_e32 v17, 7, v17, vcc_lo
	v_and_b32_e32 v21, 0xf8, v21
	v_or_b32_e32 v31, v98, v17
	v_and_b32_e32 v17, 7, v17
	v_cmp_ne_u32_e32 vcc_lo, 0, v31
	v_or3_b32 v1, v1, v21, v17
	v_lshlrev_b32_e32 v1, 8, v1
	v_cndmask_b32_e32 v17, 0, v1, vcc_lo
.LBB6_1795:                             ;   in Loop: Header=BB6_356 Depth=4
	s_or_b32 exec_lo, exec_lo, s73
.LBB6_1796:                             ;   in Loop: Header=BB6_356 Depth=4
	s_or_b32 exec_lo, exec_lo, s72
	v_cmp_gt_i16_sdwa s73, v22, v61 src0_sel:BYTE_0 src1_sel:DWORD
	s_andn2_b32 vcc_lo, exec_lo, s63
	s_mov_b32 s16, -1
                                        ; implicit-def: $vgpr1
	s_cbranch_vccnz .LBB6_1810
; %bb.1797:                             ;   in Loop: Header=BB6_356 Depth=4
	s_mov_b32 s72, 0
	s_and_saveexec_b32 s16, s73
	s_xor_b32 s16, exec_lo, s16
	s_cbranch_execz .LBB6_2978
; %bb.1798:                             ;   in Loop: Header=BB6_356 Depth=4
	v_cmp_eq_u16_sdwa s74, v22, v62 src0_sel:BYTE_0 src1_sel:DWORD
	s_mov_b32 s72, -1
	s_and_saveexec_b32 s73, s74
; %bb.1799:                             ;   in Loop: Header=BB6_356 Depth=4
	s_xor_b32 s72, exec_lo, -1
; %bb.1800:                             ;   in Loop: Header=BB6_356 Depth=4
	s_or_b32 exec_lo, exec_lo, s73
	s_and_b32 s72, s72, exec_lo
	s_or_saveexec_b32 s16, s16
	v_mov_b32_e32 v1, 0x7f800001
	s_xor_b32 exec_lo, exec_lo, s16
	s_cbranch_execnz .LBB6_2979
.LBB6_1801:                             ;   in Loop: Header=BB6_356 Depth=4
	s_or_b32 exec_lo, exec_lo, s16
	s_and_saveexec_b32 s16, s72
	s_cbranch_execz .LBB6_1803
.LBB6_1802:                             ;   in Loop: Header=BB6_356 Depth=4
	v_and_b32_e32 v1, 7, v22
	v_bfe_u32 v21, v22, 3, 4
	v_ffbh_u32_e32 v31, v1
	v_cmp_eq_u32_e32 vcc_lo, 0, v21
	v_min_u32_e32 v31, 32, v31
	v_subrev_nc_u32_e32 v86, 28, v31
	v_sub_nc_u32_e32 v31, 29, v31
	v_lshlrev_b32_e32 v86, v86, v22
	v_cndmask_b32_e32 v21, v21, v31, vcc_lo
	v_lshlrev_b32_e32 v31, 24, v22
	v_and_b32_e32 v86, 7, v86
	v_lshl_add_u32 v21, v21, 23, 0x3b800000
	v_and_b32_e32 v31, 0x80000000, v31
	v_cndmask_b32_e32 v1, v1, v86, vcc_lo
	v_lshlrev_b32_e32 v1, 20, v1
	v_or3_b32 v1, v31, v21, v1
.LBB6_1803:                             ;   in Loop: Header=BB6_356 Depth=4
	s_or_b32 exec_lo, exec_lo, s16
	v_cmp_gt_i16_sdwa s16, v18, v61 src0_sel:BYTE_0 src1_sel:DWORD
	s_mov_b32 s72, 0
	s_and_saveexec_b32 s73, s16
	s_xor_b32 s16, exec_lo, s73
	s_cbranch_execz .LBB6_2980
; %bb.1804:                             ;   in Loop: Header=BB6_356 Depth=4
	v_cmp_eq_u16_sdwa s74, v18, v62 src0_sel:BYTE_0 src1_sel:DWORD
	s_mov_b32 s72, -1
	s_and_saveexec_b32 s73, s74
; %bb.1805:                             ;   in Loop: Header=BB6_356 Depth=4
	s_xor_b32 s72, exec_lo, -1
; %bb.1806:                             ;   in Loop: Header=BB6_356 Depth=4
	s_or_b32 exec_lo, exec_lo, s73
	s_and_b32 s72, s72, exec_lo
	s_or_saveexec_b32 s16, s16
	v_mov_b32_e32 v21, 0x7f800001
	s_xor_b32 exec_lo, exec_lo, s16
	s_cbranch_execnz .LBB6_2981
.LBB6_1807:                             ;   in Loop: Header=BB6_356 Depth=4
	s_or_b32 exec_lo, exec_lo, s16
	s_and_saveexec_b32 s16, s72
	s_cbranch_execz .LBB6_1809
.LBB6_1808:                             ;   in Loop: Header=BB6_356 Depth=4
	v_and_b32_e32 v21, 7, v18
	v_bfe_u32 v31, v18, 3, 4
	v_ffbh_u32_e32 v86, v21
	v_cmp_eq_u32_e32 vcc_lo, 0, v31
	v_min_u32_e32 v86, 32, v86
	v_subrev_nc_u32_e32 v87, 28, v86
	v_sub_nc_u32_e32 v86, 29, v86
	v_lshlrev_b32_e32 v87, v87, v18
	v_cndmask_b32_e32 v31, v31, v86, vcc_lo
	v_lshlrev_b32_e32 v86, 24, v18
	v_and_b32_e32 v87, 7, v87
	v_lshl_add_u32 v31, v31, 23, 0x3b800000
	v_and_b32_e32 v86, 0x80000000, v86
	v_cndmask_b32_e32 v21, v21, v87, vcc_lo
	v_lshlrev_b32_e32 v21, 20, v21
	v_or3_b32 v21, v86, v31, v21
.LBB6_1809:                             ;   in Loop: Header=BB6_356 Depth=4
	s_or_b32 exec_lo, exec_lo, s16
	v_max_f32_e32 v21, v21, v21
	v_max_f32_e32 v1, v1, v1
	s_mov_b32 s16, 0
	v_max_f32_e32 v1, v1, v21
.LBB6_1810:                             ;   in Loop: Header=BB6_356 Depth=4
	s_and_b32 vcc_lo, exec_lo, s16
	s_cbranch_vccz .LBB6_1824
; %bb.1811:                             ;   in Loop: Header=BB6_356 Depth=4
	v_cmp_gt_i16_sdwa s16, v22, v61 src0_sel:BYTE_0 src1_sel:DWORD
	s_mov_b32 s72, 0
	s_and_saveexec_b32 s73, s16
	s_xor_b32 s16, exec_lo, s73
	s_cbranch_execz .LBB6_2982
; %bb.1812:                             ;   in Loop: Header=BB6_356 Depth=4
	v_cmp_eq_u16_sdwa s74, v22, v62 src0_sel:BYTE_0 src1_sel:DWORD
	s_mov_b32 s72, -1
	s_and_saveexec_b32 s73, s74
; %bb.1813:                             ;   in Loop: Header=BB6_356 Depth=4
	s_xor_b32 s72, exec_lo, -1
; %bb.1814:                             ;   in Loop: Header=BB6_356 Depth=4
	s_or_b32 exec_lo, exec_lo, s73
	s_and_b32 s72, s72, exec_lo
	s_or_saveexec_b32 s16, s16
	v_mov_b32_e32 v1, 0x7f800001
	s_xor_b32 exec_lo, exec_lo, s16
	s_cbranch_execnz .LBB6_2983
.LBB6_1815:                             ;   in Loop: Header=BB6_356 Depth=4
	s_or_b32 exec_lo, exec_lo, s16
	s_and_saveexec_b32 s16, s72
	s_cbranch_execz .LBB6_1817
.LBB6_1816:                             ;   in Loop: Header=BB6_356 Depth=4
	v_and_b32_e32 v1, 7, v22
	v_bfe_u32 v21, v22, 3, 4
	v_ffbh_u32_e32 v31, v1
	v_cmp_eq_u32_e32 vcc_lo, 0, v21
	v_min_u32_e32 v31, 32, v31
	v_subrev_nc_u32_e32 v86, 28, v31
	v_sub_nc_u32_e32 v31, 29, v31
	v_lshlrev_b32_e32 v86, v86, v22
	v_cndmask_b32_e32 v21, v21, v31, vcc_lo
	v_lshlrev_b32_e32 v31, 24, v22
	v_and_b32_e32 v86, 7, v86
	v_lshl_add_u32 v21, v21, 23, 0x3b800000
	v_and_b32_e32 v31, 0x80000000, v31
	v_cndmask_b32_e32 v1, v1, v86, vcc_lo
	v_lshlrev_b32_e32 v1, 20, v1
	v_or3_b32 v1, v31, v21, v1
.LBB6_1817:                             ;   in Loop: Header=BB6_356 Depth=4
	s_or_b32 exec_lo, exec_lo, s16
	v_cmp_gt_i16_sdwa s16, v18, v61 src0_sel:BYTE_0 src1_sel:DWORD
	s_mov_b32 s72, 0
	s_and_saveexec_b32 s73, s16
	s_xor_b32 s16, exec_lo, s73
	s_cbranch_execz .LBB6_2984
; %bb.1818:                             ;   in Loop: Header=BB6_356 Depth=4
	v_cmp_eq_u16_sdwa s74, v18, v62 src0_sel:BYTE_0 src1_sel:DWORD
	s_mov_b32 s72, -1
	s_and_saveexec_b32 s73, s74
; %bb.1819:                             ;   in Loop: Header=BB6_356 Depth=4
	s_xor_b32 s72, exec_lo, -1
; %bb.1820:                             ;   in Loop: Header=BB6_356 Depth=4
	s_or_b32 exec_lo, exec_lo, s73
	s_and_b32 s72, s72, exec_lo
	s_or_saveexec_b32 s16, s16
	v_mov_b32_e32 v21, 0x7f800001
	s_xor_b32 exec_lo, exec_lo, s16
	s_cbranch_execnz .LBB6_2985
.LBB6_1821:                             ;   in Loop: Header=BB6_356 Depth=4
	s_or_b32 exec_lo, exec_lo, s16
	s_and_saveexec_b32 s16, s72
	s_cbranch_execz .LBB6_1823
.LBB6_1822:                             ;   in Loop: Header=BB6_356 Depth=4
	v_and_b32_e32 v21, 7, v18
	v_bfe_u32 v31, v18, 3, 4
	v_ffbh_u32_e32 v86, v21
	v_cmp_eq_u32_e32 vcc_lo, 0, v31
	v_min_u32_e32 v86, 32, v86
	v_subrev_nc_u32_e32 v87, 28, v86
	v_sub_nc_u32_e32 v86, 29, v86
	v_lshlrev_b32_e32 v87, v87, v18
	v_cndmask_b32_e32 v31, v31, v86, vcc_lo
	v_lshlrev_b32_e32 v86, 24, v18
	v_and_b32_e32 v87, 7, v87
	v_lshl_add_u32 v31, v31, 23, 0x3b800000
	v_and_b32_e32 v86, 0x80000000, v86
	v_cndmask_b32_e32 v21, v21, v87, vcc_lo
	v_lshlrev_b32_e32 v21, 20, v21
	v_or3_b32 v21, v86, v31, v21
.LBB6_1823:                             ;   in Loop: Header=BB6_356 Depth=4
	s_or_b32 exec_lo, exec_lo, s16
	v_max_f32_e32 v21, v21, v21
	v_max_f32_e32 v1, v1, v1
	v_min_f32_e32 v1, v1, v21
.LBB6_1824:                             ;   in Loop: Header=BB6_356 Depth=4
	v_and_b32_e32 v21, 0x7f800000, v1
	v_cmp_ne_u32_e32 vcc_lo, 0x7f800000, v21
	v_mov_b32_e32 v21, 0x80
	s_and_saveexec_b32 s72, vcc_lo
	s_cbranch_execz .LBB6_1832
; %bb.1825:                             ;   in Loop: Header=BB6_356 Depth=4
	v_mov_b32_e32 v21, 0
	s_mov_b32 s73, exec_lo
	v_cmpx_ne_u32_e32 0, v1
	s_cbranch_execz .LBB6_1831
; %bb.1826:                             ;   in Loop: Header=BB6_356 Depth=4
	v_bfe_u32 v31, v1, 23, 8
	v_and_b32_e32 v21, 0x7fffff, v1
                                        ; implicit-def: $vgpr99
	v_cmp_gt_u32_e64 s16, 0x79, v31
	v_sub_nc_u32_e32 v86, 0x78, v31
	v_cmp_eq_u32_e32 vcc_lo, 0, v31
	v_or_b32_e32 v87, 0x800000, v21
	v_cndmask_b32_e64 v86, 0, v86, s16
	v_cndmask_b32_e32 v21, v87, v21, vcc_lo
	v_cndmask_b32_e64 v86, v86, 0x77, vcc_lo
	v_lshl_add_u32 v87, 0x100000, v86, -1
	v_lshlrev_b32_e64 v98, v86, 0x80000
	v_and_b32_e32 v87, v87, v21
	v_cmp_eq_u32_e64 s16, v87, v98
	v_lshrrev_b32_e32 v87, v86, v21
	v_add_nc_u32_e32 v21, 0xffffff89, v31
	v_lshrrev_b32_e32 v31, 23, v87
	v_cndmask_b32_e64 v21, v21, 0xffffff8a, vcc_lo
	v_xor_b32_e32 v31, 1, v31
	v_add_nc_u32_e32 v21, v86, v21
	v_bfe_u32 v86, v87, 20, 1
	v_add_nc_u32_e32 v86, -1, v86
	v_cndmask_b32_e64 v86, 0, v86, s16
	s_mov_b32 s16, exec_lo
	v_add_nc_u32_e32 v86, v86, v87
	v_and_b32_e32 v86, 0xfffff, v86
	v_add_nc_u32_e32 v98, v86, v87
	v_cmpx_ne_u32_e64 v21, v31
	s_xor_b32 s16, exec_lo, s16
; %bb.1827:                             ;   in Loop: Header=BB6_356 Depth=4
	v_cmp_lt_u32_e32 vcc_lo, 0xffffff, v98
	v_sub_nc_u32_e32 v21, v21, v31
	v_cndmask_b32_e64 v31, 0, 1, vcc_lo
	v_add_co_ci_u32_e64 v99, null, 0, v21, vcc_lo
	v_lshrrev_b32_e32 v98, v31, v98
; %bb.1828:                             ;   in Loop: Header=BB6_356 Depth=4
	s_andn2_saveexec_b32 s16, s16
; %bb.1829:                             ;   in Loop: Header=BB6_356 Depth=4
	v_bfe_u32 v99, v98, 23, 1
; %bb.1830:                             ;   in Loop: Header=BB6_356 Depth=4
	s_or_b32 exec_lo, exec_lo, s16
	v_lshrrev_b32_e32 v21, 20, v98
	v_min_i32_e32 v31, 15, v99
	v_cmp_gt_i32_e32 vcc_lo, 16, v99
	v_and_b32_sdwa v1, v1, v62 dst_sel:DWORD dst_unused:UNUSED_PAD src0_sel:BYTE_3 src1_sel:DWORD
	v_lshlrev_b32_e32 v31, 3, v31
	v_cndmask_b32_e32 v21, 7, v21, vcc_lo
	v_and_b32_e32 v31, 0xf8, v31
	v_or_b32_e32 v86, v99, v21
	v_and_b32_e32 v21, 7, v21
	v_cmp_ne_u32_e32 vcc_lo, 0, v86
	v_or3_b32 v1, v31, v1, v21
	v_cndmask_b32_e32 v21, 0, v1, vcc_lo
.LBB6_1831:                             ;   in Loop: Header=BB6_356 Depth=4
	s_or_b32 exec_lo, exec_lo, s73
.LBB6_1832:                             ;   in Loop: Header=BB6_356 Depth=4
	s_or_b32 exec_lo, exec_lo, s72
	v_cmp_gt_i16_sdwa s72, v22, v61 src0_sel:BYTE_1 src1_sel:DWORD
	s_andn2_b32 vcc_lo, exec_lo, s63
	s_mov_b32 s16, -1
                                        ; implicit-def: $vgpr1
	s_cbranch_vccnz .LBB6_1846
; %bb.1833:                             ;   in Loop: Header=BB6_356 Depth=4
	s_mov_b32 s16, 0
	s_and_saveexec_b32 s73, s72
	s_xor_b32 s72, exec_lo, s73
	s_cbranch_execz .LBB6_2986
; %bb.1834:                             ;   in Loop: Header=BB6_356 Depth=4
	v_cmp_eq_u16_sdwa s74, v22, v62 src0_sel:BYTE_1 src1_sel:DWORD
	s_mov_b32 s16, -1
	s_and_saveexec_b32 s73, s74
; %bb.1835:                             ;   in Loop: Header=BB6_356 Depth=4
	s_xor_b32 s16, exec_lo, -1
; %bb.1836:                             ;   in Loop: Header=BB6_356 Depth=4
	s_or_b32 exec_lo, exec_lo, s73
	s_and_b32 s16, s16, exec_lo
	s_or_saveexec_b32 s72, s72
	v_mov_b32_e32 v1, 0x7f800001
	s_xor_b32 exec_lo, exec_lo, s72
	s_cbranch_execnz .LBB6_2987
.LBB6_1837:                             ;   in Loop: Header=BB6_356 Depth=4
	s_or_b32 exec_lo, exec_lo, s72
	s_and_saveexec_b32 s72, s16
	s_cbranch_execz .LBB6_1839
.LBB6_1838:                             ;   in Loop: Header=BB6_356 Depth=4
	v_and_b32_sdwa v1, v63, v22 dst_sel:DWORD dst_unused:UNUSED_PAD src0_sel:DWORD src1_sel:BYTE_1
	v_and_b32_e32 v31, 7, v1
	v_bfe_u32 v98, v1, 3, 4
	v_ffbh_u32_e32 v86, v31
	v_cmp_eq_u32_e32 vcc_lo, 0, v98
	v_min_u32_e32 v86, 32, v86
	v_subrev_nc_u32_e32 v87, 28, v86
	v_sub_nc_u32_e32 v86, 29, v86
	v_lshlrev_b32_e32 v1, v87, v1
	v_lshlrev_b32_e32 v87, 16, v22
	v_cndmask_b32_e32 v86, v98, v86, vcc_lo
	v_and_b32_e32 v1, 7, v1
	v_lshl_add_u32 v86, v86, 23, 0x3b800000
	v_cndmask_b32_e32 v1, v31, v1, vcc_lo
	v_and_b32_e32 v31, 0x80000000, v87
	v_lshlrev_b32_e32 v1, 20, v1
	v_or3_b32 v1, v31, v86, v1
.LBB6_1839:                             ;   in Loop: Header=BB6_356 Depth=4
	s_or_b32 exec_lo, exec_lo, s72
	v_cmp_gt_i16_sdwa s72, v18, v61 src0_sel:BYTE_1 src1_sel:DWORD
	s_mov_b32 s16, 0
	s_and_saveexec_b32 s73, s72
	s_xor_b32 s72, exec_lo, s73
	s_cbranch_execz .LBB6_2988
; %bb.1840:                             ;   in Loop: Header=BB6_356 Depth=4
	v_cmp_eq_u16_sdwa s74, v18, v62 src0_sel:BYTE_1 src1_sel:DWORD
	s_mov_b32 s16, -1
	s_and_saveexec_b32 s73, s74
; %bb.1841:                             ;   in Loop: Header=BB6_356 Depth=4
	s_xor_b32 s16, exec_lo, -1
; %bb.1842:                             ;   in Loop: Header=BB6_356 Depth=4
	s_or_b32 exec_lo, exec_lo, s73
	s_and_b32 s16, s16, exec_lo
	s_or_saveexec_b32 s72, s72
	v_mov_b32_e32 v31, 0x7f800001
	s_xor_b32 exec_lo, exec_lo, s72
	s_cbranch_execnz .LBB6_2989
.LBB6_1843:                             ;   in Loop: Header=BB6_356 Depth=4
	s_or_b32 exec_lo, exec_lo, s72
	s_and_saveexec_b32 s72, s16
	s_cbranch_execz .LBB6_1845
.LBB6_1844:                             ;   in Loop: Header=BB6_356 Depth=4
	v_and_b32_sdwa v31, v63, v18 dst_sel:DWORD dst_unused:UNUSED_PAD src0_sel:DWORD src1_sel:BYTE_1
	v_and_b32_e32 v86, 7, v31
	v_bfe_u32 v99, v31, 3, 4
	v_ffbh_u32_e32 v87, v86
	v_cmp_eq_u32_e32 vcc_lo, 0, v99
	v_min_u32_e32 v87, 32, v87
	v_subrev_nc_u32_e32 v98, 28, v87
	v_sub_nc_u32_e32 v87, 29, v87
	v_lshlrev_b32_e32 v31, v98, v31
	v_lshlrev_b32_e32 v98, 16, v18
	v_cndmask_b32_e32 v87, v99, v87, vcc_lo
	v_and_b32_e32 v31, 7, v31
	v_lshl_add_u32 v87, v87, 23, 0x3b800000
	v_cndmask_b32_e32 v31, v86, v31, vcc_lo
	v_and_b32_e32 v86, 0x80000000, v98
	v_lshlrev_b32_e32 v31, 20, v31
	v_or3_b32 v31, v86, v87, v31
.LBB6_1845:                             ;   in Loop: Header=BB6_356 Depth=4
	s_or_b32 exec_lo, exec_lo, s72
	v_max_f32_e32 v31, v31, v31
	v_max_f32_e32 v1, v1, v1
	s_mov_b32 s16, 0
	v_max_f32_e32 v1, v1, v31
.LBB6_1846:                             ;   in Loop: Header=BB6_356 Depth=4
	s_and_b32 vcc_lo, exec_lo, s16
	s_cbranch_vccz .LBB6_1860
; %bb.1847:                             ;   in Loop: Header=BB6_356 Depth=4
	v_cmp_gt_i16_sdwa s72, v22, v61 src0_sel:BYTE_1 src1_sel:DWORD
	s_mov_b32 s16, 0
	s_and_saveexec_b32 s73, s72
	s_xor_b32 s72, exec_lo, s73
	s_cbranch_execz .LBB6_2990
; %bb.1848:                             ;   in Loop: Header=BB6_356 Depth=4
	v_cmp_eq_u16_sdwa s74, v22, v62 src0_sel:BYTE_1 src1_sel:DWORD
	s_mov_b32 s16, -1
	s_and_saveexec_b32 s73, s74
; %bb.1849:                             ;   in Loop: Header=BB6_356 Depth=4
	s_xor_b32 s16, exec_lo, -1
; %bb.1850:                             ;   in Loop: Header=BB6_356 Depth=4
	s_or_b32 exec_lo, exec_lo, s73
	s_and_b32 s16, s16, exec_lo
	s_or_saveexec_b32 s72, s72
	v_mov_b32_e32 v1, 0x7f800001
	s_xor_b32 exec_lo, exec_lo, s72
	s_cbranch_execnz .LBB6_2991
.LBB6_1851:                             ;   in Loop: Header=BB6_356 Depth=4
	s_or_b32 exec_lo, exec_lo, s72
	s_and_saveexec_b32 s72, s16
	s_cbranch_execz .LBB6_1853
.LBB6_1852:                             ;   in Loop: Header=BB6_356 Depth=4
	v_and_b32_sdwa v1, v63, v22 dst_sel:DWORD dst_unused:UNUSED_PAD src0_sel:DWORD src1_sel:BYTE_1
	v_and_b32_e32 v31, 7, v1
	v_bfe_u32 v98, v1, 3, 4
	v_ffbh_u32_e32 v86, v31
	v_cmp_eq_u32_e32 vcc_lo, 0, v98
	v_min_u32_e32 v86, 32, v86
	v_subrev_nc_u32_e32 v87, 28, v86
	v_sub_nc_u32_e32 v86, 29, v86
	v_lshlrev_b32_e32 v1, v87, v1
	v_lshlrev_b32_e32 v87, 16, v22
	v_cndmask_b32_e32 v86, v98, v86, vcc_lo
	v_and_b32_e32 v1, 7, v1
	v_lshl_add_u32 v86, v86, 23, 0x3b800000
	v_cndmask_b32_e32 v1, v31, v1, vcc_lo
	v_and_b32_e32 v31, 0x80000000, v87
	v_lshlrev_b32_e32 v1, 20, v1
	v_or3_b32 v1, v31, v86, v1
.LBB6_1853:                             ;   in Loop: Header=BB6_356 Depth=4
	s_or_b32 exec_lo, exec_lo, s72
	v_cmp_gt_i16_sdwa s72, v18, v61 src0_sel:BYTE_1 src1_sel:DWORD
	s_mov_b32 s16, 0
	s_and_saveexec_b32 s73, s72
	s_xor_b32 s72, exec_lo, s73
	s_cbranch_execz .LBB6_2992
; %bb.1854:                             ;   in Loop: Header=BB6_356 Depth=4
	v_cmp_eq_u16_sdwa s74, v18, v62 src0_sel:BYTE_1 src1_sel:DWORD
	s_mov_b32 s16, -1
	s_and_saveexec_b32 s73, s74
; %bb.1855:                             ;   in Loop: Header=BB6_356 Depth=4
	s_xor_b32 s16, exec_lo, -1
; %bb.1856:                             ;   in Loop: Header=BB6_356 Depth=4
	s_or_b32 exec_lo, exec_lo, s73
	s_and_b32 s16, s16, exec_lo
	s_or_saveexec_b32 s72, s72
	v_mov_b32_e32 v31, 0x7f800001
	s_xor_b32 exec_lo, exec_lo, s72
	s_cbranch_execnz .LBB6_2993
.LBB6_1857:                             ;   in Loop: Header=BB6_356 Depth=4
	s_or_b32 exec_lo, exec_lo, s72
	s_and_saveexec_b32 s72, s16
	s_cbranch_execz .LBB6_1859
.LBB6_1858:                             ;   in Loop: Header=BB6_356 Depth=4
	v_and_b32_sdwa v31, v63, v18 dst_sel:DWORD dst_unused:UNUSED_PAD src0_sel:DWORD src1_sel:BYTE_1
	v_and_b32_e32 v86, 7, v31
	v_bfe_u32 v99, v31, 3, 4
	v_ffbh_u32_e32 v87, v86
	v_cmp_eq_u32_e32 vcc_lo, 0, v99
	v_min_u32_e32 v87, 32, v87
	v_subrev_nc_u32_e32 v98, 28, v87
	v_sub_nc_u32_e32 v87, 29, v87
	v_lshlrev_b32_e32 v31, v98, v31
	v_lshlrev_b32_e32 v98, 16, v18
	v_cndmask_b32_e32 v87, v99, v87, vcc_lo
	v_and_b32_e32 v31, 7, v31
	v_lshl_add_u32 v87, v87, 23, 0x3b800000
	v_cndmask_b32_e32 v31, v86, v31, vcc_lo
	v_and_b32_e32 v86, 0x80000000, v98
	v_lshlrev_b32_e32 v31, 20, v31
	v_or3_b32 v31, v86, v87, v31
.LBB6_1859:                             ;   in Loop: Header=BB6_356 Depth=4
	s_or_b32 exec_lo, exec_lo, s72
	v_max_f32_e32 v31, v31, v31
	v_max_f32_e32 v1, v1, v1
	v_min_f32_e32 v1, v1, v31
.LBB6_1860:                             ;   in Loop: Header=BB6_356 Depth=4
	v_and_b32_e32 v31, 0x7f800000, v1
	v_cmp_ne_u32_e32 vcc_lo, 0x7f800000, v31
	v_mov_b32_e32 v31, 0x8000
	s_and_saveexec_b32 s72, vcc_lo
	s_cbranch_execz .LBB6_1868
; %bb.1861:                             ;   in Loop: Header=BB6_356 Depth=4
	v_mov_b32_e32 v31, 0
	s_mov_b32 s73, exec_lo
	v_cmpx_ne_u32_e32 0, v1
	s_cbranch_execz .LBB6_1867
; %bb.1862:                             ;   in Loop: Header=BB6_356 Depth=4
	v_bfe_u32 v86, v1, 23, 8
	v_and_b32_e32 v31, 0x7fffff, v1
                                        ; implicit-def: $vgpr46
	v_cmp_gt_u32_e64 s16, 0x79, v86
	v_sub_nc_u32_e32 v87, 0x78, v86
	v_cmp_eq_u32_e32 vcc_lo, 0, v86
	v_or_b32_e32 v98, 0x800000, v31
	v_cndmask_b32_e64 v87, 0, v87, s16
	v_cndmask_b32_e32 v31, v98, v31, vcc_lo
	v_cndmask_b32_e64 v87, v87, 0x77, vcc_lo
	v_lshl_add_u32 v98, 0x100000, v87, -1
	v_lshlrev_b32_e64 v99, v87, 0x80000
	v_and_b32_e32 v98, v98, v31
	v_cmp_eq_u32_e64 s16, v98, v99
	v_lshrrev_b32_e32 v99, v87, v31
	v_add_nc_u32_e32 v31, 0xffffff89, v86
	v_lshrrev_b32_e32 v86, 23, v99
	v_cndmask_b32_e64 v31, v31, 0xffffff8a, vcc_lo
	v_xor_b32_e32 v98, 1, v86
	v_bfe_u32 v86, v99, 20, 1
	v_add_nc_u32_e32 v31, v87, v31
	v_add_nc_u32_e32 v86, -1, v86
	v_cndmask_b32_e64 v86, 0, v86, s16
	s_mov_b32 s16, exec_lo
	v_add_nc_u32_e32 v86, v86, v99
	v_and_b32_e32 v86, 0xfffff, v86
	v_add_nc_u32_e32 v99, v86, v99
	v_cmpx_ne_u32_e64 v31, v98
	s_xor_b32 s16, exec_lo, s16
; %bb.1863:                             ;   in Loop: Header=BB6_356 Depth=4
	v_cmp_lt_u32_e32 vcc_lo, 0xffffff, v99
	v_sub_nc_u32_e32 v31, v31, v98
	v_cndmask_b32_e64 v86, 0, 1, vcc_lo
	v_add_co_ci_u32_e64 v46, null, 0, v31, vcc_lo
	v_lshrrev_b32_e32 v99, v86, v99
; %bb.1864:                             ;   in Loop: Header=BB6_356 Depth=4
	s_andn2_saveexec_b32 s16, s16
; %bb.1865:                             ;   in Loop: Header=BB6_356 Depth=4
	v_bfe_u32 v46, v99, 23, 1
; %bb.1866:                             ;   in Loop: Header=BB6_356 Depth=4
	s_or_b32 exec_lo, exec_lo, s16
	v_lshrrev_b32_e32 v31, 20, v99
	v_min_i32_e32 v86, 15, v46
	v_cmp_gt_i32_e32 vcc_lo, 16, v46
	v_and_b32_sdwa v1, v1, v62 dst_sel:DWORD dst_unused:UNUSED_PAD src0_sel:BYTE_3 src1_sel:DWORD
	v_lshlrev_b32_e32 v86, 3, v86
	v_cndmask_b32_e32 v31, 7, v31, vcc_lo
	v_and_b32_e32 v86, 0xf8, v86
	v_or_b32_e32 v87, v46, v31
	v_and_b32_e32 v31, 7, v31
	v_cmp_ne_u32_e32 vcc_lo, 0, v87
	v_or3_b32 v1, v1, v86, v31
	v_lshlrev_b32_e32 v1, 8, v1
	v_cndmask_b32_e32 v31, 0, v1, vcc_lo
.LBB6_1867:                             ;   in Loop: Header=BB6_356 Depth=4
	s_or_b32 exec_lo, exec_lo, s73
.LBB6_1868:                             ;   in Loop: Header=BB6_356 Depth=4
	s_or_b32 exec_lo, exec_lo, s72
	v_and_b32_sdwa v1, v22, v72 dst_sel:DWORD dst_unused:UNUSED_PAD src0_sel:WORD_1 src1_sel:DWORD
	s_andn2_b32 vcc_lo, exec_lo, s63
	s_mov_b32 s72, -1
                                        ; implicit-def: $vgpr98
	v_cmp_lt_i16_e64 s16, 0x7f, v1
	s_cbranch_vccnz .LBB6_1882
; %bb.1869:                             ;   in Loop: Header=BB6_356 Depth=4
	s_mov_b32 s72, 0
	s_and_saveexec_b32 s73, s16
	s_xor_b32 s16, exec_lo, s73
	s_cbranch_execz .LBB6_2994
; %bb.1870:                             ;   in Loop: Header=BB6_356 Depth=4
	s_mov_b32 s72, -1
	s_mov_b32 s73, exec_lo
	v_cmpx_eq_u16_e32 0x80, v1
; %bb.1871:                             ;   in Loop: Header=BB6_356 Depth=4
	s_xor_b32 s72, exec_lo, -1
; %bb.1872:                             ;   in Loop: Header=BB6_356 Depth=4
	s_or_b32 exec_lo, exec_lo, s73
	s_and_b32 s72, s72, exec_lo
	s_or_saveexec_b32 s16, s16
	v_mov_b32_e32 v98, 0x7f800001
	s_xor_b32 exec_lo, exec_lo, s16
	s_cbranch_execnz .LBB6_2995
.LBB6_1873:                             ;   in Loop: Header=BB6_356 Depth=4
	s_or_b32 exec_lo, exec_lo, s16
	s_and_saveexec_b32 s16, s72
	s_cbranch_execz .LBB6_1875
.LBB6_1874:                             ;   in Loop: Header=BB6_356 Depth=4
	v_bfe_u32 v86, v22, 16, 3
	v_bfe_u32 v87, v22, 19, 4
	v_ffbh_u32_e32 v98, v86
	v_cmp_eq_u32_e32 vcc_lo, 0, v87
	v_min_u32_e32 v98, 32, v98
	v_subrev_nc_u32_e32 v99, 28, v98
	v_sub_nc_u32_e32 v98, 29, v98
	v_lshlrev_b32_sdwa v99, v99, v22 dst_sel:DWORD dst_unused:UNUSED_PAD src0_sel:DWORD src1_sel:WORD_1
	v_cndmask_b32_e32 v87, v87, v98, vcc_lo
	v_lshlrev_b32_sdwa v98, v73, v22 dst_sel:DWORD dst_unused:UNUSED_PAD src0_sel:DWORD src1_sel:WORD_1
	v_and_b32_e32 v99, 7, v99
	v_lshl_add_u32 v87, v87, 23, 0x3b800000
	v_and_b32_e32 v98, 0x80000000, v98
	v_cndmask_b32_e32 v86, v86, v99, vcc_lo
	v_lshlrev_b32_e32 v86, 20, v86
	v_or3_b32 v98, v98, v87, v86
.LBB6_1875:                             ;   in Loop: Header=BB6_356 Depth=4
	s_or_b32 exec_lo, exec_lo, s16
	v_and_b32_sdwa v87, v18, v72 dst_sel:DWORD dst_unused:UNUSED_PAD src0_sel:WORD_1 src1_sel:DWORD
	s_mov_b32 s72, 0
	s_mov_b32 s16, exec_lo
	v_cmpx_lt_i16_e32 0x7f, v87
	s_xor_b32 s16, exec_lo, s16
	s_cbranch_execz .LBB6_2996
; %bb.1876:                             ;   in Loop: Header=BB6_356 Depth=4
	s_mov_b32 s72, -1
	s_mov_b32 s73, exec_lo
	v_cmpx_eq_u16_e32 0x80, v87
; %bb.1877:                             ;   in Loop: Header=BB6_356 Depth=4
	s_xor_b32 s72, exec_lo, -1
; %bb.1878:                             ;   in Loop: Header=BB6_356 Depth=4
	s_or_b32 exec_lo, exec_lo, s73
	s_and_b32 s72, s72, exec_lo
                                        ; implicit-def: $vgpr87
	s_or_saveexec_b32 s16, s16
	v_mov_b32_e32 v86, 0x7f800001
	s_xor_b32 exec_lo, exec_lo, s16
	s_cbranch_execnz .LBB6_2997
.LBB6_1879:                             ;   in Loop: Header=BB6_356 Depth=4
	s_or_b32 exec_lo, exec_lo, s16
	s_and_saveexec_b32 s16, s72
	s_cbranch_execz .LBB6_1881
.LBB6_1880:                             ;   in Loop: Header=BB6_356 Depth=4
	v_bfe_u32 v86, v18, 16, 3
	v_bfe_u32 v87, v18, 19, 4
	v_ffbh_u32_e32 v99, v86
	v_cmp_eq_u32_e32 vcc_lo, 0, v87
	v_min_u32_e32 v99, 32, v99
	v_subrev_nc_u32_e32 v46, 28, v99
	v_sub_nc_u32_e32 v99, 29, v99
	v_lshlrev_b32_sdwa v46, v46, v18 dst_sel:DWORD dst_unused:UNUSED_PAD src0_sel:DWORD src1_sel:WORD_1
	v_cndmask_b32_e32 v87, v87, v99, vcc_lo
	v_lshlrev_b32_sdwa v99, v73, v18 dst_sel:DWORD dst_unused:UNUSED_PAD src0_sel:DWORD src1_sel:WORD_1
	v_and_b32_e32 v46, 7, v46
	v_lshl_add_u32 v87, v87, 23, 0x3b800000
	v_and_b32_e32 v99, 0x80000000, v99
	v_cndmask_b32_e32 v86, v86, v46, vcc_lo
	v_lshlrev_b32_e32 v86, 20, v86
	v_or3_b32 v86, v99, v87, v86
.LBB6_1881:                             ;   in Loop: Header=BB6_356 Depth=4
	s_or_b32 exec_lo, exec_lo, s16
	v_max_f32_e32 v86, v86, v86
	v_max_f32_e32 v87, v98, v98
	s_mov_b32 s72, 0
	v_max_f32_e32 v98, v87, v86
.LBB6_1882:                             ;   in Loop: Header=BB6_356 Depth=4
	s_and_b32 vcc_lo, exec_lo, s72
	s_cbranch_vccz .LBB6_1896
; %bb.1883:                             ;   in Loop: Header=BB6_356 Depth=4
	s_mov_b32 s72, 0
	s_mov_b32 s16, exec_lo
	v_cmpx_lt_i16_e32 0x7f, v1
	s_xor_b32 s16, exec_lo, s16
	s_cbranch_execz .LBB6_2998
; %bb.1884:                             ;   in Loop: Header=BB6_356 Depth=4
	s_mov_b32 s72, -1
	s_mov_b32 s73, exec_lo
	v_cmpx_eq_u16_e32 0x80, v1
; %bb.1885:                             ;   in Loop: Header=BB6_356 Depth=4
	s_xor_b32 s72, exec_lo, -1
; %bb.1886:                             ;   in Loop: Header=BB6_356 Depth=4
	s_or_b32 exec_lo, exec_lo, s73
	s_and_b32 s72, s72, exec_lo
                                        ; implicit-def: $vgpr1
	s_or_saveexec_b32 s16, s16
	v_mov_b32_e32 v98, 0x7f800001
	s_xor_b32 exec_lo, exec_lo, s16
	s_cbranch_execnz .LBB6_2999
.LBB6_1887:                             ;   in Loop: Header=BB6_356 Depth=4
	s_or_b32 exec_lo, exec_lo, s16
	s_and_saveexec_b32 s16, s72
	s_cbranch_execz .LBB6_1889
.LBB6_1888:                             ;   in Loop: Header=BB6_356 Depth=4
	v_bfe_u32 v1, v22, 16, 3
	v_bfe_u32 v86, v22, 19, 4
	v_ffbh_u32_e32 v87, v1
	v_cmp_eq_u32_e32 vcc_lo, 0, v86
	v_min_u32_e32 v87, 32, v87
	v_subrev_nc_u32_e32 v98, 28, v87
	v_sub_nc_u32_e32 v87, 29, v87
	v_lshlrev_b32_sdwa v98, v98, v22 dst_sel:DWORD dst_unused:UNUSED_PAD src0_sel:DWORD src1_sel:WORD_1
	v_cndmask_b32_e32 v86, v86, v87, vcc_lo
	v_lshlrev_b32_sdwa v87, v73, v22 dst_sel:DWORD dst_unused:UNUSED_PAD src0_sel:DWORD src1_sel:WORD_1
	v_and_b32_e32 v98, 7, v98
	v_lshl_add_u32 v86, v86, 23, 0x3b800000
	v_and_b32_e32 v87, 0x80000000, v87
	v_cndmask_b32_e32 v1, v1, v98, vcc_lo
	v_lshlrev_b32_e32 v1, 20, v1
	v_or3_b32 v98, v87, v86, v1
.LBB6_1889:                             ;   in Loop: Header=BB6_356 Depth=4
	s_or_b32 exec_lo, exec_lo, s16
	v_and_b32_sdwa v86, v18, v72 dst_sel:DWORD dst_unused:UNUSED_PAD src0_sel:WORD_1 src1_sel:DWORD
	s_mov_b32 s72, 0
	s_mov_b32 s16, exec_lo
	v_cmpx_lt_i16_e32 0x7f, v86
	s_xor_b32 s16, exec_lo, s16
	s_cbranch_execz .LBB6_3000
; %bb.1890:                             ;   in Loop: Header=BB6_356 Depth=4
	s_mov_b32 s72, -1
	s_mov_b32 s73, exec_lo
	v_cmpx_eq_u16_e32 0x80, v86
; %bb.1891:                             ;   in Loop: Header=BB6_356 Depth=4
	s_xor_b32 s72, exec_lo, -1
; %bb.1892:                             ;   in Loop: Header=BB6_356 Depth=4
	s_or_b32 exec_lo, exec_lo, s73
	s_and_b32 s72, s72, exec_lo
                                        ; implicit-def: $vgpr86
	s_or_saveexec_b32 s16, s16
	v_mov_b32_e32 v1, 0x7f800001
	s_xor_b32 exec_lo, exec_lo, s16
	s_cbranch_execnz .LBB6_3001
.LBB6_1893:                             ;   in Loop: Header=BB6_356 Depth=4
	s_or_b32 exec_lo, exec_lo, s16
	s_and_saveexec_b32 s16, s72
	s_cbranch_execz .LBB6_1895
.LBB6_1894:                             ;   in Loop: Header=BB6_356 Depth=4
	v_bfe_u32 v1, v18, 16, 3
	v_bfe_u32 v86, v18, 19, 4
	v_ffbh_u32_e32 v87, v1
	v_cmp_eq_u32_e32 vcc_lo, 0, v86
	v_min_u32_e32 v87, 32, v87
	v_subrev_nc_u32_e32 v99, 28, v87
	v_sub_nc_u32_e32 v87, 29, v87
	v_lshlrev_b32_sdwa v99, v99, v18 dst_sel:DWORD dst_unused:UNUSED_PAD src0_sel:DWORD src1_sel:WORD_1
	v_cndmask_b32_e32 v86, v86, v87, vcc_lo
	v_lshlrev_b32_sdwa v87, v73, v18 dst_sel:DWORD dst_unused:UNUSED_PAD src0_sel:DWORD src1_sel:WORD_1
	v_and_b32_e32 v99, 7, v99
	v_lshl_add_u32 v86, v86, 23, 0x3b800000
	v_and_b32_e32 v87, 0x80000000, v87
	v_cndmask_b32_e32 v1, v1, v99, vcc_lo
	v_lshlrev_b32_e32 v1, 20, v1
	v_or3_b32 v1, v87, v86, v1
.LBB6_1895:                             ;   in Loop: Header=BB6_356 Depth=4
	s_or_b32 exec_lo, exec_lo, s16
	v_max_f32_e32 v1, v1, v1
	v_max_f32_e32 v86, v98, v98
	v_min_f32_e32 v98, v86, v1
.LBB6_1896:                             ;   in Loop: Header=BB6_356 Depth=4
	v_and_b32_e32 v1, 0x7f800000, v98
	v_cmp_ne_u32_e32 vcc_lo, 0x7f800000, v1
	v_mov_b32_e32 v1, 0x80
	s_and_saveexec_b32 s72, vcc_lo
	s_cbranch_execz .LBB6_1904
; %bb.1897:                             ;   in Loop: Header=BB6_356 Depth=4
	v_mov_b32_e32 v1, 0
	s_mov_b32 s73, exec_lo
	v_cmpx_ne_u32_e32 0, v98
	s_cbranch_execz .LBB6_1903
; %bb.1898:                             ;   in Loop: Header=BB6_356 Depth=4
	v_bfe_u32 v86, v98, 23, 8
	v_and_b32_e32 v1, 0x7fffff, v98
                                        ; implicit-def: $vgpr57
	v_cmp_gt_u32_e64 s16, 0x79, v86
	v_sub_nc_u32_e32 v87, 0x78, v86
	v_cmp_eq_u32_e32 vcc_lo, 0, v86
	v_or_b32_e32 v99, 0x800000, v1
	v_cndmask_b32_e64 v87, 0, v87, s16
	v_cndmask_b32_e32 v1, v99, v1, vcc_lo
	v_cndmask_b32_e64 v87, v87, 0x77, vcc_lo
	v_lshl_add_u32 v99, 0x100000, v87, -1
	v_lshlrev_b32_e64 v46, v87, 0x80000
	v_and_b32_e32 v99, v99, v1
	v_cmp_eq_u32_e64 s16, v99, v46
	v_lshrrev_b32_e32 v46, v87, v1
	v_add_nc_u32_e32 v1, 0xffffff89, v86
	v_lshrrev_b32_e32 v86, 23, v46
	v_cndmask_b32_e64 v1, v1, 0xffffff8a, vcc_lo
	v_xor_b32_e32 v99, 1, v86
	v_bfe_u32 v86, v46, 20, 1
	v_add_nc_u32_e32 v1, v87, v1
	v_add_nc_u32_e32 v86, -1, v86
	v_cndmask_b32_e64 v86, 0, v86, s16
	s_mov_b32 s16, exec_lo
	v_add_nc_u32_e32 v86, v86, v46
	v_and_b32_e32 v86, 0xfffff, v86
	v_add_nc_u32_e32 v46, v86, v46
	v_cmpx_ne_u32_e64 v1, v99
	s_xor_b32 s16, exec_lo, s16
; %bb.1899:                             ;   in Loop: Header=BB6_356 Depth=4
	v_cmp_lt_u32_e32 vcc_lo, 0xffffff, v46
	v_sub_nc_u32_e32 v1, v1, v99
	v_cndmask_b32_e64 v86, 0, 1, vcc_lo
	v_add_co_ci_u32_e64 v57, null, 0, v1, vcc_lo
	v_lshrrev_b32_e32 v46, v86, v46
; %bb.1900:                             ;   in Loop: Header=BB6_356 Depth=4
	s_andn2_saveexec_b32 s16, s16
; %bb.1901:                             ;   in Loop: Header=BB6_356 Depth=4
	v_bfe_u32 v57, v46, 23, 1
; %bb.1902:                             ;   in Loop: Header=BB6_356 Depth=4
	s_or_b32 exec_lo, exec_lo, s16
	v_lshrrev_b32_e32 v86, 20, v46
	v_min_i32_e32 v87, 15, v57
	v_cmp_gt_i32_e32 vcc_lo, 16, v57
	v_and_b32_sdwa v1, v98, v62 dst_sel:DWORD dst_unused:UNUSED_PAD src0_sel:BYTE_3 src1_sel:DWORD
	v_lshlrev_b32_e32 v87, 3, v87
	v_cndmask_b32_e32 v86, 7, v86, vcc_lo
	v_and_b32_e32 v87, 0xf8, v87
	v_or_b32_e32 v98, v57, v86
	v_and_b32_e32 v86, 7, v86
	v_cmp_ne_u32_e32 vcc_lo, 0, v98
	v_or3_b32 v1, v87, v1, v86
	v_cndmask_b32_e32 v1, 0, v1, vcc_lo
.LBB6_1903:                             ;   in Loop: Header=BB6_356 Depth=4
	s_or_b32 exec_lo, exec_lo, s73
.LBB6_1904:                             ;   in Loop: Header=BB6_356 Depth=4
	s_or_b32 exec_lo, exec_lo, s72
	v_cmp_gt_i16_sdwa s72, v22, v61 src0_sel:BYTE_3 src1_sel:DWORD
	s_andn2_b32 vcc_lo, exec_lo, s63
	s_mov_b32 s16, -1
                                        ; implicit-def: $vgpr98
	s_cbranch_vccnz .LBB6_1918
; %bb.1905:                             ;   in Loop: Header=BB6_356 Depth=4
	s_mov_b32 s16, 0
	s_and_saveexec_b32 s73, s72
	s_xor_b32 s72, exec_lo, s73
	s_cbranch_execz .LBB6_3002
; %bb.1906:                             ;   in Loop: Header=BB6_356 Depth=4
	v_cmp_eq_u16_sdwa s74, v22, v62 src0_sel:BYTE_3 src1_sel:DWORD
	s_mov_b32 s16, -1
	s_and_saveexec_b32 s73, s74
; %bb.1907:                             ;   in Loop: Header=BB6_356 Depth=4
	s_xor_b32 s16, exec_lo, -1
; %bb.1908:                             ;   in Loop: Header=BB6_356 Depth=4
	s_or_b32 exec_lo, exec_lo, s73
	s_and_b32 s16, s16, exec_lo
	s_or_saveexec_b32 s72, s72
	v_mov_b32_e32 v98, 0x7f800001
	s_xor_b32 exec_lo, exec_lo, s72
	s_cbranch_execnz .LBB6_3003
.LBB6_1909:                             ;   in Loop: Header=BB6_356 Depth=4
	s_or_b32 exec_lo, exec_lo, s72
	s_and_saveexec_b32 s72, s16
	s_cbranch_execz .LBB6_1911
.LBB6_1910:                             ;   in Loop: Header=BB6_356 Depth=4
	v_bfe_u32 v86, v22, 24, 3
	v_bfe_u32 v99, v22, 27, 4
	v_ffbh_u32_e32 v87, v86
	v_cmp_eq_u32_e32 vcc_lo, 0, v99
	v_min_u32_e32 v87, 32, v87
	v_subrev_nc_u32_e32 v98, 28, v87
	v_sub_nc_u32_e32 v87, 29, v87
	v_lshlrev_b32_sdwa v98, v98, v22 dst_sel:DWORD dst_unused:UNUSED_PAD src0_sel:DWORD src1_sel:BYTE_3
	v_cndmask_b32_e32 v87, v99, v87, vcc_lo
	v_and_b32_e32 v98, 7, v98
	v_lshl_add_u32 v87, v87, 23, 0x3b800000
	v_cndmask_b32_e32 v86, v86, v98, vcc_lo
	v_and_b32_e32 v98, 0x80000000, v22
	v_lshlrev_b32_e32 v86, 20, v86
	v_or3_b32 v98, v98, v87, v86
.LBB6_1911:                             ;   in Loop: Header=BB6_356 Depth=4
	s_or_b32 exec_lo, exec_lo, s72
	v_cmp_gt_i16_sdwa s72, v18, v61 src0_sel:BYTE_3 src1_sel:DWORD
	s_mov_b32 s16, 0
	s_and_saveexec_b32 s73, s72
	s_xor_b32 s72, exec_lo, s73
	s_cbranch_execz .LBB6_3004
; %bb.1912:                             ;   in Loop: Header=BB6_356 Depth=4
	v_cmp_eq_u16_sdwa s74, v18, v62 src0_sel:BYTE_3 src1_sel:DWORD
	s_mov_b32 s16, -1
	s_and_saveexec_b32 s73, s74
; %bb.1913:                             ;   in Loop: Header=BB6_356 Depth=4
	s_xor_b32 s16, exec_lo, -1
; %bb.1914:                             ;   in Loop: Header=BB6_356 Depth=4
	s_or_b32 exec_lo, exec_lo, s73
	s_and_b32 s16, s16, exec_lo
	s_or_saveexec_b32 s72, s72
	v_mov_b32_e32 v86, 0x7f800001
	s_xor_b32 exec_lo, exec_lo, s72
	s_cbranch_execnz .LBB6_3005
.LBB6_1915:                             ;   in Loop: Header=BB6_356 Depth=4
	s_or_b32 exec_lo, exec_lo, s72
	s_and_saveexec_b32 s72, s16
	s_cbranch_execz .LBB6_1917
.LBB6_1916:                             ;   in Loop: Header=BB6_356 Depth=4
	v_bfe_u32 v86, v18, 24, 3
	v_bfe_u32 v46, v18, 27, 4
	v_ffbh_u32_e32 v87, v86
	v_cmp_eq_u32_e32 vcc_lo, 0, v46
	v_min_u32_e32 v87, 32, v87
	v_subrev_nc_u32_e32 v99, 28, v87
	v_sub_nc_u32_e32 v87, 29, v87
	v_lshlrev_b32_sdwa v99, v99, v18 dst_sel:DWORD dst_unused:UNUSED_PAD src0_sel:DWORD src1_sel:BYTE_3
	v_cndmask_b32_e32 v87, v46, v87, vcc_lo
	v_and_b32_e32 v99, 7, v99
	v_lshl_add_u32 v87, v87, 23, 0x3b800000
	v_cndmask_b32_e32 v86, v86, v99, vcc_lo
	v_and_b32_e32 v99, 0x80000000, v18
	v_lshlrev_b32_e32 v86, 20, v86
	v_or3_b32 v86, v99, v87, v86
.LBB6_1917:                             ;   in Loop: Header=BB6_356 Depth=4
	s_or_b32 exec_lo, exec_lo, s72
	v_max_f32_e32 v86, v86, v86
	v_max_f32_e32 v87, v98, v98
	s_mov_b32 s16, 0
	v_max_f32_e32 v98, v87, v86
.LBB6_1918:                             ;   in Loop: Header=BB6_356 Depth=4
	s_and_b32 vcc_lo, exec_lo, s16
	s_cbranch_vccz .LBB6_1932
; %bb.1919:                             ;   in Loop: Header=BB6_356 Depth=4
	v_cmp_gt_i16_sdwa s72, v22, v61 src0_sel:BYTE_3 src1_sel:DWORD
	s_mov_b32 s16, 0
	s_and_saveexec_b32 s73, s72
	s_xor_b32 s72, exec_lo, s73
	s_cbranch_execz .LBB6_3006
; %bb.1920:                             ;   in Loop: Header=BB6_356 Depth=4
	v_cmp_eq_u16_sdwa s74, v22, v62 src0_sel:BYTE_3 src1_sel:DWORD
	s_mov_b32 s16, -1
	s_and_saveexec_b32 s73, s74
; %bb.1921:                             ;   in Loop: Header=BB6_356 Depth=4
	s_xor_b32 s16, exec_lo, -1
; %bb.1922:                             ;   in Loop: Header=BB6_356 Depth=4
	s_or_b32 exec_lo, exec_lo, s73
	s_and_b32 s16, s16, exec_lo
	s_or_saveexec_b32 s72, s72
	v_mov_b32_e32 v98, 0x7f800001
	s_xor_b32 exec_lo, exec_lo, s72
	s_cbranch_execnz .LBB6_3007
.LBB6_1923:                             ;   in Loop: Header=BB6_356 Depth=4
	s_or_b32 exec_lo, exec_lo, s72
	s_and_saveexec_b32 s72, s16
	s_cbranch_execz .LBB6_1925
.LBB6_1924:                             ;   in Loop: Header=BB6_356 Depth=4
	v_bfe_u32 v86, v22, 24, 3
	v_bfe_u32 v99, v22, 27, 4
	v_ffbh_u32_e32 v87, v86
	v_cmp_eq_u32_e32 vcc_lo, 0, v99
	v_min_u32_e32 v87, 32, v87
	v_subrev_nc_u32_e32 v98, 28, v87
	v_sub_nc_u32_e32 v87, 29, v87
	v_lshlrev_b32_sdwa v98, v98, v22 dst_sel:DWORD dst_unused:UNUSED_PAD src0_sel:DWORD src1_sel:BYTE_3
	v_cndmask_b32_e32 v87, v99, v87, vcc_lo
	v_and_b32_e32 v22, 0x80000000, v22
	v_and_b32_e32 v98, 7, v98
	v_lshl_add_u32 v87, v87, 23, 0x3b800000
	v_cndmask_b32_e32 v86, v86, v98, vcc_lo
	v_lshlrev_b32_e32 v86, 20, v86
	v_or3_b32 v98, v22, v87, v86
.LBB6_1925:                             ;   in Loop: Header=BB6_356 Depth=4
	s_or_b32 exec_lo, exec_lo, s72
	v_cmp_gt_i16_sdwa s72, v18, v61 src0_sel:BYTE_3 src1_sel:DWORD
	s_mov_b32 s16, 0
	s_and_saveexec_b32 s73, s72
	s_xor_b32 s72, exec_lo, s73
	s_cbranch_execz .LBB6_3008
; %bb.1926:                             ;   in Loop: Header=BB6_356 Depth=4
	v_cmp_eq_u16_sdwa s74, v18, v62 src0_sel:BYTE_3 src1_sel:DWORD
	s_mov_b32 s16, -1
	s_and_saveexec_b32 s73, s74
; %bb.1927:                             ;   in Loop: Header=BB6_356 Depth=4
	s_xor_b32 s16, exec_lo, -1
; %bb.1928:                             ;   in Loop: Header=BB6_356 Depth=4
	s_or_b32 exec_lo, exec_lo, s73
	s_and_b32 s16, s16, exec_lo
	s_or_saveexec_b32 s72, s72
	v_mov_b32_e32 v22, 0x7f800001
	s_xor_b32 exec_lo, exec_lo, s72
	s_cbranch_execnz .LBB6_3009
.LBB6_1929:                             ;   in Loop: Header=BB6_356 Depth=4
	s_or_b32 exec_lo, exec_lo, s72
	s_and_saveexec_b32 s72, s16
	s_cbranch_execz .LBB6_1931
.LBB6_1930:                             ;   in Loop: Header=BB6_356 Depth=4
	v_bfe_u32 v22, v18, 24, 3
	v_bfe_u32 v99, v18, 27, 4
	v_ffbh_u32_e32 v86, v22
	v_cmp_eq_u32_e32 vcc_lo, 0, v99
	v_min_u32_e32 v86, 32, v86
	v_subrev_nc_u32_e32 v87, 28, v86
	v_sub_nc_u32_e32 v86, 29, v86
	v_lshlrev_b32_sdwa v87, v87, v18 dst_sel:DWORD dst_unused:UNUSED_PAD src0_sel:DWORD src1_sel:BYTE_3
	v_cndmask_b32_e32 v86, v99, v86, vcc_lo
	v_and_b32_e32 v18, 0x80000000, v18
	v_and_b32_e32 v87, 7, v87
	v_lshl_add_u32 v86, v86, 23, 0x3b800000
	v_cndmask_b32_e32 v22, v22, v87, vcc_lo
	v_lshlrev_b32_e32 v22, 20, v22
	v_or3_b32 v22, v18, v86, v22
.LBB6_1931:                             ;   in Loop: Header=BB6_356 Depth=4
	s_or_b32 exec_lo, exec_lo, s72
	v_max_f32_e32 v18, v22, v22
	v_max_f32_e32 v22, v98, v98
	v_min_f32_e32 v98, v22, v18
.LBB6_1932:                             ;   in Loop: Header=BB6_356 Depth=4
	v_and_b32_e32 v18, 0x7f800000, v98
	v_cmp_ne_u32_e32 vcc_lo, 0x7f800000, v18
	v_mov_b32_e32 v18, 0x8000
	s_and_saveexec_b32 s72, vcc_lo
	s_cbranch_execz .LBB6_1940
; %bb.1933:                             ;   in Loop: Header=BB6_356 Depth=4
	v_mov_b32_e32 v18, 0
	s_mov_b32 s73, exec_lo
	v_cmpx_ne_u32_e32 0, v98
	s_cbranch_execz .LBB6_1939
; %bb.1934:                             ;   in Loop: Header=BB6_356 Depth=4
	v_bfe_u32 v22, v98, 23, 8
	v_and_b32_e32 v18, 0x7fffff, v98
                                        ; implicit-def: $vgpr46
	v_cmp_gt_u32_e64 s16, 0x79, v22
	v_sub_nc_u32_e32 v86, 0x78, v22
	v_cmp_eq_u32_e32 vcc_lo, 0, v22
	v_or_b32_e32 v87, 0x800000, v18
	v_cndmask_b32_e64 v86, 0, v86, s16
	v_cndmask_b32_e32 v18, v87, v18, vcc_lo
	v_cndmask_b32_e64 v86, v86, 0x77, vcc_lo
	v_lshl_add_u32 v87, 0x100000, v86, -1
	v_lshlrev_b32_e64 v99, v86, 0x80000
	v_and_b32_e32 v87, v87, v18
	v_cmp_eq_u32_e64 s16, v87, v99
	v_lshrrev_b32_e32 v87, v86, v18
	v_add_nc_u32_e32 v18, 0xffffff89, v22
	v_lshrrev_b32_e32 v22, 23, v87
	v_cndmask_b32_e64 v18, v18, 0xffffff8a, vcc_lo
	v_xor_b32_e32 v22, 1, v22
	v_add_nc_u32_e32 v18, v86, v18
	v_bfe_u32 v86, v87, 20, 1
	v_add_nc_u32_e32 v86, -1, v86
	v_cndmask_b32_e64 v86, 0, v86, s16
	s_mov_b32 s16, exec_lo
	v_add_nc_u32_e32 v86, v86, v87
	v_and_b32_e32 v86, 0xfffff, v86
	v_add_nc_u32_e32 v99, v86, v87
	v_cmpx_ne_u32_e64 v18, v22
	s_xor_b32 s16, exec_lo, s16
; %bb.1935:                             ;   in Loop: Header=BB6_356 Depth=4
	v_cmp_lt_u32_e32 vcc_lo, 0xffffff, v99
	v_sub_nc_u32_e32 v18, v18, v22
	v_cndmask_b32_e64 v22, 0, 1, vcc_lo
	v_add_co_ci_u32_e64 v46, null, 0, v18, vcc_lo
	v_lshrrev_b32_e32 v99, v22, v99
; %bb.1936:                             ;   in Loop: Header=BB6_356 Depth=4
	s_andn2_saveexec_b32 s16, s16
; %bb.1937:                             ;   in Loop: Header=BB6_356 Depth=4
	v_bfe_u32 v46, v99, 23, 1
; %bb.1938:                             ;   in Loop: Header=BB6_356 Depth=4
	s_or_b32 exec_lo, exec_lo, s16
	v_lshrrev_b32_e32 v22, 20, v99
	v_min_i32_e32 v86, 15, v46
	v_cmp_gt_i32_e32 vcc_lo, 16, v46
	v_and_b32_sdwa v18, v98, v62 dst_sel:DWORD dst_unused:UNUSED_PAD src0_sel:BYTE_3 src1_sel:DWORD
	v_lshlrev_b32_e32 v86, 3, v86
	v_cndmask_b32_e32 v22, 7, v22, vcc_lo
	v_and_b32_e32 v86, 0xf8, v86
	v_or_b32_e32 v87, v46, v22
	v_and_b32_e32 v22, 7, v22
	v_cmp_ne_u32_e32 vcc_lo, 0, v87
	v_or3_b32 v18, v18, v86, v22
	v_lshlrev_b32_e32 v18, 8, v18
	v_cndmask_b32_e32 v18, 0, v18, vcc_lo
.LBB6_1939:                             ;   in Loop: Header=BB6_356 Depth=4
	s_or_b32 exec_lo, exec_lo, s73
.LBB6_1940:                             ;   in Loop: Header=BB6_356 Depth=4
	s_or_b32 exec_lo, exec_lo, s72
	v_cmp_gt_i16_sdwa s73, v23, v61 src0_sel:BYTE_0 src1_sel:DWORD
	s_andn2_b32 vcc_lo, exec_lo, s63
	s_mov_b32 s16, -1
                                        ; implicit-def: $vgpr98
	s_cbranch_vccnz .LBB6_1954
; %bb.1941:                             ;   in Loop: Header=BB6_356 Depth=4
	s_mov_b32 s72, 0
	s_and_saveexec_b32 s16, s73
	s_xor_b32 s16, exec_lo, s16
	s_cbranch_execz .LBB6_3010
; %bb.1942:                             ;   in Loop: Header=BB6_356 Depth=4
	v_cmp_eq_u16_sdwa s74, v23, v62 src0_sel:BYTE_0 src1_sel:DWORD
	s_mov_b32 s72, -1
	s_and_saveexec_b32 s73, s74
; %bb.1943:                             ;   in Loop: Header=BB6_356 Depth=4
	s_xor_b32 s72, exec_lo, -1
; %bb.1944:                             ;   in Loop: Header=BB6_356 Depth=4
	s_or_b32 exec_lo, exec_lo, s73
	s_and_b32 s72, s72, exec_lo
	s_or_saveexec_b32 s16, s16
	v_mov_b32_e32 v22, 0x7f800001
	s_xor_b32 exec_lo, exec_lo, s16
	s_cbranch_execnz .LBB6_3011
.LBB6_1945:                             ;   in Loop: Header=BB6_356 Depth=4
	s_or_b32 exec_lo, exec_lo, s16
	s_and_saveexec_b32 s16, s72
	s_cbranch_execz .LBB6_1947
.LBB6_1946:                             ;   in Loop: Header=BB6_356 Depth=4
	v_and_b32_e32 v22, 7, v23
	v_bfe_u32 v86, v23, 3, 4
	v_ffbh_u32_e32 v87, v22
	v_cmp_eq_u32_e32 vcc_lo, 0, v86
	v_min_u32_e32 v87, 32, v87
	v_subrev_nc_u32_e32 v98, 28, v87
	v_sub_nc_u32_e32 v87, 29, v87
	v_lshlrev_b32_e32 v98, v98, v23
	v_cndmask_b32_e32 v86, v86, v87, vcc_lo
	v_lshlrev_b32_e32 v87, 24, v23
	v_and_b32_e32 v98, 7, v98
	v_lshl_add_u32 v86, v86, 23, 0x3b800000
	v_and_b32_e32 v87, 0x80000000, v87
	v_cndmask_b32_e32 v22, v22, v98, vcc_lo
	v_lshlrev_b32_e32 v22, 20, v22
	v_or3_b32 v22, v87, v86, v22
.LBB6_1947:                             ;   in Loop: Header=BB6_356 Depth=4
	s_or_b32 exec_lo, exec_lo, s16
	v_cmp_gt_i16_sdwa s16, v19, v61 src0_sel:BYTE_0 src1_sel:DWORD
	s_mov_b32 s72, 0
	s_and_saveexec_b32 s73, s16
	s_xor_b32 s16, exec_lo, s73
	s_cbranch_execz .LBB6_3012
; %bb.1948:                             ;   in Loop: Header=BB6_356 Depth=4
	v_cmp_eq_u16_sdwa s74, v19, v62 src0_sel:BYTE_0 src1_sel:DWORD
	s_mov_b32 s72, -1
	s_and_saveexec_b32 s73, s74
; %bb.1949:                             ;   in Loop: Header=BB6_356 Depth=4
	s_xor_b32 s72, exec_lo, -1
; %bb.1950:                             ;   in Loop: Header=BB6_356 Depth=4
	s_or_b32 exec_lo, exec_lo, s73
	s_and_b32 s72, s72, exec_lo
	s_or_saveexec_b32 s16, s16
	v_mov_b32_e32 v86, 0x7f800001
	s_xor_b32 exec_lo, exec_lo, s16
	s_cbranch_execnz .LBB6_3013
.LBB6_1951:                             ;   in Loop: Header=BB6_356 Depth=4
	s_or_b32 exec_lo, exec_lo, s16
	s_and_saveexec_b32 s16, s72
	s_cbranch_execz .LBB6_1953
.LBB6_1952:                             ;   in Loop: Header=BB6_356 Depth=4
	v_and_b32_e32 v86, 7, v19
	v_bfe_u32 v87, v19, 3, 4
	v_ffbh_u32_e32 v98, v86
	v_cmp_eq_u32_e32 vcc_lo, 0, v87
	v_min_u32_e32 v98, 32, v98
	v_subrev_nc_u32_e32 v99, 28, v98
	v_sub_nc_u32_e32 v98, 29, v98
	v_lshlrev_b32_e32 v99, v99, v19
	v_cndmask_b32_e32 v87, v87, v98, vcc_lo
	v_lshlrev_b32_e32 v98, 24, v19
	v_and_b32_e32 v99, 7, v99
	v_lshl_add_u32 v87, v87, 23, 0x3b800000
	v_and_b32_e32 v98, 0x80000000, v98
	v_cndmask_b32_e32 v86, v86, v99, vcc_lo
	v_lshlrev_b32_e32 v86, 20, v86
	v_or3_b32 v86, v98, v87, v86
.LBB6_1953:                             ;   in Loop: Header=BB6_356 Depth=4
	s_or_b32 exec_lo, exec_lo, s16
	v_max_f32_e32 v86, v86, v86
	v_max_f32_e32 v22, v22, v22
	s_mov_b32 s16, 0
	v_max_f32_e32 v98, v22, v86
.LBB6_1954:                             ;   in Loop: Header=BB6_356 Depth=4
	s_and_b32 vcc_lo, exec_lo, s16
	s_cbranch_vccz .LBB6_1968
; %bb.1955:                             ;   in Loop: Header=BB6_356 Depth=4
	v_cmp_gt_i16_sdwa s16, v23, v61 src0_sel:BYTE_0 src1_sel:DWORD
	s_mov_b32 s72, 0
	s_and_saveexec_b32 s73, s16
	s_xor_b32 s16, exec_lo, s73
	s_cbranch_execz .LBB6_3014
; %bb.1956:                             ;   in Loop: Header=BB6_356 Depth=4
	v_cmp_eq_u16_sdwa s74, v23, v62 src0_sel:BYTE_0 src1_sel:DWORD
	s_mov_b32 s72, -1
	s_and_saveexec_b32 s73, s74
; %bb.1957:                             ;   in Loop: Header=BB6_356 Depth=4
	s_xor_b32 s72, exec_lo, -1
; %bb.1958:                             ;   in Loop: Header=BB6_356 Depth=4
	s_or_b32 exec_lo, exec_lo, s73
	s_and_b32 s72, s72, exec_lo
	s_or_saveexec_b32 s16, s16
	v_mov_b32_e32 v22, 0x7f800001
	s_xor_b32 exec_lo, exec_lo, s16
	s_cbranch_execnz .LBB6_3015
.LBB6_1959:                             ;   in Loop: Header=BB6_356 Depth=4
	s_or_b32 exec_lo, exec_lo, s16
	s_and_saveexec_b32 s16, s72
	s_cbranch_execz .LBB6_1961
.LBB6_1960:                             ;   in Loop: Header=BB6_356 Depth=4
	v_and_b32_e32 v22, 7, v23
	v_bfe_u32 v86, v23, 3, 4
	v_ffbh_u32_e32 v87, v22
	v_cmp_eq_u32_e32 vcc_lo, 0, v86
	v_min_u32_e32 v87, 32, v87
	v_subrev_nc_u32_e32 v98, 28, v87
	v_sub_nc_u32_e32 v87, 29, v87
	v_lshlrev_b32_e32 v98, v98, v23
	v_cndmask_b32_e32 v86, v86, v87, vcc_lo
	v_lshlrev_b32_e32 v87, 24, v23
	v_and_b32_e32 v98, 7, v98
	v_lshl_add_u32 v86, v86, 23, 0x3b800000
	v_and_b32_e32 v87, 0x80000000, v87
	v_cndmask_b32_e32 v22, v22, v98, vcc_lo
	v_lshlrev_b32_e32 v22, 20, v22
	v_or3_b32 v22, v87, v86, v22
.LBB6_1961:                             ;   in Loop: Header=BB6_356 Depth=4
	s_or_b32 exec_lo, exec_lo, s16
	v_cmp_gt_i16_sdwa s16, v19, v61 src0_sel:BYTE_0 src1_sel:DWORD
	s_mov_b32 s72, 0
	s_and_saveexec_b32 s73, s16
	s_xor_b32 s16, exec_lo, s73
	s_cbranch_execz .LBB6_3016
; %bb.1962:                             ;   in Loop: Header=BB6_356 Depth=4
	v_cmp_eq_u16_sdwa s74, v19, v62 src0_sel:BYTE_0 src1_sel:DWORD
	s_mov_b32 s72, -1
	s_and_saveexec_b32 s73, s74
; %bb.1963:                             ;   in Loop: Header=BB6_356 Depth=4
	s_xor_b32 s72, exec_lo, -1
; %bb.1964:                             ;   in Loop: Header=BB6_356 Depth=4
	s_or_b32 exec_lo, exec_lo, s73
	s_and_b32 s72, s72, exec_lo
	s_or_saveexec_b32 s16, s16
	v_mov_b32_e32 v86, 0x7f800001
	s_xor_b32 exec_lo, exec_lo, s16
	s_cbranch_execnz .LBB6_3017
.LBB6_1965:                             ;   in Loop: Header=BB6_356 Depth=4
	s_or_b32 exec_lo, exec_lo, s16
	s_and_saveexec_b32 s16, s72
	s_cbranch_execz .LBB6_1967
.LBB6_1966:                             ;   in Loop: Header=BB6_356 Depth=4
	v_and_b32_e32 v86, 7, v19
	v_bfe_u32 v87, v19, 3, 4
	v_ffbh_u32_e32 v98, v86
	v_cmp_eq_u32_e32 vcc_lo, 0, v87
	v_min_u32_e32 v98, 32, v98
	v_subrev_nc_u32_e32 v99, 28, v98
	v_sub_nc_u32_e32 v98, 29, v98
	v_lshlrev_b32_e32 v99, v99, v19
	v_cndmask_b32_e32 v87, v87, v98, vcc_lo
	v_lshlrev_b32_e32 v98, 24, v19
	v_and_b32_e32 v99, 7, v99
	v_lshl_add_u32 v87, v87, 23, 0x3b800000
	v_and_b32_e32 v98, 0x80000000, v98
	v_cndmask_b32_e32 v86, v86, v99, vcc_lo
	v_lshlrev_b32_e32 v86, 20, v86
	v_or3_b32 v86, v98, v87, v86
.LBB6_1967:                             ;   in Loop: Header=BB6_356 Depth=4
	s_or_b32 exec_lo, exec_lo, s16
	v_max_f32_e32 v86, v86, v86
	v_max_f32_e32 v22, v22, v22
	v_min_f32_e32 v98, v22, v86
.LBB6_1968:                             ;   in Loop: Header=BB6_356 Depth=4
	v_and_b32_e32 v22, 0x7f800000, v98
	v_cmp_ne_u32_e32 vcc_lo, 0x7f800000, v22
	v_mov_b32_e32 v22, 0x80
	s_and_saveexec_b32 s72, vcc_lo
	s_cbranch_execz .LBB6_1976
; %bb.1969:                             ;   in Loop: Header=BB6_356 Depth=4
	v_mov_b32_e32 v22, 0
	s_mov_b32 s73, exec_lo
	v_cmpx_ne_u32_e32 0, v98
	s_cbranch_execz .LBB6_1975
; %bb.1970:                             ;   in Loop: Header=BB6_356 Depth=4
	v_bfe_u32 v86, v98, 23, 8
	v_and_b32_e32 v22, 0x7fffff, v98
                                        ; implicit-def: $vgpr57
	v_cmp_gt_u32_e64 s16, 0x79, v86
	v_sub_nc_u32_e32 v87, 0x78, v86
	v_cmp_eq_u32_e32 vcc_lo, 0, v86
	v_or_b32_e32 v99, 0x800000, v22
	v_cndmask_b32_e64 v87, 0, v87, s16
	v_cndmask_b32_e32 v22, v99, v22, vcc_lo
	v_cndmask_b32_e64 v87, v87, 0x77, vcc_lo
	v_lshl_add_u32 v99, 0x100000, v87, -1
	v_lshlrev_b32_e64 v46, v87, 0x80000
	v_and_b32_e32 v99, v99, v22
	v_cmp_eq_u32_e64 s16, v99, v46
	v_lshrrev_b32_e32 v46, v87, v22
	v_add_nc_u32_e32 v22, 0xffffff89, v86
	v_lshrrev_b32_e32 v86, 23, v46
	v_cndmask_b32_e64 v22, v22, 0xffffff8a, vcc_lo
	v_xor_b32_e32 v99, 1, v86
	v_bfe_u32 v86, v46, 20, 1
	v_add_nc_u32_e32 v22, v87, v22
	v_add_nc_u32_e32 v86, -1, v86
	v_cndmask_b32_e64 v86, 0, v86, s16
	s_mov_b32 s16, exec_lo
	v_add_nc_u32_e32 v86, v86, v46
	v_and_b32_e32 v86, 0xfffff, v86
	v_add_nc_u32_e32 v46, v86, v46
	v_cmpx_ne_u32_e64 v22, v99
	s_xor_b32 s16, exec_lo, s16
; %bb.1971:                             ;   in Loop: Header=BB6_356 Depth=4
	v_cmp_lt_u32_e32 vcc_lo, 0xffffff, v46
	v_sub_nc_u32_e32 v22, v22, v99
	v_cndmask_b32_e64 v86, 0, 1, vcc_lo
	v_add_co_ci_u32_e64 v57, null, 0, v22, vcc_lo
	v_lshrrev_b32_e32 v46, v86, v46
; %bb.1972:                             ;   in Loop: Header=BB6_356 Depth=4
	s_andn2_saveexec_b32 s16, s16
; %bb.1973:                             ;   in Loop: Header=BB6_356 Depth=4
	v_bfe_u32 v57, v46, 23, 1
; %bb.1974:                             ;   in Loop: Header=BB6_356 Depth=4
	s_or_b32 exec_lo, exec_lo, s16
	v_lshrrev_b32_e32 v86, 20, v46
	v_min_i32_e32 v87, 15, v57
	v_cmp_gt_i32_e32 vcc_lo, 16, v57
	v_and_b32_sdwa v22, v98, v62 dst_sel:DWORD dst_unused:UNUSED_PAD src0_sel:BYTE_3 src1_sel:DWORD
	v_lshlrev_b32_e32 v87, 3, v87
	v_cndmask_b32_e32 v86, 7, v86, vcc_lo
	v_and_b32_e32 v87, 0xf8, v87
	v_or_b32_e32 v98, v57, v86
	v_and_b32_e32 v86, 7, v86
	v_cmp_ne_u32_e32 vcc_lo, 0, v98
	v_or3_b32 v22, v87, v22, v86
	v_cndmask_b32_e32 v22, 0, v22, vcc_lo
.LBB6_1975:                             ;   in Loop: Header=BB6_356 Depth=4
	s_or_b32 exec_lo, exec_lo, s73
.LBB6_1976:                             ;   in Loop: Header=BB6_356 Depth=4
	s_or_b32 exec_lo, exec_lo, s72
	v_cmp_gt_i16_sdwa s72, v23, v61 src0_sel:BYTE_1 src1_sel:DWORD
	s_andn2_b32 vcc_lo, exec_lo, s63
	s_mov_b32 s16, -1
                                        ; implicit-def: $vgpr98
	s_cbranch_vccnz .LBB6_1990
; %bb.1977:                             ;   in Loop: Header=BB6_356 Depth=4
	s_mov_b32 s16, 0
	s_and_saveexec_b32 s73, s72
	s_xor_b32 s72, exec_lo, s73
	s_cbranch_execz .LBB6_3018
; %bb.1978:                             ;   in Loop: Header=BB6_356 Depth=4
	v_cmp_eq_u16_sdwa s74, v23, v62 src0_sel:BYTE_1 src1_sel:DWORD
	s_mov_b32 s16, -1
	s_and_saveexec_b32 s73, s74
; %bb.1979:                             ;   in Loop: Header=BB6_356 Depth=4
	s_xor_b32 s16, exec_lo, -1
; %bb.1980:                             ;   in Loop: Header=BB6_356 Depth=4
	s_or_b32 exec_lo, exec_lo, s73
	s_and_b32 s16, s16, exec_lo
	s_or_saveexec_b32 s72, s72
	v_mov_b32_e32 v98, 0x7f800001
	s_xor_b32 exec_lo, exec_lo, s72
	s_cbranch_execnz .LBB6_3019
.LBB6_1981:                             ;   in Loop: Header=BB6_356 Depth=4
	s_or_b32 exec_lo, exec_lo, s72
	s_and_saveexec_b32 s72, s16
	s_cbranch_execz .LBB6_1983
.LBB6_1982:                             ;   in Loop: Header=BB6_356 Depth=4
	v_and_b32_sdwa v86, v63, v23 dst_sel:DWORD dst_unused:UNUSED_PAD src0_sel:DWORD src1_sel:BYTE_1
	v_and_b32_e32 v87, 7, v86
	v_bfe_u32 v46, v86, 3, 4
	v_ffbh_u32_e32 v98, v87
	v_cmp_eq_u32_e32 vcc_lo, 0, v46
	v_min_u32_e32 v98, 32, v98
	v_subrev_nc_u32_e32 v99, 28, v98
	v_sub_nc_u32_e32 v98, 29, v98
	v_lshlrev_b32_e32 v86, v99, v86
	v_lshlrev_b32_e32 v99, 16, v23
	v_cndmask_b32_e32 v98, v46, v98, vcc_lo
	v_and_b32_e32 v86, 7, v86
	v_lshl_add_u32 v98, v98, 23, 0x3b800000
	v_cndmask_b32_e32 v86, v87, v86, vcc_lo
	v_and_b32_e32 v87, 0x80000000, v99
	v_lshlrev_b32_e32 v86, 20, v86
	v_or3_b32 v98, v87, v98, v86
.LBB6_1983:                             ;   in Loop: Header=BB6_356 Depth=4
	s_or_b32 exec_lo, exec_lo, s72
	v_cmp_gt_i16_sdwa s72, v19, v61 src0_sel:BYTE_1 src1_sel:DWORD
	s_mov_b32 s16, 0
	s_and_saveexec_b32 s73, s72
	s_xor_b32 s72, exec_lo, s73
	s_cbranch_execz .LBB6_3020
; %bb.1984:                             ;   in Loop: Header=BB6_356 Depth=4
	v_cmp_eq_u16_sdwa s74, v19, v62 src0_sel:BYTE_1 src1_sel:DWORD
	s_mov_b32 s16, -1
	s_and_saveexec_b32 s73, s74
; %bb.1985:                             ;   in Loop: Header=BB6_356 Depth=4
	s_xor_b32 s16, exec_lo, -1
; %bb.1986:                             ;   in Loop: Header=BB6_356 Depth=4
	s_or_b32 exec_lo, exec_lo, s73
	s_and_b32 s16, s16, exec_lo
	s_or_saveexec_b32 s72, s72
	v_mov_b32_e32 v86, 0x7f800001
	s_xor_b32 exec_lo, exec_lo, s72
	s_cbranch_execnz .LBB6_3021
.LBB6_1987:                             ;   in Loop: Header=BB6_356 Depth=4
	s_or_b32 exec_lo, exec_lo, s72
	s_and_saveexec_b32 s72, s16
	s_cbranch_execz .LBB6_1989
.LBB6_1988:                             ;   in Loop: Header=BB6_356 Depth=4
	v_and_b32_sdwa v86, v63, v19 dst_sel:DWORD dst_unused:UNUSED_PAD src0_sel:DWORD src1_sel:BYTE_1
	v_and_b32_e32 v87, 7, v86
	v_bfe_u32 v57, v86, 3, 4
	v_ffbh_u32_e32 v99, v87
	v_cmp_eq_u32_e32 vcc_lo, 0, v57
	v_min_u32_e32 v99, 32, v99
	v_subrev_nc_u32_e32 v46, 28, v99
	v_sub_nc_u32_e32 v99, 29, v99
	v_lshlrev_b32_e32 v86, v46, v86
	v_lshlrev_b32_e32 v46, 16, v19
	v_cndmask_b32_e32 v99, v57, v99, vcc_lo
	v_and_b32_e32 v86, 7, v86
	v_lshl_add_u32 v99, v99, 23, 0x3b800000
	v_cndmask_b32_e32 v86, v87, v86, vcc_lo
	v_and_b32_e32 v87, 0x80000000, v46
	v_lshlrev_b32_e32 v86, 20, v86
	v_or3_b32 v86, v87, v99, v86
.LBB6_1989:                             ;   in Loop: Header=BB6_356 Depth=4
	s_or_b32 exec_lo, exec_lo, s72
	v_max_f32_e32 v86, v86, v86
	v_max_f32_e32 v87, v98, v98
	s_mov_b32 s16, 0
	v_max_f32_e32 v98, v87, v86
.LBB6_1990:                             ;   in Loop: Header=BB6_356 Depth=4
	s_and_b32 vcc_lo, exec_lo, s16
	s_cbranch_vccz .LBB6_2004
; %bb.1991:                             ;   in Loop: Header=BB6_356 Depth=4
	v_cmp_gt_i16_sdwa s72, v23, v61 src0_sel:BYTE_1 src1_sel:DWORD
	s_mov_b32 s16, 0
	s_and_saveexec_b32 s73, s72
	s_xor_b32 s72, exec_lo, s73
	s_cbranch_execz .LBB6_3022
; %bb.1992:                             ;   in Loop: Header=BB6_356 Depth=4
	v_cmp_eq_u16_sdwa s74, v23, v62 src0_sel:BYTE_1 src1_sel:DWORD
	s_mov_b32 s16, -1
	s_and_saveexec_b32 s73, s74
; %bb.1993:                             ;   in Loop: Header=BB6_356 Depth=4
	s_xor_b32 s16, exec_lo, -1
; %bb.1994:                             ;   in Loop: Header=BB6_356 Depth=4
	s_or_b32 exec_lo, exec_lo, s73
	s_and_b32 s16, s16, exec_lo
	s_or_saveexec_b32 s72, s72
	v_mov_b32_e32 v98, 0x7f800001
	s_xor_b32 exec_lo, exec_lo, s72
	s_cbranch_execnz .LBB6_3023
.LBB6_1995:                             ;   in Loop: Header=BB6_356 Depth=4
	s_or_b32 exec_lo, exec_lo, s72
	s_and_saveexec_b32 s72, s16
	s_cbranch_execz .LBB6_1997
.LBB6_1996:                             ;   in Loop: Header=BB6_356 Depth=4
	v_and_b32_sdwa v86, v63, v23 dst_sel:DWORD dst_unused:UNUSED_PAD src0_sel:DWORD src1_sel:BYTE_1
	v_and_b32_e32 v87, 7, v86
	v_bfe_u32 v46, v86, 3, 4
	v_ffbh_u32_e32 v98, v87
	v_cmp_eq_u32_e32 vcc_lo, 0, v46
	v_min_u32_e32 v98, 32, v98
	v_subrev_nc_u32_e32 v99, 28, v98
	v_sub_nc_u32_e32 v98, 29, v98
	v_lshlrev_b32_e32 v86, v99, v86
	v_lshlrev_b32_e32 v99, 16, v23
	v_cndmask_b32_e32 v98, v46, v98, vcc_lo
	v_and_b32_e32 v86, 7, v86
	v_lshl_add_u32 v98, v98, 23, 0x3b800000
	v_cndmask_b32_e32 v86, v87, v86, vcc_lo
	v_and_b32_e32 v87, 0x80000000, v99
	v_lshlrev_b32_e32 v86, 20, v86
	v_or3_b32 v98, v87, v98, v86
.LBB6_1997:                             ;   in Loop: Header=BB6_356 Depth=4
	s_or_b32 exec_lo, exec_lo, s72
	v_cmp_gt_i16_sdwa s72, v19, v61 src0_sel:BYTE_1 src1_sel:DWORD
	s_mov_b32 s16, 0
	s_and_saveexec_b32 s73, s72
	s_xor_b32 s72, exec_lo, s73
	s_cbranch_execz .LBB6_3024
; %bb.1998:                             ;   in Loop: Header=BB6_356 Depth=4
	v_cmp_eq_u16_sdwa s74, v19, v62 src0_sel:BYTE_1 src1_sel:DWORD
	s_mov_b32 s16, -1
	s_and_saveexec_b32 s73, s74
; %bb.1999:                             ;   in Loop: Header=BB6_356 Depth=4
	s_xor_b32 s16, exec_lo, -1
; %bb.2000:                             ;   in Loop: Header=BB6_356 Depth=4
	s_or_b32 exec_lo, exec_lo, s73
	s_and_b32 s16, s16, exec_lo
	s_or_saveexec_b32 s72, s72
	v_mov_b32_e32 v86, 0x7f800001
	s_xor_b32 exec_lo, exec_lo, s72
	s_cbranch_execnz .LBB6_3025
.LBB6_2001:                             ;   in Loop: Header=BB6_356 Depth=4
	s_or_b32 exec_lo, exec_lo, s72
	s_and_saveexec_b32 s72, s16
	s_cbranch_execz .LBB6_2003
.LBB6_2002:                             ;   in Loop: Header=BB6_356 Depth=4
	v_and_b32_sdwa v86, v63, v19 dst_sel:DWORD dst_unused:UNUSED_PAD src0_sel:DWORD src1_sel:BYTE_1
	v_and_b32_e32 v87, 7, v86
	v_bfe_u32 v57, v86, 3, 4
	v_ffbh_u32_e32 v99, v87
	v_cmp_eq_u32_e32 vcc_lo, 0, v57
	v_min_u32_e32 v99, 32, v99
	v_subrev_nc_u32_e32 v46, 28, v99
	v_sub_nc_u32_e32 v99, 29, v99
	v_lshlrev_b32_e32 v86, v46, v86
	v_lshlrev_b32_e32 v46, 16, v19
	v_cndmask_b32_e32 v99, v57, v99, vcc_lo
	v_and_b32_e32 v86, 7, v86
	v_lshl_add_u32 v99, v99, 23, 0x3b800000
	v_cndmask_b32_e32 v86, v87, v86, vcc_lo
	v_and_b32_e32 v87, 0x80000000, v46
	v_lshlrev_b32_e32 v86, 20, v86
	v_or3_b32 v86, v87, v99, v86
.LBB6_2003:                             ;   in Loop: Header=BB6_356 Depth=4
	s_or_b32 exec_lo, exec_lo, s72
	v_max_f32_e32 v86, v86, v86
	v_max_f32_e32 v87, v98, v98
	v_min_f32_e32 v98, v87, v86
.LBB6_2004:                             ;   in Loop: Header=BB6_356 Depth=4
	v_and_b32_e32 v86, 0x7f800000, v98
	v_mov_b32_e32 v123, 0x8000
	s_mov_b32 s72, exec_lo
	v_cmpx_ne_u32_e32 0x7f800000, v86
	s_cbranch_execz .LBB6_2012
; %bb.2005:                             ;   in Loop: Header=BB6_356 Depth=4
	v_mov_b32_e32 v123, 0
	s_mov_b32 s73, exec_lo
	v_cmpx_ne_u32_e32 0, v98
	s_cbranch_execz .LBB6_2011
; %bb.2006:                             ;   in Loop: Header=BB6_356 Depth=4
	v_bfe_u32 v87, v98, 23, 8
	v_and_b32_e32 v86, 0x7fffff, v98
                                        ; implicit-def: $vgpr60
	v_cmp_gt_u32_e64 s16, 0x79, v87
	v_sub_nc_u32_e32 v99, 0x78, v87
	v_cmp_eq_u32_e32 vcc_lo, 0, v87
	v_or_b32_e32 v46, 0x800000, v86
	v_add_nc_u32_e32 v87, 0xffffff89, v87
	v_cndmask_b32_e64 v99, 0, v99, s16
	v_cndmask_b32_e32 v86, v46, v86, vcc_lo
	v_cndmask_b32_e64 v87, v87, 0xffffff8a, vcc_lo
	v_cndmask_b32_e64 v99, v99, 0x77, vcc_lo
	v_lshl_add_u32 v46, 0x100000, v99, -1
	v_lshlrev_b32_e64 v57, v99, 0x80000
	v_and_b32_e32 v46, v46, v86
	v_lshrrev_b32_e32 v86, v99, v86
	v_add_nc_u32_e32 v99, v99, v87
	v_cmp_eq_u32_e64 s16, v46, v57
	v_lshrrev_b32_e32 v87, 23, v86
	v_xor_b32_e32 v46, 1, v87
	v_bfe_u32 v87, v86, 20, 1
	v_add_nc_u32_e32 v87, -1, v87
	v_cndmask_b32_e64 v87, 0, v87, s16
	s_mov_b32 s16, exec_lo
	v_add_nc_u32_e32 v87, v87, v86
	v_and_b32_e32 v87, 0xfffff, v87
	v_add_nc_u32_e32 v57, v87, v86
	v_cmpx_ne_u32_e64 v99, v46
	s_xor_b32 s16, exec_lo, s16
; %bb.2007:                             ;   in Loop: Header=BB6_356 Depth=4
	v_cmp_lt_u32_e32 vcc_lo, 0xffffff, v57
	v_sub_nc_u32_e32 v86, v99, v46
	v_cndmask_b32_e64 v87, 0, 1, vcc_lo
	v_add_co_ci_u32_e64 v60, null, 0, v86, vcc_lo
	v_lshrrev_b32_e32 v57, v87, v57
; %bb.2008:                             ;   in Loop: Header=BB6_356 Depth=4
	s_andn2_saveexec_b32 s16, s16
; %bb.2009:                             ;   in Loop: Header=BB6_356 Depth=4
	v_bfe_u32 v60, v57, 23, 1
; %bb.2010:                             ;   in Loop: Header=BB6_356 Depth=4
	s_or_b32 exec_lo, exec_lo, s16
	v_and_b32_sdwa v86, v98, v62 dst_sel:DWORD dst_unused:UNUSED_PAD src0_sel:BYTE_3 src1_sel:DWORD
	v_lshrrev_b32_e32 v87, 20, v57
	v_min_i32_e32 v98, 15, v60
	v_cmp_gt_i32_e32 vcc_lo, 16, v60
	v_lshlrev_b32_e32 v98, 3, v98
	v_cndmask_b32_e32 v87, 7, v87, vcc_lo
	v_and_b32_e32 v98, 0xf8, v98
	v_or_b32_e32 v99, v60, v87
	v_and_b32_e32 v87, 7, v87
	v_cmp_ne_u32_e32 vcc_lo, 0, v99
	v_or3_b32 v86, v86, v98, v87
	v_lshlrev_b32_e32 v86, 8, v86
	v_cndmask_b32_e32 v123, 0, v86, vcc_lo
.LBB6_2011:                             ;   in Loop: Header=BB6_356 Depth=4
	s_or_b32 exec_lo, exec_lo, s73
.LBB6_2012:                             ;   in Loop: Header=BB6_356 Depth=4
	s_or_b32 exec_lo, exec_lo, s72
	v_and_b32_sdwa v98, v23, v72 dst_sel:DWORD dst_unused:UNUSED_PAD src0_sel:WORD_1 src1_sel:DWORD
	s_andn2_b32 vcc_lo, exec_lo, s63
	s_mov_b32 s72, -1
                                        ; implicit-def: $vgpr99
	v_cmp_lt_i16_e64 s16, 0x7f, v98
	s_cbranch_vccnz .LBB6_2026
; %bb.2013:                             ;   in Loop: Header=BB6_356 Depth=4
	s_mov_b32 s72, 0
	s_and_saveexec_b32 s73, s16
	s_xor_b32 s16, exec_lo, s73
	s_cbranch_execz .LBB6_3026
; %bb.2014:                             ;   in Loop: Header=BB6_356 Depth=4
	s_mov_b32 s72, -1
	s_mov_b32 s73, exec_lo
	v_cmpx_eq_u16_e32 0x80, v98
; %bb.2015:                             ;   in Loop: Header=BB6_356 Depth=4
	s_xor_b32 s72, exec_lo, -1
; %bb.2016:                             ;   in Loop: Header=BB6_356 Depth=4
	s_or_b32 exec_lo, exec_lo, s73
	s_and_b32 s72, s72, exec_lo
	s_or_saveexec_b32 s16, s16
	v_mov_b32_e32 v99, 0x7f800001
	s_xor_b32 exec_lo, exec_lo, s16
	s_cbranch_execnz .LBB6_3027
.LBB6_2017:                             ;   in Loop: Header=BB6_356 Depth=4
	s_or_b32 exec_lo, exec_lo, s16
	s_and_saveexec_b32 s16, s72
	s_cbranch_execz .LBB6_2019
.LBB6_2018:                             ;   in Loop: Header=BB6_356 Depth=4
	v_bfe_u32 v86, v23, 16, 3
	v_bfe_u32 v87, v23, 19, 4
	v_ffbh_u32_e32 v99, v86
	v_cmp_eq_u32_e32 vcc_lo, 0, v87
	v_min_u32_e32 v99, 32, v99
	v_subrev_nc_u32_e32 v46, 28, v99
	v_sub_nc_u32_e32 v99, 29, v99
	v_lshlrev_b32_sdwa v46, v46, v23 dst_sel:DWORD dst_unused:UNUSED_PAD src0_sel:DWORD src1_sel:WORD_1
	v_cndmask_b32_e32 v87, v87, v99, vcc_lo
	v_lshlrev_b32_sdwa v99, v73, v23 dst_sel:DWORD dst_unused:UNUSED_PAD src0_sel:DWORD src1_sel:WORD_1
	v_and_b32_e32 v46, 7, v46
	v_lshl_add_u32 v87, v87, 23, 0x3b800000
	v_and_b32_e32 v99, 0x80000000, v99
	v_cndmask_b32_e32 v86, v86, v46, vcc_lo
	v_lshlrev_b32_e32 v86, 20, v86
	v_or3_b32 v99, v99, v87, v86
.LBB6_2019:                             ;   in Loop: Header=BB6_356 Depth=4
	s_or_b32 exec_lo, exec_lo, s16
	v_and_b32_sdwa v87, v19, v72 dst_sel:DWORD dst_unused:UNUSED_PAD src0_sel:WORD_1 src1_sel:DWORD
	s_mov_b32 s72, 0
	s_mov_b32 s16, exec_lo
	v_cmpx_lt_i16_e32 0x7f, v87
	s_xor_b32 s16, exec_lo, s16
	s_cbranch_execz .LBB6_3028
; %bb.2020:                             ;   in Loop: Header=BB6_356 Depth=4
	s_mov_b32 s72, -1
	s_mov_b32 s73, exec_lo
	v_cmpx_eq_u16_e32 0x80, v87
; %bb.2021:                             ;   in Loop: Header=BB6_356 Depth=4
	s_xor_b32 s72, exec_lo, -1
; %bb.2022:                             ;   in Loop: Header=BB6_356 Depth=4
	s_or_b32 exec_lo, exec_lo, s73
	s_and_b32 s72, s72, exec_lo
                                        ; implicit-def: $vgpr87
	s_or_saveexec_b32 s16, s16
	v_mov_b32_e32 v86, 0x7f800001
	s_xor_b32 exec_lo, exec_lo, s16
	s_cbranch_execnz .LBB6_3029
.LBB6_2023:                             ;   in Loop: Header=BB6_356 Depth=4
	s_or_b32 exec_lo, exec_lo, s16
	s_and_saveexec_b32 s16, s72
	s_cbranch_execz .LBB6_2025
.LBB6_2024:                             ;   in Loop: Header=BB6_356 Depth=4
	v_bfe_u32 v86, v19, 16, 3
	v_bfe_u32 v87, v19, 19, 4
	v_ffbh_u32_e32 v46, v86
	v_cmp_eq_u32_e32 vcc_lo, 0, v87
	v_min_u32_e32 v46, 32, v46
	v_subrev_nc_u32_e32 v57, 28, v46
	v_sub_nc_u32_e32 v46, 29, v46
	v_lshlrev_b32_sdwa v57, v57, v19 dst_sel:DWORD dst_unused:UNUSED_PAD src0_sel:DWORD src1_sel:WORD_1
	v_cndmask_b32_e32 v87, v87, v46, vcc_lo
	v_lshlrev_b32_sdwa v46, v73, v19 dst_sel:DWORD dst_unused:UNUSED_PAD src0_sel:DWORD src1_sel:WORD_1
	v_and_b32_e32 v57, 7, v57
	v_lshl_add_u32 v87, v87, 23, 0x3b800000
	v_and_b32_e32 v46, 0x80000000, v46
	v_cndmask_b32_e32 v86, v86, v57, vcc_lo
	v_lshlrev_b32_e32 v86, 20, v86
	v_or3_b32 v86, v46, v87, v86
.LBB6_2025:                             ;   in Loop: Header=BB6_356 Depth=4
	s_or_b32 exec_lo, exec_lo, s16
	v_max_f32_e32 v86, v86, v86
	v_max_f32_e32 v87, v99, v99
	s_mov_b32 s72, 0
	v_max_f32_e32 v99, v87, v86
.LBB6_2026:                             ;   in Loop: Header=BB6_356 Depth=4
	s_and_b32 vcc_lo, exec_lo, s72
	s_cbranch_vccz .LBB6_2040
; %bb.2027:                             ;   in Loop: Header=BB6_356 Depth=4
	s_mov_b32 s72, 0
	s_mov_b32 s16, exec_lo
	v_cmpx_lt_i16_e32 0x7f, v98
	s_xor_b32 s16, exec_lo, s16
	s_cbranch_execz .LBB6_3030
; %bb.2028:                             ;   in Loop: Header=BB6_356 Depth=4
	s_mov_b32 s72, -1
	s_mov_b32 s73, exec_lo
	v_cmpx_eq_u16_e32 0x80, v98
; %bb.2029:                             ;   in Loop: Header=BB6_356 Depth=4
	s_xor_b32 s72, exec_lo, -1
; %bb.2030:                             ;   in Loop: Header=BB6_356 Depth=4
	s_or_b32 exec_lo, exec_lo, s73
	s_and_b32 s72, s72, exec_lo
                                        ; implicit-def: $vgpr98
	s_or_saveexec_b32 s16, s16
	v_mov_b32_e32 v99, 0x7f800001
	s_xor_b32 exec_lo, exec_lo, s16
	s_cbranch_execnz .LBB6_3031
.LBB6_2031:                             ;   in Loop: Header=BB6_356 Depth=4
	s_or_b32 exec_lo, exec_lo, s16
	s_and_saveexec_b32 s16, s72
	s_cbranch_execz .LBB6_2033
.LBB6_2032:                             ;   in Loop: Header=BB6_356 Depth=4
	v_bfe_u32 v86, v23, 16, 3
	v_bfe_u32 v87, v23, 19, 4
	v_ffbh_u32_e32 v98, v86
	v_cmp_eq_u32_e32 vcc_lo, 0, v87
	v_min_u32_e32 v98, 32, v98
	v_subrev_nc_u32_e32 v99, 28, v98
	v_sub_nc_u32_e32 v98, 29, v98
	v_lshlrev_b32_sdwa v99, v99, v23 dst_sel:DWORD dst_unused:UNUSED_PAD src0_sel:DWORD src1_sel:WORD_1
	v_cndmask_b32_e32 v87, v87, v98, vcc_lo
	v_lshlrev_b32_sdwa v98, v73, v23 dst_sel:DWORD dst_unused:UNUSED_PAD src0_sel:DWORD src1_sel:WORD_1
	v_and_b32_e32 v99, 7, v99
	v_lshl_add_u32 v87, v87, 23, 0x3b800000
	v_and_b32_e32 v98, 0x80000000, v98
	v_cndmask_b32_e32 v86, v86, v99, vcc_lo
	v_lshlrev_b32_e32 v86, 20, v86
	v_or3_b32 v99, v98, v87, v86
.LBB6_2033:                             ;   in Loop: Header=BB6_356 Depth=4
	s_or_b32 exec_lo, exec_lo, s16
	v_and_b32_sdwa v87, v19, v72 dst_sel:DWORD dst_unused:UNUSED_PAD src0_sel:WORD_1 src1_sel:DWORD
	s_mov_b32 s72, 0
	s_mov_b32 s16, exec_lo
	v_cmpx_lt_i16_e32 0x7f, v87
	s_xor_b32 s16, exec_lo, s16
	s_cbranch_execz .LBB6_3032
; %bb.2034:                             ;   in Loop: Header=BB6_356 Depth=4
	s_mov_b32 s72, -1
	s_mov_b32 s73, exec_lo
	v_cmpx_eq_u16_e32 0x80, v87
; %bb.2035:                             ;   in Loop: Header=BB6_356 Depth=4
	s_xor_b32 s72, exec_lo, -1
; %bb.2036:                             ;   in Loop: Header=BB6_356 Depth=4
	s_or_b32 exec_lo, exec_lo, s73
	s_and_b32 s72, s72, exec_lo
                                        ; implicit-def: $vgpr87
	s_or_saveexec_b32 s16, s16
	v_mov_b32_e32 v86, 0x7f800001
	s_xor_b32 exec_lo, exec_lo, s16
	s_cbranch_execnz .LBB6_3033
.LBB6_2037:                             ;   in Loop: Header=BB6_356 Depth=4
	s_or_b32 exec_lo, exec_lo, s16
	s_and_saveexec_b32 s16, s72
	s_cbranch_execz .LBB6_2039
.LBB6_2038:                             ;   in Loop: Header=BB6_356 Depth=4
	v_bfe_u32 v86, v19, 16, 3
	v_bfe_u32 v87, v19, 19, 4
	v_ffbh_u32_e32 v98, v86
	v_cmp_eq_u32_e32 vcc_lo, 0, v87
	v_min_u32_e32 v98, 32, v98
	v_subrev_nc_u32_e32 v46, 28, v98
	v_sub_nc_u32_e32 v98, 29, v98
	v_lshlrev_b32_sdwa v46, v46, v19 dst_sel:DWORD dst_unused:UNUSED_PAD src0_sel:DWORD src1_sel:WORD_1
	v_cndmask_b32_e32 v87, v87, v98, vcc_lo
	v_lshlrev_b32_sdwa v98, v73, v19 dst_sel:DWORD dst_unused:UNUSED_PAD src0_sel:DWORD src1_sel:WORD_1
	v_and_b32_e32 v46, 7, v46
	v_lshl_add_u32 v87, v87, 23, 0x3b800000
	v_and_b32_e32 v98, 0x80000000, v98
	v_cndmask_b32_e32 v86, v86, v46, vcc_lo
	v_lshlrev_b32_e32 v86, 20, v86
	v_or3_b32 v86, v98, v87, v86
.LBB6_2039:                             ;   in Loop: Header=BB6_356 Depth=4
	s_or_b32 exec_lo, exec_lo, s16
	v_max_f32_e32 v86, v86, v86
	v_max_f32_e32 v87, v99, v99
	v_min_f32_e32 v99, v87, v86
.LBB6_2040:                             ;   in Loop: Header=BB6_356 Depth=4
	v_and_b32_e32 v86, 0x7f800000, v99
	v_mov_b32_e32 v124, 0x80
	s_mov_b32 s72, exec_lo
	v_cmpx_ne_u32_e32 0x7f800000, v86
	s_cbranch_execz .LBB6_2048
; %bb.2041:                             ;   in Loop: Header=BB6_356 Depth=4
	v_mov_b32_e32 v124, 0
	s_mov_b32 s73, exec_lo
	v_cmpx_ne_u32_e32 0, v99
	s_cbranch_execz .LBB6_2047
; %bb.2042:                             ;   in Loop: Header=BB6_356 Depth=4
	v_bfe_u32 v87, v99, 23, 8
	v_and_b32_e32 v86, 0x7fffff, v99
                                        ; implicit-def: $vgpr60
	v_cmp_gt_u32_e64 s16, 0x79, v87
	v_sub_nc_u32_e32 v98, 0x78, v87
	v_cmp_eq_u32_e32 vcc_lo, 0, v87
	v_or_b32_e32 v46, 0x800000, v86
	v_add_nc_u32_e32 v87, 0xffffff89, v87
	v_cndmask_b32_e64 v98, 0, v98, s16
	v_cndmask_b32_e32 v86, v46, v86, vcc_lo
	v_cndmask_b32_e64 v87, v87, 0xffffff8a, vcc_lo
	v_cndmask_b32_e64 v98, v98, 0x77, vcc_lo
	v_lshl_add_u32 v46, 0x100000, v98, -1
	v_lshlrev_b32_e64 v57, v98, 0x80000
	v_and_b32_e32 v46, v46, v86
	v_lshrrev_b32_e32 v86, v98, v86
	v_add_nc_u32_e32 v98, v98, v87
	v_cmp_eq_u32_e64 s16, v46, v57
	v_lshrrev_b32_e32 v87, 23, v86
	v_xor_b32_e32 v46, 1, v87
	v_bfe_u32 v87, v86, 20, 1
	v_add_nc_u32_e32 v87, -1, v87
	v_cndmask_b32_e64 v87, 0, v87, s16
	s_mov_b32 s16, exec_lo
	v_add_nc_u32_e32 v87, v87, v86
	v_and_b32_e32 v87, 0xfffff, v87
	v_add_nc_u32_e32 v57, v87, v86
	v_cmpx_ne_u32_e64 v98, v46
	s_xor_b32 s16, exec_lo, s16
; %bb.2043:                             ;   in Loop: Header=BB6_356 Depth=4
	v_cmp_lt_u32_e32 vcc_lo, 0xffffff, v57
	v_sub_nc_u32_e32 v86, v98, v46
	v_cndmask_b32_e64 v87, 0, 1, vcc_lo
	v_add_co_ci_u32_e64 v60, null, 0, v86, vcc_lo
	v_lshrrev_b32_e32 v57, v87, v57
; %bb.2044:                             ;   in Loop: Header=BB6_356 Depth=4
	s_andn2_saveexec_b32 s16, s16
; %bb.2045:                             ;   in Loop: Header=BB6_356 Depth=4
	v_bfe_u32 v60, v57, 23, 1
; %bb.2046:                             ;   in Loop: Header=BB6_356 Depth=4
	s_or_b32 exec_lo, exec_lo, s16
	v_lshrrev_b32_e32 v87, 20, v57
	v_min_i32_e32 v98, 15, v60
	v_cmp_gt_i32_e32 vcc_lo, 16, v60
	v_and_b32_sdwa v86, v99, v62 dst_sel:DWORD dst_unused:UNUSED_PAD src0_sel:BYTE_3 src1_sel:DWORD
	v_lshlrev_b32_e32 v98, 3, v98
	v_cndmask_b32_e32 v87, 7, v87, vcc_lo
	v_and_b32_e32 v98, 0xf8, v98
	v_or_b32_e32 v99, v60, v87
	v_and_b32_e32 v87, 7, v87
	v_cmp_ne_u32_e32 vcc_lo, 0, v99
	v_or3_b32 v86, v98, v86, v87
	v_cndmask_b32_e32 v124, 0, v86, vcc_lo
.LBB6_2047:                             ;   in Loop: Header=BB6_356 Depth=4
	s_or_b32 exec_lo, exec_lo, s73
.LBB6_2048:                             ;   in Loop: Header=BB6_356 Depth=4
	s_or_b32 exec_lo, exec_lo, s72
	v_cmp_gt_i16_sdwa s72, v23, v61 src0_sel:BYTE_3 src1_sel:DWORD
	s_andn2_b32 vcc_lo, exec_lo, s63
	s_mov_b32 s16, -1
                                        ; implicit-def: $vgpr98
	s_cbranch_vccnz .LBB6_2062
; %bb.2049:                             ;   in Loop: Header=BB6_356 Depth=4
	s_mov_b32 s16, 0
	s_and_saveexec_b32 s73, s72
	s_xor_b32 s72, exec_lo, s73
	s_cbranch_execz .LBB6_3034
; %bb.2050:                             ;   in Loop: Header=BB6_356 Depth=4
	v_cmp_eq_u16_sdwa s74, v23, v62 src0_sel:BYTE_3 src1_sel:DWORD
	s_mov_b32 s16, -1
	s_and_saveexec_b32 s73, s74
; %bb.2051:                             ;   in Loop: Header=BB6_356 Depth=4
	s_xor_b32 s16, exec_lo, -1
; %bb.2052:                             ;   in Loop: Header=BB6_356 Depth=4
	s_or_b32 exec_lo, exec_lo, s73
	s_and_b32 s16, s16, exec_lo
	s_or_saveexec_b32 s72, s72
	v_mov_b32_e32 v98, 0x7f800001
	s_xor_b32 exec_lo, exec_lo, s72
	s_cbranch_execnz .LBB6_3035
.LBB6_2053:                             ;   in Loop: Header=BB6_356 Depth=4
	s_or_b32 exec_lo, exec_lo, s72
	s_and_saveexec_b32 s72, s16
	s_cbranch_execz .LBB6_2055
.LBB6_2054:                             ;   in Loop: Header=BB6_356 Depth=4
	v_bfe_u32 v86, v23, 24, 3
	v_bfe_u32 v99, v23, 27, 4
	v_ffbh_u32_e32 v87, v86
	v_cmp_eq_u32_e32 vcc_lo, 0, v99
	v_min_u32_e32 v87, 32, v87
	v_subrev_nc_u32_e32 v98, 28, v87
	v_sub_nc_u32_e32 v87, 29, v87
	v_lshlrev_b32_sdwa v98, v98, v23 dst_sel:DWORD dst_unused:UNUSED_PAD src0_sel:DWORD src1_sel:BYTE_3
	v_cndmask_b32_e32 v87, v99, v87, vcc_lo
	v_and_b32_e32 v98, 7, v98
	v_lshl_add_u32 v87, v87, 23, 0x3b800000
	v_cndmask_b32_e32 v86, v86, v98, vcc_lo
	v_and_b32_e32 v98, 0x80000000, v23
	v_lshlrev_b32_e32 v86, 20, v86
	v_or3_b32 v98, v98, v87, v86
.LBB6_2055:                             ;   in Loop: Header=BB6_356 Depth=4
	s_or_b32 exec_lo, exec_lo, s72
	v_cmp_gt_i16_sdwa s72, v19, v61 src0_sel:BYTE_3 src1_sel:DWORD
	s_mov_b32 s16, 0
	s_and_saveexec_b32 s73, s72
	s_xor_b32 s72, exec_lo, s73
	s_cbranch_execz .LBB6_3036
; %bb.2056:                             ;   in Loop: Header=BB6_356 Depth=4
	v_cmp_eq_u16_sdwa s74, v19, v62 src0_sel:BYTE_3 src1_sel:DWORD
	s_mov_b32 s16, -1
	s_and_saveexec_b32 s73, s74
; %bb.2057:                             ;   in Loop: Header=BB6_356 Depth=4
	s_xor_b32 s16, exec_lo, -1
; %bb.2058:                             ;   in Loop: Header=BB6_356 Depth=4
	s_or_b32 exec_lo, exec_lo, s73
	s_and_b32 s16, s16, exec_lo
	s_or_saveexec_b32 s72, s72
	v_mov_b32_e32 v86, 0x7f800001
	s_xor_b32 exec_lo, exec_lo, s72
	s_cbranch_execnz .LBB6_3037
.LBB6_2059:                             ;   in Loop: Header=BB6_356 Depth=4
	s_or_b32 exec_lo, exec_lo, s72
	s_and_saveexec_b32 s72, s16
	s_cbranch_execz .LBB6_2061
.LBB6_2060:                             ;   in Loop: Header=BB6_356 Depth=4
	v_bfe_u32 v86, v19, 24, 3
	v_bfe_u32 v46, v19, 27, 4
	v_ffbh_u32_e32 v87, v86
	v_cmp_eq_u32_e32 vcc_lo, 0, v46
	v_min_u32_e32 v87, 32, v87
	v_subrev_nc_u32_e32 v99, 28, v87
	v_sub_nc_u32_e32 v87, 29, v87
	v_lshlrev_b32_sdwa v99, v99, v19 dst_sel:DWORD dst_unused:UNUSED_PAD src0_sel:DWORD src1_sel:BYTE_3
	v_cndmask_b32_e32 v87, v46, v87, vcc_lo
	v_and_b32_e32 v99, 7, v99
	v_lshl_add_u32 v87, v87, 23, 0x3b800000
	v_cndmask_b32_e32 v86, v86, v99, vcc_lo
	v_and_b32_e32 v99, 0x80000000, v19
	v_lshlrev_b32_e32 v86, 20, v86
	v_or3_b32 v86, v99, v87, v86
.LBB6_2061:                             ;   in Loop: Header=BB6_356 Depth=4
	s_or_b32 exec_lo, exec_lo, s72
	v_max_f32_e32 v86, v86, v86
	v_max_f32_e32 v87, v98, v98
	s_mov_b32 s16, 0
	v_max_f32_e32 v98, v87, v86
.LBB6_2062:                             ;   in Loop: Header=BB6_356 Depth=4
	s_and_b32 vcc_lo, exec_lo, s16
	s_cbranch_vccz .LBB6_2076
; %bb.2063:                             ;   in Loop: Header=BB6_356 Depth=4
	v_cmp_gt_i16_sdwa s72, v23, v61 src0_sel:BYTE_3 src1_sel:DWORD
	s_mov_b32 s16, 0
	s_and_saveexec_b32 s73, s72
	s_xor_b32 s72, exec_lo, s73
	s_cbranch_execz .LBB6_3038
; %bb.2064:                             ;   in Loop: Header=BB6_356 Depth=4
	v_cmp_eq_u16_sdwa s74, v23, v62 src0_sel:BYTE_3 src1_sel:DWORD
	s_mov_b32 s16, -1
	s_and_saveexec_b32 s73, s74
; %bb.2065:                             ;   in Loop: Header=BB6_356 Depth=4
	s_xor_b32 s16, exec_lo, -1
; %bb.2066:                             ;   in Loop: Header=BB6_356 Depth=4
	s_or_b32 exec_lo, exec_lo, s73
	s_and_b32 s16, s16, exec_lo
	s_or_saveexec_b32 s72, s72
	v_mov_b32_e32 v98, 0x7f800001
	s_xor_b32 exec_lo, exec_lo, s72
	s_cbranch_execnz .LBB6_3039
.LBB6_2067:                             ;   in Loop: Header=BB6_356 Depth=4
	s_or_b32 exec_lo, exec_lo, s72
	s_and_saveexec_b32 s72, s16
	s_cbranch_execz .LBB6_2069
.LBB6_2068:                             ;   in Loop: Header=BB6_356 Depth=4
	v_bfe_u32 v86, v23, 24, 3
	v_bfe_u32 v99, v23, 27, 4
	v_ffbh_u32_e32 v87, v86
	v_cmp_eq_u32_e32 vcc_lo, 0, v99
	v_min_u32_e32 v87, 32, v87
	v_subrev_nc_u32_e32 v98, 28, v87
	v_sub_nc_u32_e32 v87, 29, v87
	v_lshlrev_b32_sdwa v98, v98, v23 dst_sel:DWORD dst_unused:UNUSED_PAD src0_sel:DWORD src1_sel:BYTE_3
	v_cndmask_b32_e32 v87, v99, v87, vcc_lo
	v_and_b32_e32 v23, 0x80000000, v23
	v_and_b32_e32 v98, 7, v98
	v_lshl_add_u32 v87, v87, 23, 0x3b800000
	v_cndmask_b32_e32 v86, v86, v98, vcc_lo
	v_lshlrev_b32_e32 v86, 20, v86
	v_or3_b32 v98, v23, v87, v86
.LBB6_2069:                             ;   in Loop: Header=BB6_356 Depth=4
	s_or_b32 exec_lo, exec_lo, s72
	v_cmp_gt_i16_sdwa s72, v19, v61 src0_sel:BYTE_3 src1_sel:DWORD
	s_mov_b32 s16, 0
	s_and_saveexec_b32 s73, s72
	s_xor_b32 s72, exec_lo, s73
	s_cbranch_execz .LBB6_3040
; %bb.2070:                             ;   in Loop: Header=BB6_356 Depth=4
	v_cmp_eq_u16_sdwa s74, v19, v62 src0_sel:BYTE_3 src1_sel:DWORD
	s_mov_b32 s16, -1
	s_and_saveexec_b32 s73, s74
; %bb.2071:                             ;   in Loop: Header=BB6_356 Depth=4
	s_xor_b32 s16, exec_lo, -1
; %bb.2072:                             ;   in Loop: Header=BB6_356 Depth=4
	s_or_b32 exec_lo, exec_lo, s73
	s_and_b32 s16, s16, exec_lo
	s_or_saveexec_b32 s72, s72
	v_mov_b32_e32 v23, 0x7f800001
	s_xor_b32 exec_lo, exec_lo, s72
	s_cbranch_execnz .LBB6_3041
.LBB6_2073:                             ;   in Loop: Header=BB6_356 Depth=4
	s_or_b32 exec_lo, exec_lo, s72
	s_and_saveexec_b32 s72, s16
	s_cbranch_execz .LBB6_2075
.LBB6_2074:                             ;   in Loop: Header=BB6_356 Depth=4
	v_bfe_u32 v23, v19, 24, 3
	v_bfe_u32 v99, v19, 27, 4
	v_ffbh_u32_e32 v86, v23
	v_cmp_eq_u32_e32 vcc_lo, 0, v99
	v_min_u32_e32 v86, 32, v86
	v_subrev_nc_u32_e32 v87, 28, v86
	v_sub_nc_u32_e32 v86, 29, v86
	v_lshlrev_b32_sdwa v87, v87, v19 dst_sel:DWORD dst_unused:UNUSED_PAD src0_sel:DWORD src1_sel:BYTE_3
	v_cndmask_b32_e32 v86, v99, v86, vcc_lo
	v_and_b32_e32 v19, 0x80000000, v19
	v_and_b32_e32 v87, 7, v87
	v_lshl_add_u32 v86, v86, 23, 0x3b800000
	v_cndmask_b32_e32 v23, v23, v87, vcc_lo
	v_lshlrev_b32_e32 v23, 20, v23
	v_or3_b32 v23, v19, v86, v23
.LBB6_2075:                             ;   in Loop: Header=BB6_356 Depth=4
	s_or_b32 exec_lo, exec_lo, s72
	v_max_f32_e32 v19, v23, v23
	v_max_f32_e32 v23, v98, v98
	v_min_f32_e32 v98, v23, v19
.LBB6_2076:                             ;   in Loop: Header=BB6_356 Depth=4
	v_and_b32_e32 v19, 0x7f800000, v98
	v_cmp_ne_u32_e32 vcc_lo, 0x7f800000, v19
	v_mov_b32_e32 v19, 0x8000
	s_and_saveexec_b32 s72, vcc_lo
	s_cbranch_execz .LBB6_2084
; %bb.2077:                             ;   in Loop: Header=BB6_356 Depth=4
	v_mov_b32_e32 v19, 0
	s_mov_b32 s73, exec_lo
	v_cmpx_ne_u32_e32 0, v98
	s_cbranch_execz .LBB6_2083
; %bb.2078:                             ;   in Loop: Header=BB6_356 Depth=4
	v_bfe_u32 v23, v98, 23, 8
	v_and_b32_e32 v19, 0x7fffff, v98
                                        ; implicit-def: $vgpr46
	v_cmp_gt_u32_e64 s16, 0x79, v23
	v_sub_nc_u32_e32 v86, 0x78, v23
	v_cmp_eq_u32_e32 vcc_lo, 0, v23
	v_or_b32_e32 v87, 0x800000, v19
	v_cndmask_b32_e64 v86, 0, v86, s16
	v_cndmask_b32_e32 v19, v87, v19, vcc_lo
	v_cndmask_b32_e64 v86, v86, 0x77, vcc_lo
	v_lshl_add_u32 v87, 0x100000, v86, -1
	v_lshlrev_b32_e64 v99, v86, 0x80000
	v_and_b32_e32 v87, v87, v19
	v_cmp_eq_u32_e64 s16, v87, v99
	v_lshrrev_b32_e32 v87, v86, v19
	v_add_nc_u32_e32 v19, 0xffffff89, v23
	v_lshrrev_b32_e32 v23, 23, v87
	v_cndmask_b32_e64 v19, v19, 0xffffff8a, vcc_lo
	v_xor_b32_e32 v23, 1, v23
	v_add_nc_u32_e32 v19, v86, v19
	v_bfe_u32 v86, v87, 20, 1
	v_add_nc_u32_e32 v86, -1, v86
	v_cndmask_b32_e64 v86, 0, v86, s16
	s_mov_b32 s16, exec_lo
	v_add_nc_u32_e32 v86, v86, v87
	v_and_b32_e32 v86, 0xfffff, v86
	v_add_nc_u32_e32 v99, v86, v87
	v_cmpx_ne_u32_e64 v19, v23
	s_xor_b32 s16, exec_lo, s16
; %bb.2079:                             ;   in Loop: Header=BB6_356 Depth=4
	v_cmp_lt_u32_e32 vcc_lo, 0xffffff, v99
	v_sub_nc_u32_e32 v19, v19, v23
	v_cndmask_b32_e64 v23, 0, 1, vcc_lo
	v_add_co_ci_u32_e64 v46, null, 0, v19, vcc_lo
	v_lshrrev_b32_e32 v99, v23, v99
; %bb.2080:                             ;   in Loop: Header=BB6_356 Depth=4
	s_andn2_saveexec_b32 s16, s16
; %bb.2081:                             ;   in Loop: Header=BB6_356 Depth=4
	v_bfe_u32 v46, v99, 23, 1
; %bb.2082:                             ;   in Loop: Header=BB6_356 Depth=4
	s_or_b32 exec_lo, exec_lo, s16
	v_lshrrev_b32_e32 v23, 20, v99
	v_min_i32_e32 v86, 15, v46
	v_cmp_gt_i32_e32 vcc_lo, 16, v46
	v_and_b32_sdwa v19, v98, v62 dst_sel:DWORD dst_unused:UNUSED_PAD src0_sel:BYTE_3 src1_sel:DWORD
	v_lshlrev_b32_e32 v86, 3, v86
	v_cndmask_b32_e32 v23, 7, v23, vcc_lo
	v_and_b32_e32 v86, 0xf8, v86
	v_or_b32_e32 v87, v46, v23
	v_and_b32_e32 v23, 7, v23
	v_cmp_ne_u32_e32 vcc_lo, 0, v87
	v_or3_b32 v19, v19, v86, v23
	v_lshlrev_b32_e32 v19, 8, v19
	v_cndmask_b32_e32 v19, 0, v19, vcc_lo
.LBB6_2083:                             ;   in Loop: Header=BB6_356 Depth=4
	s_or_b32 exec_lo, exec_lo, s73
.LBB6_2084:                             ;   in Loop: Header=BB6_356 Depth=4
	s_or_b32 exec_lo, exec_lo, s72
	v_cmp_gt_i16_sdwa s73, v12, v61 src0_sel:BYTE_0 src1_sel:DWORD
	s_andn2_b32 vcc_lo, exec_lo, s63
	s_mov_b32 s16, -1
                                        ; implicit-def: $vgpr98
	s_cbranch_vccnz .LBB6_2098
; %bb.2085:                             ;   in Loop: Header=BB6_356 Depth=4
	s_mov_b32 s72, 0
	s_and_saveexec_b32 s16, s73
	s_xor_b32 s16, exec_lo, s16
	s_cbranch_execz .LBB6_3042
; %bb.2086:                             ;   in Loop: Header=BB6_356 Depth=4
	v_cmp_eq_u16_sdwa s74, v12, v62 src0_sel:BYTE_0 src1_sel:DWORD
	s_mov_b32 s72, -1
	s_and_saveexec_b32 s73, s74
; %bb.2087:                             ;   in Loop: Header=BB6_356 Depth=4
	s_xor_b32 s72, exec_lo, -1
; %bb.2088:                             ;   in Loop: Header=BB6_356 Depth=4
	s_or_b32 exec_lo, exec_lo, s73
	s_and_b32 s72, s72, exec_lo
	s_or_saveexec_b32 s16, s16
	v_mov_b32_e32 v23, 0x7f800001
	s_xor_b32 exec_lo, exec_lo, s16
	s_cbranch_execnz .LBB6_3043
.LBB6_2089:                             ;   in Loop: Header=BB6_356 Depth=4
	s_or_b32 exec_lo, exec_lo, s16
	s_and_saveexec_b32 s16, s72
	s_cbranch_execz .LBB6_2091
.LBB6_2090:                             ;   in Loop: Header=BB6_356 Depth=4
	v_and_b32_e32 v23, 7, v12
	v_bfe_u32 v86, v12, 3, 4
	v_ffbh_u32_e32 v87, v23
	v_cmp_eq_u32_e32 vcc_lo, 0, v86
	v_min_u32_e32 v87, 32, v87
	v_subrev_nc_u32_e32 v98, 28, v87
	v_sub_nc_u32_e32 v87, 29, v87
	v_lshlrev_b32_e32 v98, v98, v12
	v_cndmask_b32_e32 v86, v86, v87, vcc_lo
	v_lshlrev_b32_e32 v87, 24, v12
	v_and_b32_e32 v98, 7, v98
	v_lshl_add_u32 v86, v86, 23, 0x3b800000
	v_and_b32_e32 v87, 0x80000000, v87
	v_cndmask_b32_e32 v23, v23, v98, vcc_lo
	v_lshlrev_b32_e32 v23, 20, v23
	v_or3_b32 v23, v87, v86, v23
.LBB6_2091:                             ;   in Loop: Header=BB6_356 Depth=4
	s_or_b32 exec_lo, exec_lo, s16
	s_waitcnt vmcnt(0)
	v_cmp_gt_i16_sdwa s16, v8, v61 src0_sel:BYTE_0 src1_sel:DWORD
	s_mov_b32 s72, 0
	s_and_saveexec_b32 s73, s16
	s_xor_b32 s16, exec_lo, s73
	s_cbranch_execz .LBB6_3044
; %bb.2092:                             ;   in Loop: Header=BB6_356 Depth=4
	v_cmp_eq_u16_sdwa s74, v8, v62 src0_sel:BYTE_0 src1_sel:DWORD
	s_mov_b32 s72, -1
	s_and_saveexec_b32 s73, s74
; %bb.2093:                             ;   in Loop: Header=BB6_356 Depth=4
	s_xor_b32 s72, exec_lo, -1
; %bb.2094:                             ;   in Loop: Header=BB6_356 Depth=4
	s_or_b32 exec_lo, exec_lo, s73
	s_and_b32 s72, s72, exec_lo
	s_or_saveexec_b32 s16, s16
	v_mov_b32_e32 v86, 0x7f800001
	s_xor_b32 exec_lo, exec_lo, s16
	s_cbranch_execnz .LBB6_3045
.LBB6_2095:                             ;   in Loop: Header=BB6_356 Depth=4
	s_or_b32 exec_lo, exec_lo, s16
	s_and_saveexec_b32 s16, s72
	s_cbranch_execz .LBB6_2097
.LBB6_2096:                             ;   in Loop: Header=BB6_356 Depth=4
	v_and_b32_e32 v86, 7, v8
	v_bfe_u32 v87, v8, 3, 4
	v_ffbh_u32_e32 v98, v86
	v_cmp_eq_u32_e32 vcc_lo, 0, v87
	v_min_u32_e32 v98, 32, v98
	v_subrev_nc_u32_e32 v99, 28, v98
	v_sub_nc_u32_e32 v98, 29, v98
	v_lshlrev_b32_e32 v99, v99, v8
	v_cndmask_b32_e32 v87, v87, v98, vcc_lo
	v_lshlrev_b32_e32 v98, 24, v8
	v_and_b32_e32 v99, 7, v99
	v_lshl_add_u32 v87, v87, 23, 0x3b800000
	v_and_b32_e32 v98, 0x80000000, v98
	v_cndmask_b32_e32 v86, v86, v99, vcc_lo
	v_lshlrev_b32_e32 v86, 20, v86
	v_or3_b32 v86, v98, v87, v86
.LBB6_2097:                             ;   in Loop: Header=BB6_356 Depth=4
	s_or_b32 exec_lo, exec_lo, s16
	v_max_f32_e32 v86, v86, v86
	v_max_f32_e32 v23, v23, v23
	s_mov_b32 s16, 0
	v_max_f32_e32 v98, v23, v86
.LBB6_2098:                             ;   in Loop: Header=BB6_356 Depth=4
	s_and_b32 vcc_lo, exec_lo, s16
	s_cbranch_vccz .LBB6_2112
; %bb.2099:                             ;   in Loop: Header=BB6_356 Depth=4
	v_cmp_gt_i16_sdwa s16, v12, v61 src0_sel:BYTE_0 src1_sel:DWORD
	s_mov_b32 s72, 0
	s_and_saveexec_b32 s73, s16
	s_xor_b32 s16, exec_lo, s73
	s_cbranch_execz .LBB6_3046
; %bb.2100:                             ;   in Loop: Header=BB6_356 Depth=4
	v_cmp_eq_u16_sdwa s74, v12, v62 src0_sel:BYTE_0 src1_sel:DWORD
	s_mov_b32 s72, -1
	s_and_saveexec_b32 s73, s74
; %bb.2101:                             ;   in Loop: Header=BB6_356 Depth=4
	s_xor_b32 s72, exec_lo, -1
; %bb.2102:                             ;   in Loop: Header=BB6_356 Depth=4
	s_or_b32 exec_lo, exec_lo, s73
	s_and_b32 s72, s72, exec_lo
	s_or_saveexec_b32 s16, s16
	v_mov_b32_e32 v23, 0x7f800001
	s_xor_b32 exec_lo, exec_lo, s16
	s_cbranch_execnz .LBB6_3047
.LBB6_2103:                             ;   in Loop: Header=BB6_356 Depth=4
	s_or_b32 exec_lo, exec_lo, s16
	s_and_saveexec_b32 s16, s72
	s_cbranch_execz .LBB6_2105
.LBB6_2104:                             ;   in Loop: Header=BB6_356 Depth=4
	v_and_b32_e32 v23, 7, v12
	v_bfe_u32 v86, v12, 3, 4
	v_ffbh_u32_e32 v87, v23
	v_cmp_eq_u32_e32 vcc_lo, 0, v86
	v_min_u32_e32 v87, 32, v87
	v_subrev_nc_u32_e32 v98, 28, v87
	v_sub_nc_u32_e32 v87, 29, v87
	v_lshlrev_b32_e32 v98, v98, v12
	v_cndmask_b32_e32 v86, v86, v87, vcc_lo
	v_lshlrev_b32_e32 v87, 24, v12
	v_and_b32_e32 v98, 7, v98
	v_lshl_add_u32 v86, v86, 23, 0x3b800000
	v_and_b32_e32 v87, 0x80000000, v87
	v_cndmask_b32_e32 v23, v23, v98, vcc_lo
	v_lshlrev_b32_e32 v23, 20, v23
	v_or3_b32 v23, v87, v86, v23
.LBB6_2105:                             ;   in Loop: Header=BB6_356 Depth=4
	s_or_b32 exec_lo, exec_lo, s16
	s_waitcnt vmcnt(0)
	v_cmp_gt_i16_sdwa s16, v8, v61 src0_sel:BYTE_0 src1_sel:DWORD
	s_mov_b32 s72, 0
	s_and_saveexec_b32 s73, s16
	s_xor_b32 s16, exec_lo, s73
	s_cbranch_execz .LBB6_3048
; %bb.2106:                             ;   in Loop: Header=BB6_356 Depth=4
	v_cmp_eq_u16_sdwa s74, v8, v62 src0_sel:BYTE_0 src1_sel:DWORD
	s_mov_b32 s72, -1
	s_and_saveexec_b32 s73, s74
; %bb.2107:                             ;   in Loop: Header=BB6_356 Depth=4
	s_xor_b32 s72, exec_lo, -1
; %bb.2108:                             ;   in Loop: Header=BB6_356 Depth=4
	s_or_b32 exec_lo, exec_lo, s73
	s_and_b32 s72, s72, exec_lo
	s_or_saveexec_b32 s16, s16
	v_mov_b32_e32 v86, 0x7f800001
	s_xor_b32 exec_lo, exec_lo, s16
	s_cbranch_execnz .LBB6_3049
.LBB6_2109:                             ;   in Loop: Header=BB6_356 Depth=4
	s_or_b32 exec_lo, exec_lo, s16
	s_and_saveexec_b32 s16, s72
	s_cbranch_execz .LBB6_2111
.LBB6_2110:                             ;   in Loop: Header=BB6_356 Depth=4
	v_and_b32_e32 v86, 7, v8
	v_bfe_u32 v87, v8, 3, 4
	v_ffbh_u32_e32 v98, v86
	v_cmp_eq_u32_e32 vcc_lo, 0, v87
	v_min_u32_e32 v98, 32, v98
	v_subrev_nc_u32_e32 v99, 28, v98
	v_sub_nc_u32_e32 v98, 29, v98
	v_lshlrev_b32_e32 v99, v99, v8
	v_cndmask_b32_e32 v87, v87, v98, vcc_lo
	v_lshlrev_b32_e32 v98, 24, v8
	v_and_b32_e32 v99, 7, v99
	v_lshl_add_u32 v87, v87, 23, 0x3b800000
	v_and_b32_e32 v98, 0x80000000, v98
	v_cndmask_b32_e32 v86, v86, v99, vcc_lo
	v_lshlrev_b32_e32 v86, 20, v86
	v_or3_b32 v86, v98, v87, v86
.LBB6_2111:                             ;   in Loop: Header=BB6_356 Depth=4
	s_or_b32 exec_lo, exec_lo, s16
	v_max_f32_e32 v86, v86, v86
	v_max_f32_e32 v23, v23, v23
	v_min_f32_e32 v98, v23, v86
.LBB6_2112:                             ;   in Loop: Header=BB6_356 Depth=4
	v_and_b32_e32 v23, 0x7f800000, v98
	v_cmp_ne_u32_e32 vcc_lo, 0x7f800000, v23
	v_mov_b32_e32 v23, 0x80
	s_and_saveexec_b32 s72, vcc_lo
	s_cbranch_execz .LBB6_2120
; %bb.2113:                             ;   in Loop: Header=BB6_356 Depth=4
	v_mov_b32_e32 v23, 0
	s_mov_b32 s73, exec_lo
	v_cmpx_ne_u32_e32 0, v98
	s_cbranch_execz .LBB6_2119
; %bb.2114:                             ;   in Loop: Header=BB6_356 Depth=4
	v_bfe_u32 v86, v98, 23, 8
	v_and_b32_e32 v23, 0x7fffff, v98
                                        ; implicit-def: $vgpr57
	v_cmp_gt_u32_e64 s16, 0x79, v86
	v_sub_nc_u32_e32 v87, 0x78, v86
	v_cmp_eq_u32_e32 vcc_lo, 0, v86
	v_or_b32_e32 v99, 0x800000, v23
	v_cndmask_b32_e64 v87, 0, v87, s16
	v_cndmask_b32_e32 v23, v99, v23, vcc_lo
	v_cndmask_b32_e64 v87, v87, 0x77, vcc_lo
	v_lshl_add_u32 v99, 0x100000, v87, -1
	v_lshlrev_b32_e64 v46, v87, 0x80000
	v_and_b32_e32 v99, v99, v23
	v_cmp_eq_u32_e64 s16, v99, v46
	v_lshrrev_b32_e32 v46, v87, v23
	v_add_nc_u32_e32 v23, 0xffffff89, v86
	v_lshrrev_b32_e32 v86, 23, v46
	v_cndmask_b32_e64 v23, v23, 0xffffff8a, vcc_lo
	v_xor_b32_e32 v99, 1, v86
	v_bfe_u32 v86, v46, 20, 1
	v_add_nc_u32_e32 v23, v87, v23
	v_add_nc_u32_e32 v86, -1, v86
	v_cndmask_b32_e64 v86, 0, v86, s16
	s_mov_b32 s16, exec_lo
	v_add_nc_u32_e32 v86, v86, v46
	v_and_b32_e32 v86, 0xfffff, v86
	v_add_nc_u32_e32 v46, v86, v46
	v_cmpx_ne_u32_e64 v23, v99
	s_xor_b32 s16, exec_lo, s16
; %bb.2115:                             ;   in Loop: Header=BB6_356 Depth=4
	v_cmp_lt_u32_e32 vcc_lo, 0xffffff, v46
	v_sub_nc_u32_e32 v23, v23, v99
	v_cndmask_b32_e64 v86, 0, 1, vcc_lo
	v_add_co_ci_u32_e64 v57, null, 0, v23, vcc_lo
	v_lshrrev_b32_e32 v46, v86, v46
; %bb.2116:                             ;   in Loop: Header=BB6_356 Depth=4
	s_andn2_saveexec_b32 s16, s16
; %bb.2117:                             ;   in Loop: Header=BB6_356 Depth=4
	v_bfe_u32 v57, v46, 23, 1
; %bb.2118:                             ;   in Loop: Header=BB6_356 Depth=4
	s_or_b32 exec_lo, exec_lo, s16
	v_lshrrev_b32_e32 v86, 20, v46
	v_min_i32_e32 v87, 15, v57
	v_cmp_gt_i32_e32 vcc_lo, 16, v57
	v_and_b32_sdwa v23, v98, v62 dst_sel:DWORD dst_unused:UNUSED_PAD src0_sel:BYTE_3 src1_sel:DWORD
	v_lshlrev_b32_e32 v87, 3, v87
	v_cndmask_b32_e32 v86, 7, v86, vcc_lo
	v_and_b32_e32 v87, 0xf8, v87
	v_or_b32_e32 v98, v57, v86
	v_and_b32_e32 v86, 7, v86
	v_cmp_ne_u32_e32 vcc_lo, 0, v98
	v_or3_b32 v23, v87, v23, v86
	v_cndmask_b32_e32 v23, 0, v23, vcc_lo
.LBB6_2119:                             ;   in Loop: Header=BB6_356 Depth=4
	s_or_b32 exec_lo, exec_lo, s73
.LBB6_2120:                             ;   in Loop: Header=BB6_356 Depth=4
	s_or_b32 exec_lo, exec_lo, s72
	v_cmp_gt_i16_sdwa s72, v12, v61 src0_sel:BYTE_1 src1_sel:DWORD
	s_andn2_b32 vcc_lo, exec_lo, s63
	s_mov_b32 s16, -1
                                        ; implicit-def: $vgpr98
	s_cbranch_vccnz .LBB6_2134
; %bb.2121:                             ;   in Loop: Header=BB6_356 Depth=4
	s_mov_b32 s16, 0
	s_and_saveexec_b32 s73, s72
	s_xor_b32 s72, exec_lo, s73
	s_cbranch_execz .LBB6_3050
; %bb.2122:                             ;   in Loop: Header=BB6_356 Depth=4
	v_cmp_eq_u16_sdwa s74, v12, v62 src0_sel:BYTE_1 src1_sel:DWORD
	s_mov_b32 s16, -1
	s_and_saveexec_b32 s73, s74
; %bb.2123:                             ;   in Loop: Header=BB6_356 Depth=4
	s_xor_b32 s16, exec_lo, -1
; %bb.2124:                             ;   in Loop: Header=BB6_356 Depth=4
	s_or_b32 exec_lo, exec_lo, s73
	s_and_b32 s16, s16, exec_lo
	s_or_saveexec_b32 s72, s72
	v_mov_b32_e32 v98, 0x7f800001
	s_xor_b32 exec_lo, exec_lo, s72
	s_cbranch_execnz .LBB6_3051
.LBB6_2125:                             ;   in Loop: Header=BB6_356 Depth=4
	s_or_b32 exec_lo, exec_lo, s72
	s_and_saveexec_b32 s72, s16
	s_cbranch_execz .LBB6_2127
.LBB6_2126:                             ;   in Loop: Header=BB6_356 Depth=4
	v_and_b32_sdwa v86, v63, v12 dst_sel:DWORD dst_unused:UNUSED_PAD src0_sel:DWORD src1_sel:BYTE_1
	v_and_b32_e32 v87, 7, v86
	v_bfe_u32 v46, v86, 3, 4
	v_ffbh_u32_e32 v98, v87
	v_cmp_eq_u32_e32 vcc_lo, 0, v46
	v_min_u32_e32 v98, 32, v98
	v_subrev_nc_u32_e32 v99, 28, v98
	v_sub_nc_u32_e32 v98, 29, v98
	v_lshlrev_b32_e32 v86, v99, v86
	v_lshlrev_b32_e32 v99, 16, v12
	v_cndmask_b32_e32 v98, v46, v98, vcc_lo
	v_and_b32_e32 v86, 7, v86
	v_lshl_add_u32 v98, v98, 23, 0x3b800000
	v_cndmask_b32_e32 v86, v87, v86, vcc_lo
	v_and_b32_e32 v87, 0x80000000, v99
	v_lshlrev_b32_e32 v86, 20, v86
	v_or3_b32 v98, v87, v98, v86
.LBB6_2127:                             ;   in Loop: Header=BB6_356 Depth=4
	s_or_b32 exec_lo, exec_lo, s72
	s_waitcnt vmcnt(0)
	v_cmp_gt_i16_sdwa s72, v8, v61 src0_sel:BYTE_1 src1_sel:DWORD
	s_mov_b32 s16, 0
	s_and_saveexec_b32 s73, s72
	s_xor_b32 s72, exec_lo, s73
	s_cbranch_execz .LBB6_3052
; %bb.2128:                             ;   in Loop: Header=BB6_356 Depth=4
	v_cmp_eq_u16_sdwa s74, v8, v62 src0_sel:BYTE_1 src1_sel:DWORD
	s_mov_b32 s16, -1
	s_and_saveexec_b32 s73, s74
; %bb.2129:                             ;   in Loop: Header=BB6_356 Depth=4
	s_xor_b32 s16, exec_lo, -1
; %bb.2130:                             ;   in Loop: Header=BB6_356 Depth=4
	s_or_b32 exec_lo, exec_lo, s73
	s_and_b32 s16, s16, exec_lo
	s_or_saveexec_b32 s72, s72
	v_mov_b32_e32 v86, 0x7f800001
	s_xor_b32 exec_lo, exec_lo, s72
	s_cbranch_execnz .LBB6_3053
.LBB6_2131:                             ;   in Loop: Header=BB6_356 Depth=4
	s_or_b32 exec_lo, exec_lo, s72
	s_and_saveexec_b32 s72, s16
	s_cbranch_execz .LBB6_2133
.LBB6_2132:                             ;   in Loop: Header=BB6_356 Depth=4
	v_and_b32_sdwa v86, v63, v8 dst_sel:DWORD dst_unused:UNUSED_PAD src0_sel:DWORD src1_sel:BYTE_1
	v_and_b32_e32 v87, 7, v86
	v_bfe_u32 v57, v86, 3, 4
	v_ffbh_u32_e32 v99, v87
	v_cmp_eq_u32_e32 vcc_lo, 0, v57
	v_min_u32_e32 v99, 32, v99
	v_subrev_nc_u32_e32 v46, 28, v99
	v_sub_nc_u32_e32 v99, 29, v99
	v_lshlrev_b32_e32 v86, v46, v86
	v_lshlrev_b32_e32 v46, 16, v8
	v_cndmask_b32_e32 v99, v57, v99, vcc_lo
	v_and_b32_e32 v86, 7, v86
	v_lshl_add_u32 v99, v99, 23, 0x3b800000
	v_cndmask_b32_e32 v86, v87, v86, vcc_lo
	v_and_b32_e32 v87, 0x80000000, v46
	v_lshlrev_b32_e32 v86, 20, v86
	v_or3_b32 v86, v87, v99, v86
.LBB6_2133:                             ;   in Loop: Header=BB6_356 Depth=4
	s_or_b32 exec_lo, exec_lo, s72
	v_max_f32_e32 v86, v86, v86
	v_max_f32_e32 v87, v98, v98
	s_mov_b32 s16, 0
	v_max_f32_e32 v98, v87, v86
.LBB6_2134:                             ;   in Loop: Header=BB6_356 Depth=4
	s_and_b32 vcc_lo, exec_lo, s16
	s_cbranch_vccz .LBB6_2148
; %bb.2135:                             ;   in Loop: Header=BB6_356 Depth=4
	v_cmp_gt_i16_sdwa s72, v12, v61 src0_sel:BYTE_1 src1_sel:DWORD
	s_mov_b32 s16, 0
	s_and_saveexec_b32 s73, s72
	s_xor_b32 s72, exec_lo, s73
	s_cbranch_execz .LBB6_3054
; %bb.2136:                             ;   in Loop: Header=BB6_356 Depth=4
	v_cmp_eq_u16_sdwa s74, v12, v62 src0_sel:BYTE_1 src1_sel:DWORD
	s_mov_b32 s16, -1
	s_and_saveexec_b32 s73, s74
; %bb.2137:                             ;   in Loop: Header=BB6_356 Depth=4
	s_xor_b32 s16, exec_lo, -1
; %bb.2138:                             ;   in Loop: Header=BB6_356 Depth=4
	s_or_b32 exec_lo, exec_lo, s73
	s_and_b32 s16, s16, exec_lo
	s_or_saveexec_b32 s72, s72
	v_mov_b32_e32 v98, 0x7f800001
	s_xor_b32 exec_lo, exec_lo, s72
	s_cbranch_execnz .LBB6_3055
.LBB6_2139:                             ;   in Loop: Header=BB6_356 Depth=4
	s_or_b32 exec_lo, exec_lo, s72
	s_and_saveexec_b32 s72, s16
	s_cbranch_execz .LBB6_2141
.LBB6_2140:                             ;   in Loop: Header=BB6_356 Depth=4
	v_and_b32_sdwa v86, v63, v12 dst_sel:DWORD dst_unused:UNUSED_PAD src0_sel:DWORD src1_sel:BYTE_1
	v_and_b32_e32 v87, 7, v86
	v_bfe_u32 v46, v86, 3, 4
	v_ffbh_u32_e32 v98, v87
	v_cmp_eq_u32_e32 vcc_lo, 0, v46
	v_min_u32_e32 v98, 32, v98
	v_subrev_nc_u32_e32 v99, 28, v98
	v_sub_nc_u32_e32 v98, 29, v98
	v_lshlrev_b32_e32 v86, v99, v86
	v_lshlrev_b32_e32 v99, 16, v12
	v_cndmask_b32_e32 v98, v46, v98, vcc_lo
	v_and_b32_e32 v86, 7, v86
	v_lshl_add_u32 v98, v98, 23, 0x3b800000
	v_cndmask_b32_e32 v86, v87, v86, vcc_lo
	v_and_b32_e32 v87, 0x80000000, v99
	v_lshlrev_b32_e32 v86, 20, v86
	v_or3_b32 v98, v87, v98, v86
.LBB6_2141:                             ;   in Loop: Header=BB6_356 Depth=4
	s_or_b32 exec_lo, exec_lo, s72
	s_waitcnt vmcnt(0)
	v_cmp_gt_i16_sdwa s72, v8, v61 src0_sel:BYTE_1 src1_sel:DWORD
	s_mov_b32 s16, 0
	s_and_saveexec_b32 s73, s72
	s_xor_b32 s72, exec_lo, s73
	s_cbranch_execz .LBB6_3056
; %bb.2142:                             ;   in Loop: Header=BB6_356 Depth=4
	v_cmp_eq_u16_sdwa s74, v8, v62 src0_sel:BYTE_1 src1_sel:DWORD
	s_mov_b32 s16, -1
	s_and_saveexec_b32 s73, s74
; %bb.2143:                             ;   in Loop: Header=BB6_356 Depth=4
	s_xor_b32 s16, exec_lo, -1
; %bb.2144:                             ;   in Loop: Header=BB6_356 Depth=4
	s_or_b32 exec_lo, exec_lo, s73
	s_and_b32 s16, s16, exec_lo
	s_or_saveexec_b32 s72, s72
	v_mov_b32_e32 v86, 0x7f800001
	s_xor_b32 exec_lo, exec_lo, s72
	s_cbranch_execnz .LBB6_3057
.LBB6_2145:                             ;   in Loop: Header=BB6_356 Depth=4
	s_or_b32 exec_lo, exec_lo, s72
	s_and_saveexec_b32 s72, s16
	s_cbranch_execz .LBB6_2147
.LBB6_2146:                             ;   in Loop: Header=BB6_356 Depth=4
	v_and_b32_sdwa v86, v63, v8 dst_sel:DWORD dst_unused:UNUSED_PAD src0_sel:DWORD src1_sel:BYTE_1
	v_and_b32_e32 v87, 7, v86
	v_bfe_u32 v57, v86, 3, 4
	v_ffbh_u32_e32 v99, v87
	v_cmp_eq_u32_e32 vcc_lo, 0, v57
	v_min_u32_e32 v99, 32, v99
	v_subrev_nc_u32_e32 v46, 28, v99
	v_sub_nc_u32_e32 v99, 29, v99
	v_lshlrev_b32_e32 v86, v46, v86
	v_lshlrev_b32_e32 v46, 16, v8
	v_cndmask_b32_e32 v99, v57, v99, vcc_lo
	v_and_b32_e32 v86, 7, v86
	v_lshl_add_u32 v99, v99, 23, 0x3b800000
	v_cndmask_b32_e32 v86, v87, v86, vcc_lo
	v_and_b32_e32 v87, 0x80000000, v46
	v_lshlrev_b32_e32 v86, 20, v86
	v_or3_b32 v86, v87, v99, v86
.LBB6_2147:                             ;   in Loop: Header=BB6_356 Depth=4
	s_or_b32 exec_lo, exec_lo, s72
	v_max_f32_e32 v86, v86, v86
	v_max_f32_e32 v87, v98, v98
	v_min_f32_e32 v98, v87, v86
.LBB6_2148:                             ;   in Loop: Header=BB6_356 Depth=4
	v_and_b32_e32 v86, 0x7f800000, v98
	v_mov_b32_e32 v125, 0x8000
	s_mov_b32 s72, exec_lo
	v_cmpx_ne_u32_e32 0x7f800000, v86
	s_cbranch_execz .LBB6_2156
; %bb.2149:                             ;   in Loop: Header=BB6_356 Depth=4
	v_mov_b32_e32 v125, 0
	s_mov_b32 s73, exec_lo
	v_cmpx_ne_u32_e32 0, v98
	s_cbranch_execz .LBB6_2155
; %bb.2150:                             ;   in Loop: Header=BB6_356 Depth=4
	v_bfe_u32 v87, v98, 23, 8
	v_and_b32_e32 v86, 0x7fffff, v98
                                        ; implicit-def: $vgpr60
	v_cmp_gt_u32_e64 s16, 0x79, v87
	v_sub_nc_u32_e32 v99, 0x78, v87
	v_cmp_eq_u32_e32 vcc_lo, 0, v87
	v_or_b32_e32 v46, 0x800000, v86
	v_add_nc_u32_e32 v87, 0xffffff89, v87
	v_cndmask_b32_e64 v99, 0, v99, s16
	v_cndmask_b32_e32 v86, v46, v86, vcc_lo
	v_cndmask_b32_e64 v87, v87, 0xffffff8a, vcc_lo
	v_cndmask_b32_e64 v99, v99, 0x77, vcc_lo
	v_lshl_add_u32 v46, 0x100000, v99, -1
	v_lshlrev_b32_e64 v57, v99, 0x80000
	v_and_b32_e32 v46, v46, v86
	v_lshrrev_b32_e32 v86, v99, v86
	v_add_nc_u32_e32 v99, v99, v87
	v_cmp_eq_u32_e64 s16, v46, v57
	v_lshrrev_b32_e32 v87, 23, v86
	v_xor_b32_e32 v46, 1, v87
	v_bfe_u32 v87, v86, 20, 1
	v_add_nc_u32_e32 v87, -1, v87
	v_cndmask_b32_e64 v87, 0, v87, s16
	s_mov_b32 s16, exec_lo
	v_add_nc_u32_e32 v87, v87, v86
	v_and_b32_e32 v87, 0xfffff, v87
	v_add_nc_u32_e32 v57, v87, v86
	v_cmpx_ne_u32_e64 v99, v46
	s_xor_b32 s16, exec_lo, s16
; %bb.2151:                             ;   in Loop: Header=BB6_356 Depth=4
	v_cmp_lt_u32_e32 vcc_lo, 0xffffff, v57
	v_sub_nc_u32_e32 v86, v99, v46
	v_cndmask_b32_e64 v87, 0, 1, vcc_lo
	v_add_co_ci_u32_e64 v60, null, 0, v86, vcc_lo
	v_lshrrev_b32_e32 v57, v87, v57
; %bb.2152:                             ;   in Loop: Header=BB6_356 Depth=4
	s_andn2_saveexec_b32 s16, s16
; %bb.2153:                             ;   in Loop: Header=BB6_356 Depth=4
	v_bfe_u32 v60, v57, 23, 1
; %bb.2154:                             ;   in Loop: Header=BB6_356 Depth=4
	s_or_b32 exec_lo, exec_lo, s16
	v_and_b32_sdwa v86, v98, v62 dst_sel:DWORD dst_unused:UNUSED_PAD src0_sel:BYTE_3 src1_sel:DWORD
	v_lshrrev_b32_e32 v87, 20, v57
	v_min_i32_e32 v98, 15, v60
	v_cmp_gt_i32_e32 vcc_lo, 16, v60
	v_lshlrev_b32_e32 v98, 3, v98
	v_cndmask_b32_e32 v87, 7, v87, vcc_lo
	v_and_b32_e32 v98, 0xf8, v98
	v_or_b32_e32 v99, v60, v87
	v_and_b32_e32 v87, 7, v87
	v_cmp_ne_u32_e32 vcc_lo, 0, v99
	v_or3_b32 v86, v86, v98, v87
	v_lshlrev_b32_e32 v86, 8, v86
	v_cndmask_b32_e32 v125, 0, v86, vcc_lo
.LBB6_2155:                             ;   in Loop: Header=BB6_356 Depth=4
	s_or_b32 exec_lo, exec_lo, s73
.LBB6_2156:                             ;   in Loop: Header=BB6_356 Depth=4
	s_or_b32 exec_lo, exec_lo, s72
	v_and_b32_sdwa v98, v12, v72 dst_sel:DWORD dst_unused:UNUSED_PAD src0_sel:WORD_1 src1_sel:DWORD
	s_andn2_b32 vcc_lo, exec_lo, s63
	s_mov_b32 s72, -1
                                        ; implicit-def: $vgpr99
	v_cmp_lt_i16_e64 s16, 0x7f, v98
	s_cbranch_vccnz .LBB6_2170
; %bb.2157:                             ;   in Loop: Header=BB6_356 Depth=4
	s_mov_b32 s72, 0
	s_and_saveexec_b32 s73, s16
	s_xor_b32 s16, exec_lo, s73
	s_cbranch_execz .LBB6_3058
; %bb.2158:                             ;   in Loop: Header=BB6_356 Depth=4
	s_mov_b32 s72, -1
	s_mov_b32 s73, exec_lo
	v_cmpx_eq_u16_e32 0x80, v98
; %bb.2159:                             ;   in Loop: Header=BB6_356 Depth=4
	s_xor_b32 s72, exec_lo, -1
; %bb.2160:                             ;   in Loop: Header=BB6_356 Depth=4
	s_or_b32 exec_lo, exec_lo, s73
	s_and_b32 s72, s72, exec_lo
	s_or_saveexec_b32 s16, s16
	v_mov_b32_e32 v99, 0x7f800001
	s_xor_b32 exec_lo, exec_lo, s16
	s_cbranch_execnz .LBB6_3059
.LBB6_2161:                             ;   in Loop: Header=BB6_356 Depth=4
	s_or_b32 exec_lo, exec_lo, s16
	s_and_saveexec_b32 s16, s72
	s_cbranch_execz .LBB6_2163
.LBB6_2162:                             ;   in Loop: Header=BB6_356 Depth=4
	v_bfe_u32 v86, v12, 16, 3
	v_bfe_u32 v87, v12, 19, 4
	v_ffbh_u32_e32 v99, v86
	v_cmp_eq_u32_e32 vcc_lo, 0, v87
	v_min_u32_e32 v99, 32, v99
	v_subrev_nc_u32_e32 v46, 28, v99
	v_sub_nc_u32_e32 v99, 29, v99
	v_lshlrev_b32_sdwa v46, v46, v12 dst_sel:DWORD dst_unused:UNUSED_PAD src0_sel:DWORD src1_sel:WORD_1
	v_cndmask_b32_e32 v87, v87, v99, vcc_lo
	v_lshlrev_b32_sdwa v99, v73, v12 dst_sel:DWORD dst_unused:UNUSED_PAD src0_sel:DWORD src1_sel:WORD_1
	v_and_b32_e32 v46, 7, v46
	v_lshl_add_u32 v87, v87, 23, 0x3b800000
	v_and_b32_e32 v99, 0x80000000, v99
	v_cndmask_b32_e32 v86, v86, v46, vcc_lo
	v_lshlrev_b32_e32 v86, 20, v86
	v_or3_b32 v99, v99, v87, v86
.LBB6_2163:                             ;   in Loop: Header=BB6_356 Depth=4
	s_or_b32 exec_lo, exec_lo, s16
	s_waitcnt vmcnt(0)
	v_and_b32_sdwa v87, v8, v72 dst_sel:DWORD dst_unused:UNUSED_PAD src0_sel:WORD_1 src1_sel:DWORD
	s_mov_b32 s72, 0
	s_mov_b32 s16, exec_lo
	v_cmpx_lt_i16_e32 0x7f, v87
	s_xor_b32 s16, exec_lo, s16
	s_cbranch_execz .LBB6_3060
; %bb.2164:                             ;   in Loop: Header=BB6_356 Depth=4
	s_mov_b32 s72, -1
	s_mov_b32 s73, exec_lo
	v_cmpx_eq_u16_e32 0x80, v87
; %bb.2165:                             ;   in Loop: Header=BB6_356 Depth=4
	s_xor_b32 s72, exec_lo, -1
; %bb.2166:                             ;   in Loop: Header=BB6_356 Depth=4
	s_or_b32 exec_lo, exec_lo, s73
	s_and_b32 s72, s72, exec_lo
                                        ; implicit-def: $vgpr87
	s_or_saveexec_b32 s16, s16
	v_mov_b32_e32 v86, 0x7f800001
	s_xor_b32 exec_lo, exec_lo, s16
	s_cbranch_execnz .LBB6_3061
.LBB6_2167:                             ;   in Loop: Header=BB6_356 Depth=4
	s_or_b32 exec_lo, exec_lo, s16
	s_and_saveexec_b32 s16, s72
	s_cbranch_execz .LBB6_2169
.LBB6_2168:                             ;   in Loop: Header=BB6_356 Depth=4
	v_bfe_u32 v86, v8, 16, 3
	v_bfe_u32 v87, v8, 19, 4
	v_ffbh_u32_e32 v46, v86
	v_cmp_eq_u32_e32 vcc_lo, 0, v87
	v_min_u32_e32 v46, 32, v46
	v_subrev_nc_u32_e32 v57, 28, v46
	v_sub_nc_u32_e32 v46, 29, v46
	v_lshlrev_b32_sdwa v57, v57, v8 dst_sel:DWORD dst_unused:UNUSED_PAD src0_sel:DWORD src1_sel:WORD_1
	v_cndmask_b32_e32 v87, v87, v46, vcc_lo
	v_lshlrev_b32_sdwa v46, v73, v8 dst_sel:DWORD dst_unused:UNUSED_PAD src0_sel:DWORD src1_sel:WORD_1
	v_and_b32_e32 v57, 7, v57
	v_lshl_add_u32 v87, v87, 23, 0x3b800000
	v_and_b32_e32 v46, 0x80000000, v46
	v_cndmask_b32_e32 v86, v86, v57, vcc_lo
	v_lshlrev_b32_e32 v86, 20, v86
	v_or3_b32 v86, v46, v87, v86
.LBB6_2169:                             ;   in Loop: Header=BB6_356 Depth=4
	s_or_b32 exec_lo, exec_lo, s16
	v_max_f32_e32 v86, v86, v86
	v_max_f32_e32 v87, v99, v99
	s_mov_b32 s72, 0
	v_max_f32_e32 v99, v87, v86
.LBB6_2170:                             ;   in Loop: Header=BB6_356 Depth=4
	s_and_b32 vcc_lo, exec_lo, s72
	s_cbranch_vccz .LBB6_2184
; %bb.2171:                             ;   in Loop: Header=BB6_356 Depth=4
	s_mov_b32 s72, 0
	s_mov_b32 s16, exec_lo
	v_cmpx_lt_i16_e32 0x7f, v98
	s_xor_b32 s16, exec_lo, s16
	s_cbranch_execz .LBB6_3062
; %bb.2172:                             ;   in Loop: Header=BB6_356 Depth=4
	s_mov_b32 s72, -1
	s_mov_b32 s73, exec_lo
	v_cmpx_eq_u16_e32 0x80, v98
; %bb.2173:                             ;   in Loop: Header=BB6_356 Depth=4
	s_xor_b32 s72, exec_lo, -1
; %bb.2174:                             ;   in Loop: Header=BB6_356 Depth=4
	s_or_b32 exec_lo, exec_lo, s73
	s_and_b32 s72, s72, exec_lo
                                        ; implicit-def: $vgpr98
	s_or_saveexec_b32 s16, s16
	v_mov_b32_e32 v99, 0x7f800001
	s_xor_b32 exec_lo, exec_lo, s16
	s_cbranch_execnz .LBB6_3063
.LBB6_2175:                             ;   in Loop: Header=BB6_356 Depth=4
	s_or_b32 exec_lo, exec_lo, s16
	s_and_saveexec_b32 s16, s72
	s_cbranch_execz .LBB6_2177
.LBB6_2176:                             ;   in Loop: Header=BB6_356 Depth=4
	v_bfe_u32 v86, v12, 16, 3
	v_bfe_u32 v87, v12, 19, 4
	v_ffbh_u32_e32 v98, v86
	v_cmp_eq_u32_e32 vcc_lo, 0, v87
	v_min_u32_e32 v98, 32, v98
	v_subrev_nc_u32_e32 v99, 28, v98
	v_sub_nc_u32_e32 v98, 29, v98
	v_lshlrev_b32_sdwa v99, v99, v12 dst_sel:DWORD dst_unused:UNUSED_PAD src0_sel:DWORD src1_sel:WORD_1
	v_cndmask_b32_e32 v87, v87, v98, vcc_lo
	v_lshlrev_b32_sdwa v98, v73, v12 dst_sel:DWORD dst_unused:UNUSED_PAD src0_sel:DWORD src1_sel:WORD_1
	v_and_b32_e32 v99, 7, v99
	v_lshl_add_u32 v87, v87, 23, 0x3b800000
	v_and_b32_e32 v98, 0x80000000, v98
	v_cndmask_b32_e32 v86, v86, v99, vcc_lo
	v_lshlrev_b32_e32 v86, 20, v86
	v_or3_b32 v99, v98, v87, v86
.LBB6_2177:                             ;   in Loop: Header=BB6_356 Depth=4
	s_or_b32 exec_lo, exec_lo, s16
	s_waitcnt vmcnt(0)
	v_and_b32_sdwa v87, v8, v72 dst_sel:DWORD dst_unused:UNUSED_PAD src0_sel:WORD_1 src1_sel:DWORD
	s_mov_b32 s72, 0
	s_mov_b32 s16, exec_lo
	v_cmpx_lt_i16_e32 0x7f, v87
	s_xor_b32 s16, exec_lo, s16
	s_cbranch_execz .LBB6_3064
; %bb.2178:                             ;   in Loop: Header=BB6_356 Depth=4
	s_mov_b32 s72, -1
	s_mov_b32 s73, exec_lo
	v_cmpx_eq_u16_e32 0x80, v87
; %bb.2179:                             ;   in Loop: Header=BB6_356 Depth=4
	s_xor_b32 s72, exec_lo, -1
; %bb.2180:                             ;   in Loop: Header=BB6_356 Depth=4
	s_or_b32 exec_lo, exec_lo, s73
	s_and_b32 s72, s72, exec_lo
                                        ; implicit-def: $vgpr87
	s_or_saveexec_b32 s16, s16
	v_mov_b32_e32 v86, 0x7f800001
	s_xor_b32 exec_lo, exec_lo, s16
	s_cbranch_execnz .LBB6_3065
.LBB6_2181:                             ;   in Loop: Header=BB6_356 Depth=4
	s_or_b32 exec_lo, exec_lo, s16
	s_and_saveexec_b32 s16, s72
	s_cbranch_execz .LBB6_2183
.LBB6_2182:                             ;   in Loop: Header=BB6_356 Depth=4
	v_bfe_u32 v86, v8, 16, 3
	v_bfe_u32 v87, v8, 19, 4
	v_ffbh_u32_e32 v98, v86
	v_cmp_eq_u32_e32 vcc_lo, 0, v87
	v_min_u32_e32 v98, 32, v98
	v_subrev_nc_u32_e32 v46, 28, v98
	v_sub_nc_u32_e32 v98, 29, v98
	v_lshlrev_b32_sdwa v46, v46, v8 dst_sel:DWORD dst_unused:UNUSED_PAD src0_sel:DWORD src1_sel:WORD_1
	v_cndmask_b32_e32 v87, v87, v98, vcc_lo
	v_lshlrev_b32_sdwa v98, v73, v8 dst_sel:DWORD dst_unused:UNUSED_PAD src0_sel:DWORD src1_sel:WORD_1
	v_and_b32_e32 v46, 7, v46
	v_lshl_add_u32 v87, v87, 23, 0x3b800000
	v_and_b32_e32 v98, 0x80000000, v98
	v_cndmask_b32_e32 v86, v86, v46, vcc_lo
	v_lshlrev_b32_e32 v86, 20, v86
	v_or3_b32 v86, v98, v87, v86
.LBB6_2183:                             ;   in Loop: Header=BB6_356 Depth=4
	s_or_b32 exec_lo, exec_lo, s16
	v_max_f32_e32 v86, v86, v86
	v_max_f32_e32 v87, v99, v99
	v_min_f32_e32 v99, v87, v86
.LBB6_2184:                             ;   in Loop: Header=BB6_356 Depth=4
	v_and_b32_e32 v86, 0x7f800000, v99
	v_mov_b32_e32 v126, 0x80
	s_mov_b32 s72, exec_lo
	v_cmpx_ne_u32_e32 0x7f800000, v86
	s_cbranch_execz .LBB6_2192
; %bb.2185:                             ;   in Loop: Header=BB6_356 Depth=4
	v_mov_b32_e32 v126, 0
	s_mov_b32 s73, exec_lo
	v_cmpx_ne_u32_e32 0, v99
	s_cbranch_execz .LBB6_2191
; %bb.2186:                             ;   in Loop: Header=BB6_356 Depth=4
	v_bfe_u32 v87, v99, 23, 8
	v_and_b32_e32 v86, 0x7fffff, v99
                                        ; implicit-def: $vgpr60
	v_cmp_gt_u32_e64 s16, 0x79, v87
	v_sub_nc_u32_e32 v98, 0x78, v87
	v_cmp_eq_u32_e32 vcc_lo, 0, v87
	v_or_b32_e32 v46, 0x800000, v86
	v_add_nc_u32_e32 v87, 0xffffff89, v87
	v_cndmask_b32_e64 v98, 0, v98, s16
	v_cndmask_b32_e32 v86, v46, v86, vcc_lo
	v_cndmask_b32_e64 v87, v87, 0xffffff8a, vcc_lo
	v_cndmask_b32_e64 v98, v98, 0x77, vcc_lo
	v_lshl_add_u32 v46, 0x100000, v98, -1
	v_lshlrev_b32_e64 v57, v98, 0x80000
	v_and_b32_e32 v46, v46, v86
	v_lshrrev_b32_e32 v86, v98, v86
	v_add_nc_u32_e32 v98, v98, v87
	v_cmp_eq_u32_e64 s16, v46, v57
	v_lshrrev_b32_e32 v87, 23, v86
	v_xor_b32_e32 v46, 1, v87
	v_bfe_u32 v87, v86, 20, 1
	v_add_nc_u32_e32 v87, -1, v87
	v_cndmask_b32_e64 v87, 0, v87, s16
	s_mov_b32 s16, exec_lo
	v_add_nc_u32_e32 v87, v87, v86
	v_and_b32_e32 v87, 0xfffff, v87
	v_add_nc_u32_e32 v57, v87, v86
	v_cmpx_ne_u32_e64 v98, v46
	s_xor_b32 s16, exec_lo, s16
; %bb.2187:                             ;   in Loop: Header=BB6_356 Depth=4
	v_cmp_lt_u32_e32 vcc_lo, 0xffffff, v57
	v_sub_nc_u32_e32 v86, v98, v46
	v_cndmask_b32_e64 v87, 0, 1, vcc_lo
	v_add_co_ci_u32_e64 v60, null, 0, v86, vcc_lo
	v_lshrrev_b32_e32 v57, v87, v57
; %bb.2188:                             ;   in Loop: Header=BB6_356 Depth=4
	s_andn2_saveexec_b32 s16, s16
; %bb.2189:                             ;   in Loop: Header=BB6_356 Depth=4
	v_bfe_u32 v60, v57, 23, 1
; %bb.2190:                             ;   in Loop: Header=BB6_356 Depth=4
	s_or_b32 exec_lo, exec_lo, s16
	v_lshrrev_b32_e32 v87, 20, v57
	v_min_i32_e32 v98, 15, v60
	v_cmp_gt_i32_e32 vcc_lo, 16, v60
	v_and_b32_sdwa v86, v99, v62 dst_sel:DWORD dst_unused:UNUSED_PAD src0_sel:BYTE_3 src1_sel:DWORD
	v_lshlrev_b32_e32 v98, 3, v98
	v_cndmask_b32_e32 v87, 7, v87, vcc_lo
	v_and_b32_e32 v98, 0xf8, v98
	v_or_b32_e32 v99, v60, v87
	v_and_b32_e32 v87, 7, v87
	v_cmp_ne_u32_e32 vcc_lo, 0, v99
	v_or3_b32 v86, v98, v86, v87
	v_cndmask_b32_e32 v126, 0, v86, vcc_lo
.LBB6_2191:                             ;   in Loop: Header=BB6_356 Depth=4
	s_or_b32 exec_lo, exec_lo, s73
.LBB6_2192:                             ;   in Loop: Header=BB6_356 Depth=4
	s_or_b32 exec_lo, exec_lo, s72
	v_cmp_gt_i16_sdwa s72, v12, v61 src0_sel:BYTE_3 src1_sel:DWORD
	s_andn2_b32 vcc_lo, exec_lo, s63
	s_mov_b32 s16, -1
                                        ; implicit-def: $vgpr98
	s_cbranch_vccnz .LBB6_2206
; %bb.2193:                             ;   in Loop: Header=BB6_356 Depth=4
	s_mov_b32 s16, 0
	s_and_saveexec_b32 s73, s72
	s_xor_b32 s72, exec_lo, s73
	s_cbranch_execz .LBB6_3066
; %bb.2194:                             ;   in Loop: Header=BB6_356 Depth=4
	v_cmp_eq_u16_sdwa s74, v12, v62 src0_sel:BYTE_3 src1_sel:DWORD
	s_mov_b32 s16, -1
	s_and_saveexec_b32 s73, s74
; %bb.2195:                             ;   in Loop: Header=BB6_356 Depth=4
	s_xor_b32 s16, exec_lo, -1
; %bb.2196:                             ;   in Loop: Header=BB6_356 Depth=4
	s_or_b32 exec_lo, exec_lo, s73
	s_and_b32 s16, s16, exec_lo
	s_or_saveexec_b32 s72, s72
	v_mov_b32_e32 v98, 0x7f800001
	s_xor_b32 exec_lo, exec_lo, s72
	s_cbranch_execnz .LBB6_3067
.LBB6_2197:                             ;   in Loop: Header=BB6_356 Depth=4
	s_or_b32 exec_lo, exec_lo, s72
	s_and_saveexec_b32 s72, s16
	s_cbranch_execz .LBB6_2199
.LBB6_2198:                             ;   in Loop: Header=BB6_356 Depth=4
	v_bfe_u32 v86, v12, 24, 3
	v_bfe_u32 v99, v12, 27, 4
	v_ffbh_u32_e32 v87, v86
	v_cmp_eq_u32_e32 vcc_lo, 0, v99
	v_min_u32_e32 v87, 32, v87
	v_subrev_nc_u32_e32 v98, 28, v87
	v_sub_nc_u32_e32 v87, 29, v87
	v_lshlrev_b32_sdwa v98, v98, v12 dst_sel:DWORD dst_unused:UNUSED_PAD src0_sel:DWORD src1_sel:BYTE_3
	v_cndmask_b32_e32 v87, v99, v87, vcc_lo
	v_and_b32_e32 v98, 7, v98
	v_lshl_add_u32 v87, v87, 23, 0x3b800000
	v_cndmask_b32_e32 v86, v86, v98, vcc_lo
	v_and_b32_e32 v98, 0x80000000, v12
	v_lshlrev_b32_e32 v86, 20, v86
	v_or3_b32 v98, v98, v87, v86
.LBB6_2199:                             ;   in Loop: Header=BB6_356 Depth=4
	s_or_b32 exec_lo, exec_lo, s72
	s_waitcnt vmcnt(0)
	v_cmp_gt_i16_sdwa s72, v8, v61 src0_sel:BYTE_3 src1_sel:DWORD
	s_mov_b32 s16, 0
	s_and_saveexec_b32 s73, s72
	s_xor_b32 s72, exec_lo, s73
	s_cbranch_execz .LBB6_3068
; %bb.2200:                             ;   in Loop: Header=BB6_356 Depth=4
	v_cmp_eq_u16_sdwa s74, v8, v62 src0_sel:BYTE_3 src1_sel:DWORD
	s_mov_b32 s16, -1
	s_and_saveexec_b32 s73, s74
; %bb.2201:                             ;   in Loop: Header=BB6_356 Depth=4
	s_xor_b32 s16, exec_lo, -1
; %bb.2202:                             ;   in Loop: Header=BB6_356 Depth=4
	s_or_b32 exec_lo, exec_lo, s73
	s_and_b32 s16, s16, exec_lo
	s_or_saveexec_b32 s72, s72
	v_mov_b32_e32 v86, 0x7f800001
	s_xor_b32 exec_lo, exec_lo, s72
	s_cbranch_execnz .LBB6_3069
.LBB6_2203:                             ;   in Loop: Header=BB6_356 Depth=4
	s_or_b32 exec_lo, exec_lo, s72
	s_and_saveexec_b32 s72, s16
	s_cbranch_execz .LBB6_2205
.LBB6_2204:                             ;   in Loop: Header=BB6_356 Depth=4
	v_bfe_u32 v86, v8, 24, 3
	v_bfe_u32 v46, v8, 27, 4
	v_ffbh_u32_e32 v87, v86
	v_cmp_eq_u32_e32 vcc_lo, 0, v46
	v_min_u32_e32 v87, 32, v87
	v_subrev_nc_u32_e32 v99, 28, v87
	v_sub_nc_u32_e32 v87, 29, v87
	v_lshlrev_b32_sdwa v99, v99, v8 dst_sel:DWORD dst_unused:UNUSED_PAD src0_sel:DWORD src1_sel:BYTE_3
	v_cndmask_b32_e32 v87, v46, v87, vcc_lo
	v_and_b32_e32 v99, 7, v99
	v_lshl_add_u32 v87, v87, 23, 0x3b800000
	v_cndmask_b32_e32 v86, v86, v99, vcc_lo
	v_and_b32_e32 v99, 0x80000000, v8
	v_lshlrev_b32_e32 v86, 20, v86
	v_or3_b32 v86, v99, v87, v86
.LBB6_2205:                             ;   in Loop: Header=BB6_356 Depth=4
	s_or_b32 exec_lo, exec_lo, s72
	v_max_f32_e32 v86, v86, v86
	v_max_f32_e32 v87, v98, v98
	s_mov_b32 s16, 0
	v_max_f32_e32 v98, v87, v86
.LBB6_2206:                             ;   in Loop: Header=BB6_356 Depth=4
	s_and_b32 vcc_lo, exec_lo, s16
	s_cbranch_vccz .LBB6_2220
; %bb.2207:                             ;   in Loop: Header=BB6_356 Depth=4
	v_cmp_gt_i16_sdwa s72, v12, v61 src0_sel:BYTE_3 src1_sel:DWORD
	s_mov_b32 s16, 0
	s_and_saveexec_b32 s73, s72
	s_xor_b32 s72, exec_lo, s73
	s_cbranch_execz .LBB6_3070
; %bb.2208:                             ;   in Loop: Header=BB6_356 Depth=4
	v_cmp_eq_u16_sdwa s74, v12, v62 src0_sel:BYTE_3 src1_sel:DWORD
	s_mov_b32 s16, -1
	s_and_saveexec_b32 s73, s74
; %bb.2209:                             ;   in Loop: Header=BB6_356 Depth=4
	s_xor_b32 s16, exec_lo, -1
; %bb.2210:                             ;   in Loop: Header=BB6_356 Depth=4
	s_or_b32 exec_lo, exec_lo, s73
	s_and_b32 s16, s16, exec_lo
	s_or_saveexec_b32 s72, s72
	v_mov_b32_e32 v98, 0x7f800001
	s_xor_b32 exec_lo, exec_lo, s72
	s_cbranch_execnz .LBB6_3071
.LBB6_2211:                             ;   in Loop: Header=BB6_356 Depth=4
	s_or_b32 exec_lo, exec_lo, s72
	s_and_saveexec_b32 s72, s16
	s_cbranch_execz .LBB6_2213
.LBB6_2212:                             ;   in Loop: Header=BB6_356 Depth=4
	v_bfe_u32 v86, v12, 24, 3
	v_bfe_u32 v99, v12, 27, 4
	v_ffbh_u32_e32 v87, v86
	v_cmp_eq_u32_e32 vcc_lo, 0, v99
	v_min_u32_e32 v87, 32, v87
	v_subrev_nc_u32_e32 v98, 28, v87
	v_sub_nc_u32_e32 v87, 29, v87
	v_lshlrev_b32_sdwa v98, v98, v12 dst_sel:DWORD dst_unused:UNUSED_PAD src0_sel:DWORD src1_sel:BYTE_3
	v_cndmask_b32_e32 v87, v99, v87, vcc_lo
	v_and_b32_e32 v12, 0x80000000, v12
	v_and_b32_e32 v98, 7, v98
	v_lshl_add_u32 v87, v87, 23, 0x3b800000
	v_cndmask_b32_e32 v86, v86, v98, vcc_lo
	v_lshlrev_b32_e32 v86, 20, v86
	v_or3_b32 v98, v12, v87, v86
.LBB6_2213:                             ;   in Loop: Header=BB6_356 Depth=4
	s_or_b32 exec_lo, exec_lo, s72
	s_waitcnt vmcnt(0)
	v_cmp_gt_i16_sdwa s72, v8, v61 src0_sel:BYTE_3 src1_sel:DWORD
	s_mov_b32 s16, 0
	s_and_saveexec_b32 s73, s72
	s_xor_b32 s72, exec_lo, s73
	s_cbranch_execz .LBB6_3072
; %bb.2214:                             ;   in Loop: Header=BB6_356 Depth=4
	v_cmp_eq_u16_sdwa s74, v8, v62 src0_sel:BYTE_3 src1_sel:DWORD
	s_mov_b32 s16, -1
	s_and_saveexec_b32 s73, s74
; %bb.2215:                             ;   in Loop: Header=BB6_356 Depth=4
	s_xor_b32 s16, exec_lo, -1
; %bb.2216:                             ;   in Loop: Header=BB6_356 Depth=4
	s_or_b32 exec_lo, exec_lo, s73
	s_and_b32 s16, s16, exec_lo
	s_or_saveexec_b32 s72, s72
	v_mov_b32_e32 v12, 0x7f800001
	s_xor_b32 exec_lo, exec_lo, s72
	s_cbranch_execnz .LBB6_3073
.LBB6_2217:                             ;   in Loop: Header=BB6_356 Depth=4
	s_or_b32 exec_lo, exec_lo, s72
	s_and_saveexec_b32 s72, s16
	s_cbranch_execz .LBB6_2219
.LBB6_2218:                             ;   in Loop: Header=BB6_356 Depth=4
	v_bfe_u32 v12, v8, 24, 3
	v_bfe_u32 v99, v8, 27, 4
	v_ffbh_u32_e32 v86, v12
	v_cmp_eq_u32_e32 vcc_lo, 0, v99
	v_min_u32_e32 v86, 32, v86
	v_subrev_nc_u32_e32 v87, 28, v86
	v_sub_nc_u32_e32 v86, 29, v86
	v_lshlrev_b32_sdwa v87, v87, v8 dst_sel:DWORD dst_unused:UNUSED_PAD src0_sel:DWORD src1_sel:BYTE_3
	v_cndmask_b32_e32 v86, v99, v86, vcc_lo
	v_and_b32_e32 v8, 0x80000000, v8
	v_and_b32_e32 v87, 7, v87
	v_lshl_add_u32 v86, v86, 23, 0x3b800000
	v_cndmask_b32_e32 v12, v12, v87, vcc_lo
	v_lshlrev_b32_e32 v12, 20, v12
	v_or3_b32 v12, v8, v86, v12
.LBB6_2219:                             ;   in Loop: Header=BB6_356 Depth=4
	s_or_b32 exec_lo, exec_lo, s72
	v_max_f32_e32 v8, v12, v12
	v_max_f32_e32 v12, v98, v98
	v_min_f32_e32 v98, v12, v8
.LBB6_2220:                             ;   in Loop: Header=BB6_356 Depth=4
	s_waitcnt vmcnt(0)
	v_and_b32_e32 v8, 0x7f800000, v98
	v_cmp_ne_u32_e32 vcc_lo, 0x7f800000, v8
	v_mov_b32_e32 v8, 0x8000
	s_and_saveexec_b32 s72, vcc_lo
	s_cbranch_execz .LBB6_2228
; %bb.2221:                             ;   in Loop: Header=BB6_356 Depth=4
	v_mov_b32_e32 v8, 0
	s_mov_b32 s73, exec_lo
	v_cmpx_ne_u32_e32 0, v98
	s_cbranch_execz .LBB6_2227
; %bb.2222:                             ;   in Loop: Header=BB6_356 Depth=4
	v_bfe_u32 v12, v98, 23, 8
	v_and_b32_e32 v8, 0x7fffff, v98
                                        ; implicit-def: $vgpr46
	v_cmp_gt_u32_e64 s16, 0x79, v12
	v_sub_nc_u32_e32 v86, 0x78, v12
	v_cmp_eq_u32_e32 vcc_lo, 0, v12
	v_or_b32_e32 v87, 0x800000, v8
	v_cndmask_b32_e64 v86, 0, v86, s16
	v_cndmask_b32_e32 v8, v87, v8, vcc_lo
	v_cndmask_b32_e64 v86, v86, 0x77, vcc_lo
	v_lshl_add_u32 v87, 0x100000, v86, -1
	v_lshlrev_b32_e64 v99, v86, 0x80000
	v_and_b32_e32 v87, v87, v8
	v_cmp_eq_u32_e64 s16, v87, v99
	v_lshrrev_b32_e32 v87, v86, v8
	v_add_nc_u32_e32 v8, 0xffffff89, v12
	v_lshrrev_b32_e32 v12, 23, v87
	v_cndmask_b32_e64 v8, v8, 0xffffff8a, vcc_lo
	v_xor_b32_e32 v12, 1, v12
	v_add_nc_u32_e32 v8, v86, v8
	v_bfe_u32 v86, v87, 20, 1
	v_add_nc_u32_e32 v86, -1, v86
	v_cndmask_b32_e64 v86, 0, v86, s16
	s_mov_b32 s16, exec_lo
	v_add_nc_u32_e32 v86, v86, v87
	v_and_b32_e32 v86, 0xfffff, v86
	v_add_nc_u32_e32 v99, v86, v87
	v_cmpx_ne_u32_e64 v8, v12
	s_xor_b32 s16, exec_lo, s16
; %bb.2223:                             ;   in Loop: Header=BB6_356 Depth=4
	v_cmp_lt_u32_e32 vcc_lo, 0xffffff, v99
	v_sub_nc_u32_e32 v8, v8, v12
	v_cndmask_b32_e64 v12, 0, 1, vcc_lo
	v_add_co_ci_u32_e64 v46, null, 0, v8, vcc_lo
	v_lshrrev_b32_e32 v99, v12, v99
; %bb.2224:                             ;   in Loop: Header=BB6_356 Depth=4
	s_andn2_saveexec_b32 s16, s16
; %bb.2225:                             ;   in Loop: Header=BB6_356 Depth=4
	v_bfe_u32 v46, v99, 23, 1
; %bb.2226:                             ;   in Loop: Header=BB6_356 Depth=4
	s_or_b32 exec_lo, exec_lo, s16
	v_lshrrev_b32_e32 v12, 20, v99
	v_min_i32_e32 v86, 15, v46
	v_cmp_gt_i32_e32 vcc_lo, 16, v46
	v_and_b32_sdwa v8, v98, v62 dst_sel:DWORD dst_unused:UNUSED_PAD src0_sel:BYTE_3 src1_sel:DWORD
	v_lshlrev_b32_e32 v86, 3, v86
	v_cndmask_b32_e32 v12, 7, v12, vcc_lo
	v_and_b32_e32 v86, 0xf8, v86
	v_or_b32_e32 v87, v46, v12
	v_and_b32_e32 v12, 7, v12
	v_cmp_ne_u32_e32 vcc_lo, 0, v87
	v_or3_b32 v8, v8, v86, v12
	v_lshlrev_b32_e32 v8, 8, v8
	v_cndmask_b32_e32 v8, 0, v8, vcc_lo
.LBB6_2227:                             ;   in Loop: Header=BB6_356 Depth=4
	s_or_b32 exec_lo, exec_lo, s73
.LBB6_2228:                             ;   in Loop: Header=BB6_356 Depth=4
	s_or_b32 exec_lo, exec_lo, s72
	v_cmp_gt_i16_sdwa s73, v13, v61 src0_sel:BYTE_0 src1_sel:DWORD
	s_andn2_b32 vcc_lo, exec_lo, s63
	s_mov_b32 s16, -1
                                        ; implicit-def: $vgpr98
	s_cbranch_vccnz .LBB6_2242
; %bb.2229:                             ;   in Loop: Header=BB6_356 Depth=4
	s_mov_b32 s72, 0
	s_and_saveexec_b32 s16, s73
	s_xor_b32 s16, exec_lo, s16
	s_cbranch_execz .LBB6_3074
; %bb.2230:                             ;   in Loop: Header=BB6_356 Depth=4
	v_cmp_eq_u16_sdwa s74, v13, v62 src0_sel:BYTE_0 src1_sel:DWORD
	s_mov_b32 s72, -1
	s_and_saveexec_b32 s73, s74
; %bb.2231:                             ;   in Loop: Header=BB6_356 Depth=4
	s_xor_b32 s72, exec_lo, -1
; %bb.2232:                             ;   in Loop: Header=BB6_356 Depth=4
	s_or_b32 exec_lo, exec_lo, s73
	s_and_b32 s72, s72, exec_lo
	s_or_saveexec_b32 s16, s16
	v_mov_b32_e32 v12, 0x7f800001
	s_xor_b32 exec_lo, exec_lo, s16
	s_cbranch_execnz .LBB6_3075
.LBB6_2233:                             ;   in Loop: Header=BB6_356 Depth=4
	s_or_b32 exec_lo, exec_lo, s16
	s_and_saveexec_b32 s16, s72
	s_cbranch_execz .LBB6_2235
.LBB6_2234:                             ;   in Loop: Header=BB6_356 Depth=4
	v_and_b32_e32 v12, 7, v13
	v_bfe_u32 v86, v13, 3, 4
	v_ffbh_u32_e32 v87, v12
	v_cmp_eq_u32_e32 vcc_lo, 0, v86
	v_min_u32_e32 v87, 32, v87
	v_subrev_nc_u32_e32 v98, 28, v87
	v_sub_nc_u32_e32 v87, 29, v87
	v_lshlrev_b32_e32 v98, v98, v13
	v_cndmask_b32_e32 v86, v86, v87, vcc_lo
	v_lshlrev_b32_e32 v87, 24, v13
	v_and_b32_e32 v98, 7, v98
	v_lshl_add_u32 v86, v86, 23, 0x3b800000
	v_and_b32_e32 v87, 0x80000000, v87
	v_cndmask_b32_e32 v12, v12, v98, vcc_lo
	v_lshlrev_b32_e32 v12, 20, v12
	v_or3_b32 v12, v87, v86, v12
.LBB6_2235:                             ;   in Loop: Header=BB6_356 Depth=4
	s_or_b32 exec_lo, exec_lo, s16
	v_cmp_gt_i16_sdwa s16, v9, v61 src0_sel:BYTE_0 src1_sel:DWORD
	s_mov_b32 s72, 0
	s_and_saveexec_b32 s73, s16
	s_xor_b32 s16, exec_lo, s73
	s_cbranch_execz .LBB6_3076
; %bb.2236:                             ;   in Loop: Header=BB6_356 Depth=4
	v_cmp_eq_u16_sdwa s74, v9, v62 src0_sel:BYTE_0 src1_sel:DWORD
	s_mov_b32 s72, -1
	s_and_saveexec_b32 s73, s74
; %bb.2237:                             ;   in Loop: Header=BB6_356 Depth=4
	s_xor_b32 s72, exec_lo, -1
; %bb.2238:                             ;   in Loop: Header=BB6_356 Depth=4
	s_or_b32 exec_lo, exec_lo, s73
	s_and_b32 s72, s72, exec_lo
	s_or_saveexec_b32 s16, s16
	v_mov_b32_e32 v86, 0x7f800001
	s_xor_b32 exec_lo, exec_lo, s16
	s_cbranch_execnz .LBB6_3077
.LBB6_2239:                             ;   in Loop: Header=BB6_356 Depth=4
	s_or_b32 exec_lo, exec_lo, s16
	s_and_saveexec_b32 s16, s72
	s_cbranch_execz .LBB6_2241
.LBB6_2240:                             ;   in Loop: Header=BB6_356 Depth=4
	v_and_b32_e32 v86, 7, v9
	v_bfe_u32 v87, v9, 3, 4
	v_ffbh_u32_e32 v98, v86
	v_cmp_eq_u32_e32 vcc_lo, 0, v87
	v_min_u32_e32 v98, 32, v98
	v_subrev_nc_u32_e32 v99, 28, v98
	v_sub_nc_u32_e32 v98, 29, v98
	v_lshlrev_b32_e32 v99, v99, v9
	v_cndmask_b32_e32 v87, v87, v98, vcc_lo
	v_lshlrev_b32_e32 v98, 24, v9
	v_and_b32_e32 v99, 7, v99
	v_lshl_add_u32 v87, v87, 23, 0x3b800000
	v_and_b32_e32 v98, 0x80000000, v98
	v_cndmask_b32_e32 v86, v86, v99, vcc_lo
	v_lshlrev_b32_e32 v86, 20, v86
	v_or3_b32 v86, v98, v87, v86
.LBB6_2241:                             ;   in Loop: Header=BB6_356 Depth=4
	s_or_b32 exec_lo, exec_lo, s16
	v_max_f32_e32 v86, v86, v86
	v_max_f32_e32 v12, v12, v12
	s_mov_b32 s16, 0
	v_max_f32_e32 v98, v12, v86
.LBB6_2242:                             ;   in Loop: Header=BB6_356 Depth=4
	s_and_b32 vcc_lo, exec_lo, s16
	s_cbranch_vccz .LBB6_2256
; %bb.2243:                             ;   in Loop: Header=BB6_356 Depth=4
	v_cmp_gt_i16_sdwa s16, v13, v61 src0_sel:BYTE_0 src1_sel:DWORD
	s_mov_b32 s72, 0
	s_and_saveexec_b32 s73, s16
	s_xor_b32 s16, exec_lo, s73
	s_cbranch_execz .LBB6_3078
; %bb.2244:                             ;   in Loop: Header=BB6_356 Depth=4
	v_cmp_eq_u16_sdwa s74, v13, v62 src0_sel:BYTE_0 src1_sel:DWORD
	s_mov_b32 s72, -1
	s_and_saveexec_b32 s73, s74
; %bb.2245:                             ;   in Loop: Header=BB6_356 Depth=4
	s_xor_b32 s72, exec_lo, -1
; %bb.2246:                             ;   in Loop: Header=BB6_356 Depth=4
	s_or_b32 exec_lo, exec_lo, s73
	s_and_b32 s72, s72, exec_lo
	s_or_saveexec_b32 s16, s16
	v_mov_b32_e32 v12, 0x7f800001
	s_xor_b32 exec_lo, exec_lo, s16
	s_cbranch_execnz .LBB6_3079
.LBB6_2247:                             ;   in Loop: Header=BB6_356 Depth=4
	s_or_b32 exec_lo, exec_lo, s16
	s_and_saveexec_b32 s16, s72
	s_cbranch_execz .LBB6_2249
.LBB6_2248:                             ;   in Loop: Header=BB6_356 Depth=4
	v_and_b32_e32 v12, 7, v13
	v_bfe_u32 v86, v13, 3, 4
	v_ffbh_u32_e32 v87, v12
	v_cmp_eq_u32_e32 vcc_lo, 0, v86
	v_min_u32_e32 v87, 32, v87
	v_subrev_nc_u32_e32 v98, 28, v87
	v_sub_nc_u32_e32 v87, 29, v87
	v_lshlrev_b32_e32 v98, v98, v13
	v_cndmask_b32_e32 v86, v86, v87, vcc_lo
	v_lshlrev_b32_e32 v87, 24, v13
	v_and_b32_e32 v98, 7, v98
	v_lshl_add_u32 v86, v86, 23, 0x3b800000
	v_and_b32_e32 v87, 0x80000000, v87
	v_cndmask_b32_e32 v12, v12, v98, vcc_lo
	v_lshlrev_b32_e32 v12, 20, v12
	v_or3_b32 v12, v87, v86, v12
.LBB6_2249:                             ;   in Loop: Header=BB6_356 Depth=4
	s_or_b32 exec_lo, exec_lo, s16
	v_cmp_gt_i16_sdwa s16, v9, v61 src0_sel:BYTE_0 src1_sel:DWORD
	s_mov_b32 s72, 0
	s_and_saveexec_b32 s73, s16
	s_xor_b32 s16, exec_lo, s73
	s_cbranch_execz .LBB6_3080
; %bb.2250:                             ;   in Loop: Header=BB6_356 Depth=4
	v_cmp_eq_u16_sdwa s74, v9, v62 src0_sel:BYTE_0 src1_sel:DWORD
	s_mov_b32 s72, -1
	s_and_saveexec_b32 s73, s74
; %bb.2251:                             ;   in Loop: Header=BB6_356 Depth=4
	s_xor_b32 s72, exec_lo, -1
; %bb.2252:                             ;   in Loop: Header=BB6_356 Depth=4
	s_or_b32 exec_lo, exec_lo, s73
	s_and_b32 s72, s72, exec_lo
	s_or_saveexec_b32 s16, s16
	v_mov_b32_e32 v86, 0x7f800001
	s_xor_b32 exec_lo, exec_lo, s16
	s_cbranch_execnz .LBB6_3081
.LBB6_2253:                             ;   in Loop: Header=BB6_356 Depth=4
	s_or_b32 exec_lo, exec_lo, s16
	s_and_saveexec_b32 s16, s72
	s_cbranch_execz .LBB6_2255
.LBB6_2254:                             ;   in Loop: Header=BB6_356 Depth=4
	v_and_b32_e32 v86, 7, v9
	v_bfe_u32 v87, v9, 3, 4
	v_ffbh_u32_e32 v98, v86
	v_cmp_eq_u32_e32 vcc_lo, 0, v87
	v_min_u32_e32 v98, 32, v98
	v_subrev_nc_u32_e32 v99, 28, v98
	v_sub_nc_u32_e32 v98, 29, v98
	v_lshlrev_b32_e32 v99, v99, v9
	v_cndmask_b32_e32 v87, v87, v98, vcc_lo
	v_lshlrev_b32_e32 v98, 24, v9
	v_and_b32_e32 v99, 7, v99
	v_lshl_add_u32 v87, v87, 23, 0x3b800000
	v_and_b32_e32 v98, 0x80000000, v98
	v_cndmask_b32_e32 v86, v86, v99, vcc_lo
	v_lshlrev_b32_e32 v86, 20, v86
	v_or3_b32 v86, v98, v87, v86
.LBB6_2255:                             ;   in Loop: Header=BB6_356 Depth=4
	s_or_b32 exec_lo, exec_lo, s16
	v_max_f32_e32 v86, v86, v86
	v_max_f32_e32 v12, v12, v12
	v_min_f32_e32 v98, v12, v86
.LBB6_2256:                             ;   in Loop: Header=BB6_356 Depth=4
	v_and_b32_e32 v12, 0x7f800000, v98
	v_cmp_ne_u32_e32 vcc_lo, 0x7f800000, v12
	v_mov_b32_e32 v12, 0x80
	s_and_saveexec_b32 s72, vcc_lo
	s_cbranch_execz .LBB6_2264
; %bb.2257:                             ;   in Loop: Header=BB6_356 Depth=4
	v_mov_b32_e32 v12, 0
	s_mov_b32 s73, exec_lo
	v_cmpx_ne_u32_e32 0, v98
	s_cbranch_execz .LBB6_2263
; %bb.2258:                             ;   in Loop: Header=BB6_356 Depth=4
	v_bfe_u32 v86, v98, 23, 8
	v_and_b32_e32 v12, 0x7fffff, v98
                                        ; implicit-def: $vgpr57
	v_cmp_gt_u32_e64 s16, 0x79, v86
	v_sub_nc_u32_e32 v87, 0x78, v86
	v_cmp_eq_u32_e32 vcc_lo, 0, v86
	v_or_b32_e32 v99, 0x800000, v12
	v_cndmask_b32_e64 v87, 0, v87, s16
	v_cndmask_b32_e32 v12, v99, v12, vcc_lo
	v_cndmask_b32_e64 v87, v87, 0x77, vcc_lo
	v_lshl_add_u32 v99, 0x100000, v87, -1
	v_lshlrev_b32_e64 v46, v87, 0x80000
	v_and_b32_e32 v99, v99, v12
	v_cmp_eq_u32_e64 s16, v99, v46
	v_lshrrev_b32_e32 v46, v87, v12
	v_add_nc_u32_e32 v12, 0xffffff89, v86
	v_lshrrev_b32_e32 v86, 23, v46
	v_cndmask_b32_e64 v12, v12, 0xffffff8a, vcc_lo
	v_xor_b32_e32 v99, 1, v86
	v_bfe_u32 v86, v46, 20, 1
	v_add_nc_u32_e32 v12, v87, v12
	v_add_nc_u32_e32 v86, -1, v86
	v_cndmask_b32_e64 v86, 0, v86, s16
	s_mov_b32 s16, exec_lo
	v_add_nc_u32_e32 v86, v86, v46
	v_and_b32_e32 v86, 0xfffff, v86
	v_add_nc_u32_e32 v46, v86, v46
	v_cmpx_ne_u32_e64 v12, v99
	s_xor_b32 s16, exec_lo, s16
; %bb.2259:                             ;   in Loop: Header=BB6_356 Depth=4
	v_cmp_lt_u32_e32 vcc_lo, 0xffffff, v46
	v_sub_nc_u32_e32 v12, v12, v99
	v_cndmask_b32_e64 v86, 0, 1, vcc_lo
	v_add_co_ci_u32_e64 v57, null, 0, v12, vcc_lo
	v_lshrrev_b32_e32 v46, v86, v46
; %bb.2260:                             ;   in Loop: Header=BB6_356 Depth=4
	s_andn2_saveexec_b32 s16, s16
; %bb.2261:                             ;   in Loop: Header=BB6_356 Depth=4
	v_bfe_u32 v57, v46, 23, 1
; %bb.2262:                             ;   in Loop: Header=BB6_356 Depth=4
	s_or_b32 exec_lo, exec_lo, s16
	v_lshrrev_b32_e32 v86, 20, v46
	v_min_i32_e32 v87, 15, v57
	v_cmp_gt_i32_e32 vcc_lo, 16, v57
	v_and_b32_sdwa v12, v98, v62 dst_sel:DWORD dst_unused:UNUSED_PAD src0_sel:BYTE_3 src1_sel:DWORD
	v_lshlrev_b32_e32 v87, 3, v87
	v_cndmask_b32_e32 v86, 7, v86, vcc_lo
	v_and_b32_e32 v87, 0xf8, v87
	v_or_b32_e32 v98, v57, v86
	v_and_b32_e32 v86, 7, v86
	v_cmp_ne_u32_e32 vcc_lo, 0, v98
	v_or3_b32 v12, v87, v12, v86
	v_cndmask_b32_e32 v12, 0, v12, vcc_lo
.LBB6_2263:                             ;   in Loop: Header=BB6_356 Depth=4
	s_or_b32 exec_lo, exec_lo, s73
.LBB6_2264:                             ;   in Loop: Header=BB6_356 Depth=4
	s_or_b32 exec_lo, exec_lo, s72
	v_cmp_gt_i16_sdwa s72, v13, v61 src0_sel:BYTE_1 src1_sel:DWORD
	s_andn2_b32 vcc_lo, exec_lo, s63
	s_mov_b32 s16, -1
                                        ; implicit-def: $vgpr98
	s_cbranch_vccnz .LBB6_2278
; %bb.2265:                             ;   in Loop: Header=BB6_356 Depth=4
	s_mov_b32 s16, 0
	s_and_saveexec_b32 s73, s72
	s_xor_b32 s72, exec_lo, s73
	s_cbranch_execz .LBB6_3082
; %bb.2266:                             ;   in Loop: Header=BB6_356 Depth=4
	v_cmp_eq_u16_sdwa s74, v13, v62 src0_sel:BYTE_1 src1_sel:DWORD
	s_mov_b32 s16, -1
	s_and_saveexec_b32 s73, s74
; %bb.2267:                             ;   in Loop: Header=BB6_356 Depth=4
	s_xor_b32 s16, exec_lo, -1
; %bb.2268:                             ;   in Loop: Header=BB6_356 Depth=4
	s_or_b32 exec_lo, exec_lo, s73
	s_and_b32 s16, s16, exec_lo
	s_or_saveexec_b32 s72, s72
	v_mov_b32_e32 v98, 0x7f800001
	s_xor_b32 exec_lo, exec_lo, s72
	s_cbranch_execnz .LBB6_3083
.LBB6_2269:                             ;   in Loop: Header=BB6_356 Depth=4
	s_or_b32 exec_lo, exec_lo, s72
	s_and_saveexec_b32 s72, s16
	s_cbranch_execz .LBB6_2271
.LBB6_2270:                             ;   in Loop: Header=BB6_356 Depth=4
	v_and_b32_sdwa v86, v63, v13 dst_sel:DWORD dst_unused:UNUSED_PAD src0_sel:DWORD src1_sel:BYTE_1
	v_and_b32_e32 v87, 7, v86
	v_bfe_u32 v46, v86, 3, 4
	v_ffbh_u32_e32 v98, v87
	v_cmp_eq_u32_e32 vcc_lo, 0, v46
	v_min_u32_e32 v98, 32, v98
	v_subrev_nc_u32_e32 v99, 28, v98
	v_sub_nc_u32_e32 v98, 29, v98
	v_lshlrev_b32_e32 v86, v99, v86
	v_lshlrev_b32_e32 v99, 16, v13
	v_cndmask_b32_e32 v98, v46, v98, vcc_lo
	v_and_b32_e32 v86, 7, v86
	v_lshl_add_u32 v98, v98, 23, 0x3b800000
	v_cndmask_b32_e32 v86, v87, v86, vcc_lo
	v_and_b32_e32 v87, 0x80000000, v99
	v_lshlrev_b32_e32 v86, 20, v86
	v_or3_b32 v98, v87, v98, v86
.LBB6_2271:                             ;   in Loop: Header=BB6_356 Depth=4
	s_or_b32 exec_lo, exec_lo, s72
	v_cmp_gt_i16_sdwa s72, v9, v61 src0_sel:BYTE_1 src1_sel:DWORD
	s_mov_b32 s16, 0
	s_and_saveexec_b32 s73, s72
	s_xor_b32 s72, exec_lo, s73
	s_cbranch_execz .LBB6_3084
; %bb.2272:                             ;   in Loop: Header=BB6_356 Depth=4
	v_cmp_eq_u16_sdwa s74, v9, v62 src0_sel:BYTE_1 src1_sel:DWORD
	s_mov_b32 s16, -1
	s_and_saveexec_b32 s73, s74
; %bb.2273:                             ;   in Loop: Header=BB6_356 Depth=4
	s_xor_b32 s16, exec_lo, -1
; %bb.2274:                             ;   in Loop: Header=BB6_356 Depth=4
	s_or_b32 exec_lo, exec_lo, s73
	s_and_b32 s16, s16, exec_lo
	s_or_saveexec_b32 s72, s72
	v_mov_b32_e32 v86, 0x7f800001
	s_xor_b32 exec_lo, exec_lo, s72
	s_cbranch_execnz .LBB6_3085
.LBB6_2275:                             ;   in Loop: Header=BB6_356 Depth=4
	s_or_b32 exec_lo, exec_lo, s72
	s_and_saveexec_b32 s72, s16
	s_cbranch_execz .LBB6_2277
.LBB6_2276:                             ;   in Loop: Header=BB6_356 Depth=4
	v_and_b32_sdwa v86, v63, v9 dst_sel:DWORD dst_unused:UNUSED_PAD src0_sel:DWORD src1_sel:BYTE_1
	v_and_b32_e32 v87, 7, v86
	v_bfe_u32 v57, v86, 3, 4
	v_ffbh_u32_e32 v99, v87
	v_cmp_eq_u32_e32 vcc_lo, 0, v57
	v_min_u32_e32 v99, 32, v99
	v_subrev_nc_u32_e32 v46, 28, v99
	v_sub_nc_u32_e32 v99, 29, v99
	v_lshlrev_b32_e32 v86, v46, v86
	v_lshlrev_b32_e32 v46, 16, v9
	v_cndmask_b32_e32 v99, v57, v99, vcc_lo
	v_and_b32_e32 v86, 7, v86
	v_lshl_add_u32 v99, v99, 23, 0x3b800000
	v_cndmask_b32_e32 v86, v87, v86, vcc_lo
	v_and_b32_e32 v87, 0x80000000, v46
	v_lshlrev_b32_e32 v86, 20, v86
	v_or3_b32 v86, v87, v99, v86
.LBB6_2277:                             ;   in Loop: Header=BB6_356 Depth=4
	s_or_b32 exec_lo, exec_lo, s72
	v_max_f32_e32 v86, v86, v86
	v_max_f32_e32 v87, v98, v98
	s_mov_b32 s16, 0
	v_max_f32_e32 v98, v87, v86
.LBB6_2278:                             ;   in Loop: Header=BB6_356 Depth=4
	s_and_b32 vcc_lo, exec_lo, s16
	s_cbranch_vccz .LBB6_2292
; %bb.2279:                             ;   in Loop: Header=BB6_356 Depth=4
	v_cmp_gt_i16_sdwa s72, v13, v61 src0_sel:BYTE_1 src1_sel:DWORD
	s_mov_b32 s16, 0
	s_and_saveexec_b32 s73, s72
	s_xor_b32 s72, exec_lo, s73
	s_cbranch_execz .LBB6_3086
; %bb.2280:                             ;   in Loop: Header=BB6_356 Depth=4
	v_cmp_eq_u16_sdwa s74, v13, v62 src0_sel:BYTE_1 src1_sel:DWORD
	s_mov_b32 s16, -1
	s_and_saveexec_b32 s73, s74
; %bb.2281:                             ;   in Loop: Header=BB6_356 Depth=4
	s_xor_b32 s16, exec_lo, -1
; %bb.2282:                             ;   in Loop: Header=BB6_356 Depth=4
	s_or_b32 exec_lo, exec_lo, s73
	s_and_b32 s16, s16, exec_lo
	s_or_saveexec_b32 s72, s72
	v_mov_b32_e32 v98, 0x7f800001
	s_xor_b32 exec_lo, exec_lo, s72
	s_cbranch_execnz .LBB6_3087
.LBB6_2283:                             ;   in Loop: Header=BB6_356 Depth=4
	s_or_b32 exec_lo, exec_lo, s72
	s_and_saveexec_b32 s72, s16
	s_cbranch_execz .LBB6_2285
.LBB6_2284:                             ;   in Loop: Header=BB6_356 Depth=4
	v_and_b32_sdwa v86, v63, v13 dst_sel:DWORD dst_unused:UNUSED_PAD src0_sel:DWORD src1_sel:BYTE_1
	v_and_b32_e32 v87, 7, v86
	v_bfe_u32 v46, v86, 3, 4
	v_ffbh_u32_e32 v98, v87
	v_cmp_eq_u32_e32 vcc_lo, 0, v46
	v_min_u32_e32 v98, 32, v98
	v_subrev_nc_u32_e32 v99, 28, v98
	v_sub_nc_u32_e32 v98, 29, v98
	v_lshlrev_b32_e32 v86, v99, v86
	v_lshlrev_b32_e32 v99, 16, v13
	v_cndmask_b32_e32 v98, v46, v98, vcc_lo
	v_and_b32_e32 v86, 7, v86
	v_lshl_add_u32 v98, v98, 23, 0x3b800000
	v_cndmask_b32_e32 v86, v87, v86, vcc_lo
	v_and_b32_e32 v87, 0x80000000, v99
	v_lshlrev_b32_e32 v86, 20, v86
	v_or3_b32 v98, v87, v98, v86
.LBB6_2285:                             ;   in Loop: Header=BB6_356 Depth=4
	s_or_b32 exec_lo, exec_lo, s72
	v_cmp_gt_i16_sdwa s72, v9, v61 src0_sel:BYTE_1 src1_sel:DWORD
	s_mov_b32 s16, 0
	s_and_saveexec_b32 s73, s72
	s_xor_b32 s72, exec_lo, s73
	s_cbranch_execz .LBB6_3088
; %bb.2286:                             ;   in Loop: Header=BB6_356 Depth=4
	v_cmp_eq_u16_sdwa s74, v9, v62 src0_sel:BYTE_1 src1_sel:DWORD
	s_mov_b32 s16, -1
	s_and_saveexec_b32 s73, s74
; %bb.2287:                             ;   in Loop: Header=BB6_356 Depth=4
	s_xor_b32 s16, exec_lo, -1
; %bb.2288:                             ;   in Loop: Header=BB6_356 Depth=4
	s_or_b32 exec_lo, exec_lo, s73
	s_and_b32 s16, s16, exec_lo
	s_or_saveexec_b32 s72, s72
	v_mov_b32_e32 v86, 0x7f800001
	s_xor_b32 exec_lo, exec_lo, s72
	s_cbranch_execnz .LBB6_3089
.LBB6_2289:                             ;   in Loop: Header=BB6_356 Depth=4
	s_or_b32 exec_lo, exec_lo, s72
	s_and_saveexec_b32 s72, s16
	s_cbranch_execz .LBB6_2291
.LBB6_2290:                             ;   in Loop: Header=BB6_356 Depth=4
	v_and_b32_sdwa v86, v63, v9 dst_sel:DWORD dst_unused:UNUSED_PAD src0_sel:DWORD src1_sel:BYTE_1
	v_and_b32_e32 v87, 7, v86
	v_bfe_u32 v57, v86, 3, 4
	v_ffbh_u32_e32 v99, v87
	v_cmp_eq_u32_e32 vcc_lo, 0, v57
	v_min_u32_e32 v99, 32, v99
	v_subrev_nc_u32_e32 v46, 28, v99
	v_sub_nc_u32_e32 v99, 29, v99
	v_lshlrev_b32_e32 v86, v46, v86
	v_lshlrev_b32_e32 v46, 16, v9
	v_cndmask_b32_e32 v99, v57, v99, vcc_lo
	v_and_b32_e32 v86, 7, v86
	v_lshl_add_u32 v99, v99, 23, 0x3b800000
	v_cndmask_b32_e32 v86, v87, v86, vcc_lo
	v_and_b32_e32 v87, 0x80000000, v46
	v_lshlrev_b32_e32 v86, 20, v86
	v_or3_b32 v86, v87, v99, v86
.LBB6_2291:                             ;   in Loop: Header=BB6_356 Depth=4
	s_or_b32 exec_lo, exec_lo, s72
	v_max_f32_e32 v86, v86, v86
	v_max_f32_e32 v87, v98, v98
	v_min_f32_e32 v98, v87, v86
.LBB6_2292:                             ;   in Loop: Header=BB6_356 Depth=4
	v_and_b32_e32 v86, 0x7f800000, v98
	v_mov_b32_e32 v57, 0x8000
	s_mov_b32 s72, exec_lo
	v_cmpx_ne_u32_e32 0x7f800000, v86
	s_cbranch_execz .LBB6_2300
; %bb.2293:                             ;   in Loop: Header=BB6_356 Depth=4
	v_mov_b32_e32 v57, 0
	s_mov_b32 s73, exec_lo
	v_cmpx_ne_u32_e32 0, v98
	s_cbranch_execz .LBB6_2299
; %bb.2294:                             ;   in Loop: Header=BB6_356 Depth=4
	v_bfe_u32 v87, v98, 23, 8
	v_and_b32_e32 v86, 0x7fffff, v98
                                        ; implicit-def: $vgpr60
	v_cmp_gt_u32_e64 s16, 0x79, v87
	v_sub_nc_u32_e32 v99, 0x78, v87
	v_cmp_eq_u32_e32 vcc_lo, 0, v87
	v_or_b32_e32 v46, 0x800000, v86
	v_add_nc_u32_e32 v87, 0xffffff89, v87
	v_cndmask_b32_e64 v99, 0, v99, s16
	v_cndmask_b32_e32 v86, v46, v86, vcc_lo
	v_cndmask_b32_e64 v87, v87, 0xffffff8a, vcc_lo
	v_cndmask_b32_e64 v99, v99, 0x77, vcc_lo
	v_lshl_add_u32 v46, 0x100000, v99, -1
	v_lshlrev_b32_e64 v57, v99, 0x80000
	v_and_b32_e32 v46, v46, v86
	v_lshrrev_b32_e32 v86, v99, v86
	v_add_nc_u32_e32 v99, v99, v87
	v_cmp_eq_u32_e64 s16, v46, v57
	v_lshrrev_b32_e32 v87, 23, v86
	v_xor_b32_e32 v46, 1, v87
	v_bfe_u32 v87, v86, 20, 1
	v_add_nc_u32_e32 v87, -1, v87
	v_cndmask_b32_e64 v87, 0, v87, s16
	s_mov_b32 s16, exec_lo
	v_add_nc_u32_e32 v87, v87, v86
	v_and_b32_e32 v87, 0xfffff, v87
	v_add_nc_u32_e32 v57, v87, v86
	v_cmpx_ne_u32_e64 v99, v46
	s_xor_b32 s16, exec_lo, s16
; %bb.2295:                             ;   in Loop: Header=BB6_356 Depth=4
	v_cmp_lt_u32_e32 vcc_lo, 0xffffff, v57
	v_sub_nc_u32_e32 v86, v99, v46
	v_cndmask_b32_e64 v87, 0, 1, vcc_lo
	v_add_co_ci_u32_e64 v60, null, 0, v86, vcc_lo
	v_lshrrev_b32_e32 v57, v87, v57
; %bb.2296:                             ;   in Loop: Header=BB6_356 Depth=4
	s_andn2_saveexec_b32 s16, s16
; %bb.2297:                             ;   in Loop: Header=BB6_356 Depth=4
	v_bfe_u32 v60, v57, 23, 1
; %bb.2298:                             ;   in Loop: Header=BB6_356 Depth=4
	s_or_b32 exec_lo, exec_lo, s16
	v_and_b32_sdwa v86, v98, v62 dst_sel:DWORD dst_unused:UNUSED_PAD src0_sel:BYTE_3 src1_sel:DWORD
	v_lshrrev_b32_e32 v87, 20, v57
	v_min_i32_e32 v98, 15, v60
	v_cmp_gt_i32_e32 vcc_lo, 16, v60
	v_lshlrev_b32_e32 v98, 3, v98
	v_cndmask_b32_e32 v87, 7, v87, vcc_lo
	v_and_b32_e32 v98, 0xf8, v98
	v_or_b32_e32 v99, v60, v87
	v_and_b32_e32 v87, 7, v87
	v_cmp_ne_u32_e32 vcc_lo, 0, v99
	v_or3_b32 v86, v86, v98, v87
	v_lshlrev_b32_e32 v86, 8, v86
	v_cndmask_b32_e32 v57, 0, v86, vcc_lo
.LBB6_2299:                             ;   in Loop: Header=BB6_356 Depth=4
	s_or_b32 exec_lo, exec_lo, s73
.LBB6_2300:                             ;   in Loop: Header=BB6_356 Depth=4
	s_or_b32 exec_lo, exec_lo, s72
	v_and_b32_sdwa v98, v13, v72 dst_sel:DWORD dst_unused:UNUSED_PAD src0_sel:WORD_1 src1_sel:DWORD
	s_andn2_b32 vcc_lo, exec_lo, s63
	s_mov_b32 s72, -1
                                        ; implicit-def: $vgpr99
	v_cmp_lt_i16_e64 s16, 0x7f, v98
	s_cbranch_vccnz .LBB6_2314
; %bb.2301:                             ;   in Loop: Header=BB6_356 Depth=4
	s_mov_b32 s72, 0
	s_and_saveexec_b32 s73, s16
	s_xor_b32 s16, exec_lo, s73
	s_cbranch_execz .LBB6_3090
; %bb.2302:                             ;   in Loop: Header=BB6_356 Depth=4
	s_mov_b32 s72, -1
	s_mov_b32 s73, exec_lo
	v_cmpx_eq_u16_e32 0x80, v98
; %bb.2303:                             ;   in Loop: Header=BB6_356 Depth=4
	s_xor_b32 s72, exec_lo, -1
; %bb.2304:                             ;   in Loop: Header=BB6_356 Depth=4
	s_or_b32 exec_lo, exec_lo, s73
	s_and_b32 s72, s72, exec_lo
	s_or_saveexec_b32 s16, s16
	v_mov_b32_e32 v99, 0x7f800001
	s_xor_b32 exec_lo, exec_lo, s16
	s_cbranch_execnz .LBB6_3091
.LBB6_2305:                             ;   in Loop: Header=BB6_356 Depth=4
	s_or_b32 exec_lo, exec_lo, s16
	s_and_saveexec_b32 s16, s72
	s_cbranch_execz .LBB6_2307
.LBB6_2306:                             ;   in Loop: Header=BB6_356 Depth=4
	v_bfe_u32 v86, v13, 16, 3
	v_bfe_u32 v87, v13, 19, 4
	v_ffbh_u32_e32 v99, v86
	v_cmp_eq_u32_e32 vcc_lo, 0, v87
	v_min_u32_e32 v99, 32, v99
	v_subrev_nc_u32_e32 v46, 28, v99
	v_sub_nc_u32_e32 v99, 29, v99
	v_lshlrev_b32_sdwa v46, v46, v13 dst_sel:DWORD dst_unused:UNUSED_PAD src0_sel:DWORD src1_sel:WORD_1
	v_cndmask_b32_e32 v87, v87, v99, vcc_lo
	v_lshlrev_b32_sdwa v99, v73, v13 dst_sel:DWORD dst_unused:UNUSED_PAD src0_sel:DWORD src1_sel:WORD_1
	v_and_b32_e32 v46, 7, v46
	v_lshl_add_u32 v87, v87, 23, 0x3b800000
	v_and_b32_e32 v99, 0x80000000, v99
	v_cndmask_b32_e32 v86, v86, v46, vcc_lo
	v_lshlrev_b32_e32 v86, 20, v86
	v_or3_b32 v99, v99, v87, v86
.LBB6_2307:                             ;   in Loop: Header=BB6_356 Depth=4
	s_or_b32 exec_lo, exec_lo, s16
	v_and_b32_sdwa v87, v9, v72 dst_sel:DWORD dst_unused:UNUSED_PAD src0_sel:WORD_1 src1_sel:DWORD
	s_mov_b32 s72, 0
	s_mov_b32 s16, exec_lo
	v_cmpx_lt_i16_e32 0x7f, v87
	s_xor_b32 s16, exec_lo, s16
	s_cbranch_execz .LBB6_3092
; %bb.2308:                             ;   in Loop: Header=BB6_356 Depth=4
	s_mov_b32 s72, -1
	s_mov_b32 s73, exec_lo
	v_cmpx_eq_u16_e32 0x80, v87
; %bb.2309:                             ;   in Loop: Header=BB6_356 Depth=4
	s_xor_b32 s72, exec_lo, -1
; %bb.2310:                             ;   in Loop: Header=BB6_356 Depth=4
	s_or_b32 exec_lo, exec_lo, s73
	s_and_b32 s72, s72, exec_lo
                                        ; implicit-def: $vgpr87
	s_or_saveexec_b32 s16, s16
	v_mov_b32_e32 v86, 0x7f800001
	s_xor_b32 exec_lo, exec_lo, s16
	s_cbranch_execnz .LBB6_3093
.LBB6_2311:                             ;   in Loop: Header=BB6_356 Depth=4
	s_or_b32 exec_lo, exec_lo, s16
	s_and_saveexec_b32 s16, s72
	s_cbranch_execz .LBB6_2313
.LBB6_2312:                             ;   in Loop: Header=BB6_356 Depth=4
	v_bfe_u32 v86, v9, 16, 3
	v_bfe_u32 v87, v9, 19, 4
	v_ffbh_u32_e32 v46, v86
	v_cmp_eq_u32_e32 vcc_lo, 0, v87
	v_min_u32_e32 v46, 32, v46
	v_subrev_nc_u32_e32 v60, 28, v46
	v_sub_nc_u32_e32 v46, 29, v46
	v_lshlrev_b32_sdwa v60, v60, v9 dst_sel:DWORD dst_unused:UNUSED_PAD src0_sel:DWORD src1_sel:WORD_1
	v_cndmask_b32_e32 v87, v87, v46, vcc_lo
	v_lshlrev_b32_sdwa v46, v73, v9 dst_sel:DWORD dst_unused:UNUSED_PAD src0_sel:DWORD src1_sel:WORD_1
	v_and_b32_e32 v60, 7, v60
	v_lshl_add_u32 v87, v87, 23, 0x3b800000
	v_and_b32_e32 v46, 0x80000000, v46
	v_cndmask_b32_e32 v86, v86, v60, vcc_lo
	v_lshlrev_b32_e32 v86, 20, v86
	v_or3_b32 v86, v46, v87, v86
.LBB6_2313:                             ;   in Loop: Header=BB6_356 Depth=4
	s_or_b32 exec_lo, exec_lo, s16
	v_max_f32_e32 v86, v86, v86
	v_max_f32_e32 v87, v99, v99
	s_mov_b32 s72, 0
	v_max_f32_e32 v99, v87, v86
.LBB6_2314:                             ;   in Loop: Header=BB6_356 Depth=4
	s_and_b32 vcc_lo, exec_lo, s72
	s_cbranch_vccz .LBB6_2328
; %bb.2315:                             ;   in Loop: Header=BB6_356 Depth=4
	s_mov_b32 s72, 0
	s_mov_b32 s16, exec_lo
	v_cmpx_lt_i16_e32 0x7f, v98
	s_xor_b32 s16, exec_lo, s16
	s_cbranch_execz .LBB6_3094
; %bb.2316:                             ;   in Loop: Header=BB6_356 Depth=4
	s_mov_b32 s72, -1
	s_mov_b32 s73, exec_lo
	v_cmpx_eq_u16_e32 0x80, v98
; %bb.2317:                             ;   in Loop: Header=BB6_356 Depth=4
	s_xor_b32 s72, exec_lo, -1
; %bb.2318:                             ;   in Loop: Header=BB6_356 Depth=4
	s_or_b32 exec_lo, exec_lo, s73
	s_and_b32 s72, s72, exec_lo
                                        ; implicit-def: $vgpr98
	s_or_saveexec_b32 s16, s16
	v_mov_b32_e32 v99, 0x7f800001
	s_xor_b32 exec_lo, exec_lo, s16
	s_cbranch_execnz .LBB6_3095
.LBB6_2319:                             ;   in Loop: Header=BB6_356 Depth=4
	s_or_b32 exec_lo, exec_lo, s16
	s_and_saveexec_b32 s16, s72
	s_cbranch_execz .LBB6_2321
.LBB6_2320:                             ;   in Loop: Header=BB6_356 Depth=4
	v_bfe_u32 v86, v13, 16, 3
	v_bfe_u32 v87, v13, 19, 4
	v_ffbh_u32_e32 v98, v86
	v_cmp_eq_u32_e32 vcc_lo, 0, v87
	v_min_u32_e32 v98, 32, v98
	v_subrev_nc_u32_e32 v99, 28, v98
	v_sub_nc_u32_e32 v98, 29, v98
	v_lshlrev_b32_sdwa v99, v99, v13 dst_sel:DWORD dst_unused:UNUSED_PAD src0_sel:DWORD src1_sel:WORD_1
	v_cndmask_b32_e32 v87, v87, v98, vcc_lo
	v_lshlrev_b32_sdwa v98, v73, v13 dst_sel:DWORD dst_unused:UNUSED_PAD src0_sel:DWORD src1_sel:WORD_1
	v_and_b32_e32 v99, 7, v99
	v_lshl_add_u32 v87, v87, 23, 0x3b800000
	v_and_b32_e32 v98, 0x80000000, v98
	v_cndmask_b32_e32 v86, v86, v99, vcc_lo
	v_lshlrev_b32_e32 v86, 20, v86
	v_or3_b32 v99, v98, v87, v86
.LBB6_2321:                             ;   in Loop: Header=BB6_356 Depth=4
	s_or_b32 exec_lo, exec_lo, s16
	v_and_b32_sdwa v87, v9, v72 dst_sel:DWORD dst_unused:UNUSED_PAD src0_sel:WORD_1 src1_sel:DWORD
	s_mov_b32 s72, 0
	s_mov_b32 s16, exec_lo
	v_cmpx_lt_i16_e32 0x7f, v87
	s_xor_b32 s16, exec_lo, s16
	s_cbranch_execz .LBB6_3096
; %bb.2322:                             ;   in Loop: Header=BB6_356 Depth=4
	s_mov_b32 s72, -1
	s_mov_b32 s73, exec_lo
	v_cmpx_eq_u16_e32 0x80, v87
; %bb.2323:                             ;   in Loop: Header=BB6_356 Depth=4
	s_xor_b32 s72, exec_lo, -1
; %bb.2324:                             ;   in Loop: Header=BB6_356 Depth=4
	s_or_b32 exec_lo, exec_lo, s73
	s_and_b32 s72, s72, exec_lo
                                        ; implicit-def: $vgpr87
	s_or_saveexec_b32 s16, s16
	v_mov_b32_e32 v86, 0x7f800001
	s_xor_b32 exec_lo, exec_lo, s16
	s_cbranch_execnz .LBB6_3097
.LBB6_2325:                             ;   in Loop: Header=BB6_356 Depth=4
	s_or_b32 exec_lo, exec_lo, s16
	s_and_saveexec_b32 s16, s72
	s_cbranch_execz .LBB6_2327
.LBB6_2326:                             ;   in Loop: Header=BB6_356 Depth=4
	v_bfe_u32 v86, v9, 16, 3
	v_bfe_u32 v87, v9, 19, 4
	v_ffbh_u32_e32 v98, v86
	v_cmp_eq_u32_e32 vcc_lo, 0, v87
	v_min_u32_e32 v98, 32, v98
	v_subrev_nc_u32_e32 v46, 28, v98
	v_sub_nc_u32_e32 v98, 29, v98
	v_lshlrev_b32_sdwa v46, v46, v9 dst_sel:DWORD dst_unused:UNUSED_PAD src0_sel:DWORD src1_sel:WORD_1
	v_cndmask_b32_e32 v87, v87, v98, vcc_lo
	v_lshlrev_b32_sdwa v98, v73, v9 dst_sel:DWORD dst_unused:UNUSED_PAD src0_sel:DWORD src1_sel:WORD_1
	v_and_b32_e32 v46, 7, v46
	v_lshl_add_u32 v87, v87, 23, 0x3b800000
	v_and_b32_e32 v98, 0x80000000, v98
	v_cndmask_b32_e32 v86, v86, v46, vcc_lo
	v_lshlrev_b32_e32 v86, 20, v86
	v_or3_b32 v86, v98, v87, v86
.LBB6_2327:                             ;   in Loop: Header=BB6_356 Depth=4
	s_or_b32 exec_lo, exec_lo, s16
	v_max_f32_e32 v86, v86, v86
	v_max_f32_e32 v87, v99, v99
	v_min_f32_e32 v99, v87, v86
.LBB6_2328:                             ;   in Loop: Header=BB6_356 Depth=4
	v_and_b32_e32 v86, 0x7f800000, v99
	v_mov_b32_e32 v98, 0x80
	s_mov_b32 s72, exec_lo
	v_cmpx_ne_u32_e32 0x7f800000, v86
	s_cbranch_execz .LBB6_2336
; %bb.2329:                             ;   in Loop: Header=BB6_356 Depth=4
	v_mov_b32_e32 v98, 0
	s_mov_b32 s73, exec_lo
	v_cmpx_ne_u32_e32 0, v99
	s_cbranch_execz .LBB6_2335
; %bb.2330:                             ;   in Loop: Header=BB6_356 Depth=4
	v_bfe_u32 v87, v99, 23, 8
	v_and_b32_e32 v86, 0x7fffff, v99
                                        ; implicit-def: $vgpr74
	v_cmp_gt_u32_e64 s16, 0x79, v87
	v_sub_nc_u32_e32 v98, 0x78, v87
	v_cmp_eq_u32_e32 vcc_lo, 0, v87
	v_or_b32_e32 v46, 0x800000, v86
	v_add_nc_u32_e32 v87, 0xffffff89, v87
	v_cndmask_b32_e64 v98, 0, v98, s16
	v_cndmask_b32_e32 v86, v46, v86, vcc_lo
	v_cndmask_b32_e64 v87, v87, 0xffffff8a, vcc_lo
	v_cndmask_b32_e64 v98, v98, 0x77, vcc_lo
	v_lshl_add_u32 v46, 0x100000, v98, -1
	v_lshlrev_b32_e64 v60, v98, 0x80000
	v_and_b32_e32 v46, v46, v86
	v_lshrrev_b32_e32 v86, v98, v86
	v_add_nc_u32_e32 v98, v98, v87
	v_cmp_eq_u32_e64 s16, v46, v60
	v_lshrrev_b32_e32 v87, 23, v86
	v_xor_b32_e32 v46, 1, v87
	v_bfe_u32 v87, v86, 20, 1
	v_add_nc_u32_e32 v87, -1, v87
	v_cndmask_b32_e64 v87, 0, v87, s16
	s_mov_b32 s16, exec_lo
	v_add_nc_u32_e32 v87, v87, v86
	v_and_b32_e32 v87, 0xfffff, v87
	v_add_nc_u32_e32 v60, v87, v86
	v_cmpx_ne_u32_e64 v98, v46
	s_xor_b32 s16, exec_lo, s16
; %bb.2331:                             ;   in Loop: Header=BB6_356 Depth=4
	v_cmp_lt_u32_e32 vcc_lo, 0xffffff, v60
	v_sub_nc_u32_e32 v86, v98, v46
	v_cndmask_b32_e64 v87, 0, 1, vcc_lo
	v_add_co_ci_u32_e64 v74, null, 0, v86, vcc_lo
	v_lshrrev_b32_e32 v60, v87, v60
; %bb.2332:                             ;   in Loop: Header=BB6_356 Depth=4
	s_andn2_saveexec_b32 s16, s16
; %bb.2333:                             ;   in Loop: Header=BB6_356 Depth=4
	v_bfe_u32 v74, v60, 23, 1
; %bb.2334:                             ;   in Loop: Header=BB6_356 Depth=4
	s_or_b32 exec_lo, exec_lo, s16
	v_lshrrev_b32_e32 v87, 20, v60
	v_min_i32_e32 v98, 15, v74
	v_cmp_gt_i32_e32 vcc_lo, 16, v74
	v_and_b32_sdwa v86, v99, v62 dst_sel:DWORD dst_unused:UNUSED_PAD src0_sel:BYTE_3 src1_sel:DWORD
	v_lshlrev_b32_e32 v98, 3, v98
	v_cndmask_b32_e32 v87, 7, v87, vcc_lo
	v_and_b32_e32 v98, 0xf8, v98
	v_or_b32_e32 v99, v74, v87
	v_and_b32_e32 v87, 7, v87
	v_cmp_ne_u32_e32 vcc_lo, 0, v99
	v_or3_b32 v86, v98, v86, v87
	v_cndmask_b32_e32 v98, 0, v86, vcc_lo
.LBB6_2335:                             ;   in Loop: Header=BB6_356 Depth=4
	s_or_b32 exec_lo, exec_lo, s73
.LBB6_2336:                             ;   in Loop: Header=BB6_356 Depth=4
	s_or_b32 exec_lo, exec_lo, s72
	v_cmp_gt_i16_sdwa s72, v13, v61 src0_sel:BYTE_3 src1_sel:DWORD
	s_andn2_b32 vcc_lo, exec_lo, s63
	s_mov_b32 s16, -1
                                        ; implicit-def: $vgpr99
	s_cbranch_vccnz .LBB6_2350
; %bb.2337:                             ;   in Loop: Header=BB6_356 Depth=4
	s_mov_b32 s16, 0
	s_and_saveexec_b32 s73, s72
	s_xor_b32 s72, exec_lo, s73
	s_cbranch_execz .LBB6_3098
; %bb.2338:                             ;   in Loop: Header=BB6_356 Depth=4
	v_cmp_eq_u16_sdwa s74, v13, v62 src0_sel:BYTE_3 src1_sel:DWORD
	s_mov_b32 s16, -1
	s_and_saveexec_b32 s73, s74
; %bb.2339:                             ;   in Loop: Header=BB6_356 Depth=4
	s_xor_b32 s16, exec_lo, -1
; %bb.2340:                             ;   in Loop: Header=BB6_356 Depth=4
	s_or_b32 exec_lo, exec_lo, s73
	s_and_b32 s16, s16, exec_lo
	s_or_saveexec_b32 s72, s72
	v_mov_b32_e32 v99, 0x7f800001
	s_xor_b32 exec_lo, exec_lo, s72
	s_cbranch_execnz .LBB6_3099
.LBB6_2341:                             ;   in Loop: Header=BB6_356 Depth=4
	s_or_b32 exec_lo, exec_lo, s72
	s_and_saveexec_b32 s72, s16
	s_cbranch_execz .LBB6_2343
.LBB6_2342:                             ;   in Loop: Header=BB6_356 Depth=4
	v_bfe_u32 v86, v13, 24, 3
	v_bfe_u32 v46, v13, 27, 4
	v_ffbh_u32_e32 v87, v86
	v_cmp_eq_u32_e32 vcc_lo, 0, v46
	v_min_u32_e32 v87, 32, v87
	v_subrev_nc_u32_e32 v99, 28, v87
	v_sub_nc_u32_e32 v87, 29, v87
	v_lshlrev_b32_sdwa v99, v99, v13 dst_sel:DWORD dst_unused:UNUSED_PAD src0_sel:DWORD src1_sel:BYTE_3
	v_cndmask_b32_e32 v87, v46, v87, vcc_lo
	v_and_b32_e32 v99, 7, v99
	v_lshl_add_u32 v87, v87, 23, 0x3b800000
	v_cndmask_b32_e32 v86, v86, v99, vcc_lo
	v_and_b32_e32 v99, 0x80000000, v13
	v_lshlrev_b32_e32 v86, 20, v86
	v_or3_b32 v99, v99, v87, v86
.LBB6_2343:                             ;   in Loop: Header=BB6_356 Depth=4
	s_or_b32 exec_lo, exec_lo, s72
	v_cmp_gt_i16_sdwa s72, v9, v61 src0_sel:BYTE_3 src1_sel:DWORD
	s_mov_b32 s16, 0
	s_and_saveexec_b32 s73, s72
	s_xor_b32 s72, exec_lo, s73
	s_cbranch_execz .LBB6_3100
; %bb.2344:                             ;   in Loop: Header=BB6_356 Depth=4
	v_cmp_eq_u16_sdwa s74, v9, v62 src0_sel:BYTE_3 src1_sel:DWORD
	s_mov_b32 s16, -1
	s_and_saveexec_b32 s73, s74
; %bb.2345:                             ;   in Loop: Header=BB6_356 Depth=4
	s_xor_b32 s16, exec_lo, -1
; %bb.2346:                             ;   in Loop: Header=BB6_356 Depth=4
	s_or_b32 exec_lo, exec_lo, s73
	s_and_b32 s16, s16, exec_lo
	s_or_saveexec_b32 s72, s72
	v_mov_b32_e32 v86, 0x7f800001
	s_xor_b32 exec_lo, exec_lo, s72
	s_cbranch_execnz .LBB6_3101
.LBB6_2347:                             ;   in Loop: Header=BB6_356 Depth=4
	s_or_b32 exec_lo, exec_lo, s72
	s_and_saveexec_b32 s72, s16
	s_cbranch_execz .LBB6_2349
.LBB6_2348:                             ;   in Loop: Header=BB6_356 Depth=4
	v_bfe_u32 v86, v9, 24, 3
	v_bfe_u32 v60, v9, 27, 4
	v_ffbh_u32_e32 v87, v86
	v_cmp_eq_u32_e32 vcc_lo, 0, v60
	v_min_u32_e32 v87, 32, v87
	v_subrev_nc_u32_e32 v46, 28, v87
	v_sub_nc_u32_e32 v87, 29, v87
	v_lshlrev_b32_sdwa v46, v46, v9 dst_sel:DWORD dst_unused:UNUSED_PAD src0_sel:DWORD src1_sel:BYTE_3
	v_cndmask_b32_e32 v87, v60, v87, vcc_lo
	v_and_b32_e32 v46, 7, v46
	v_lshl_add_u32 v87, v87, 23, 0x3b800000
	v_cndmask_b32_e32 v86, v86, v46, vcc_lo
	v_and_b32_e32 v46, 0x80000000, v9
	v_lshlrev_b32_e32 v86, 20, v86
	v_or3_b32 v86, v46, v87, v86
.LBB6_2349:                             ;   in Loop: Header=BB6_356 Depth=4
	s_or_b32 exec_lo, exec_lo, s72
	v_max_f32_e32 v86, v86, v86
	v_max_f32_e32 v87, v99, v99
	s_mov_b32 s16, 0
	v_max_f32_e32 v99, v87, v86
.LBB6_2350:                             ;   in Loop: Header=BB6_356 Depth=4
	s_and_b32 vcc_lo, exec_lo, s16
	s_cbranch_vccz .LBB6_2364
; %bb.2351:                             ;   in Loop: Header=BB6_356 Depth=4
	v_cmp_gt_i16_sdwa s72, v13, v61 src0_sel:BYTE_3 src1_sel:DWORD
	s_mov_b32 s16, 0
	s_and_saveexec_b32 s73, s72
	s_xor_b32 s72, exec_lo, s73
	s_cbranch_execz .LBB6_3102
; %bb.2352:                             ;   in Loop: Header=BB6_356 Depth=4
	v_cmp_eq_u16_sdwa s74, v13, v62 src0_sel:BYTE_3 src1_sel:DWORD
	s_mov_b32 s16, -1
	s_and_saveexec_b32 s73, s74
; %bb.2353:                             ;   in Loop: Header=BB6_356 Depth=4
	s_xor_b32 s16, exec_lo, -1
; %bb.2354:                             ;   in Loop: Header=BB6_356 Depth=4
	s_or_b32 exec_lo, exec_lo, s73
	s_and_b32 s16, s16, exec_lo
	s_or_saveexec_b32 s72, s72
	v_mov_b32_e32 v99, 0x7f800001
	s_xor_b32 exec_lo, exec_lo, s72
	s_cbranch_execnz .LBB6_3103
.LBB6_2355:                             ;   in Loop: Header=BB6_356 Depth=4
	s_or_b32 exec_lo, exec_lo, s72
	s_and_saveexec_b32 s72, s16
	s_cbranch_execz .LBB6_2357
.LBB6_2356:                             ;   in Loop: Header=BB6_356 Depth=4
	v_bfe_u32 v86, v13, 24, 3
	v_bfe_u32 v46, v13, 27, 4
	v_ffbh_u32_e32 v87, v86
	v_cmp_eq_u32_e32 vcc_lo, 0, v46
	v_min_u32_e32 v87, 32, v87
	v_subrev_nc_u32_e32 v99, 28, v87
	v_sub_nc_u32_e32 v87, 29, v87
	v_lshlrev_b32_sdwa v99, v99, v13 dst_sel:DWORD dst_unused:UNUSED_PAD src0_sel:DWORD src1_sel:BYTE_3
	v_cndmask_b32_e32 v87, v46, v87, vcc_lo
	v_and_b32_e32 v13, 0x80000000, v13
	v_and_b32_e32 v99, 7, v99
	v_lshl_add_u32 v87, v87, 23, 0x3b800000
	v_cndmask_b32_e32 v86, v86, v99, vcc_lo
	v_lshlrev_b32_e32 v86, 20, v86
	v_or3_b32 v99, v13, v87, v86
.LBB6_2357:                             ;   in Loop: Header=BB6_356 Depth=4
	s_or_b32 exec_lo, exec_lo, s72
	v_cmp_gt_i16_sdwa s72, v9, v61 src0_sel:BYTE_3 src1_sel:DWORD
	s_mov_b32 s16, 0
	s_and_saveexec_b32 s73, s72
	s_xor_b32 s72, exec_lo, s73
	s_cbranch_execz .LBB6_3104
; %bb.2358:                             ;   in Loop: Header=BB6_356 Depth=4
	v_cmp_eq_u16_sdwa s74, v9, v62 src0_sel:BYTE_3 src1_sel:DWORD
	s_mov_b32 s16, -1
	s_and_saveexec_b32 s73, s74
; %bb.2359:                             ;   in Loop: Header=BB6_356 Depth=4
	s_xor_b32 s16, exec_lo, -1
; %bb.2360:                             ;   in Loop: Header=BB6_356 Depth=4
	s_or_b32 exec_lo, exec_lo, s73
	s_and_b32 s16, s16, exec_lo
	s_or_saveexec_b32 s72, s72
	v_mov_b32_e32 v13, 0x7f800001
	s_xor_b32 exec_lo, exec_lo, s72
	s_cbranch_execnz .LBB6_3105
.LBB6_2361:                             ;   in Loop: Header=BB6_356 Depth=4
	s_or_b32 exec_lo, exec_lo, s72
	s_and_saveexec_b32 s72, s16
	s_cbranch_execz .LBB6_2363
.LBB6_2362:                             ;   in Loop: Header=BB6_356 Depth=4
	v_bfe_u32 v13, v9, 24, 3
	v_bfe_u32 v46, v9, 27, 4
	v_ffbh_u32_e32 v86, v13
	v_cmp_eq_u32_e32 vcc_lo, 0, v46
	v_min_u32_e32 v86, 32, v86
	v_subrev_nc_u32_e32 v87, 28, v86
	v_sub_nc_u32_e32 v86, 29, v86
	v_lshlrev_b32_sdwa v87, v87, v9 dst_sel:DWORD dst_unused:UNUSED_PAD src0_sel:DWORD src1_sel:BYTE_3
	v_cndmask_b32_e32 v86, v46, v86, vcc_lo
	v_and_b32_e32 v9, 0x80000000, v9
	v_and_b32_e32 v87, 7, v87
	v_lshl_add_u32 v86, v86, 23, 0x3b800000
	v_cndmask_b32_e32 v13, v13, v87, vcc_lo
	v_lshlrev_b32_e32 v13, 20, v13
	v_or3_b32 v13, v9, v86, v13
.LBB6_2363:                             ;   in Loop: Header=BB6_356 Depth=4
	s_or_b32 exec_lo, exec_lo, s72
	v_max_f32_e32 v9, v13, v13
	v_max_f32_e32 v13, v99, v99
	v_min_f32_e32 v99, v13, v9
.LBB6_2364:                             ;   in Loop: Header=BB6_356 Depth=4
	v_and_b32_e32 v9, 0x7f800000, v99
	v_cmp_ne_u32_e32 vcc_lo, 0x7f800000, v9
	v_mov_b32_e32 v9, 0x8000
	s_and_saveexec_b32 s72, vcc_lo
	s_cbranch_execz .LBB6_2372
; %bb.2365:                             ;   in Loop: Header=BB6_356 Depth=4
	v_mov_b32_e32 v9, 0
	s_mov_b32 s73, exec_lo
	v_cmpx_ne_u32_e32 0, v99
	s_cbranch_execz .LBB6_2371
; %bb.2366:                             ;   in Loop: Header=BB6_356 Depth=4
	v_bfe_u32 v13, v99, 23, 8
	v_and_b32_e32 v9, 0x7fffff, v99
                                        ; implicit-def: $vgpr60
	v_cmp_gt_u32_e64 s16, 0x79, v13
	v_sub_nc_u32_e32 v86, 0x78, v13
	v_cmp_eq_u32_e32 vcc_lo, 0, v13
	v_or_b32_e32 v87, 0x800000, v9
	v_cndmask_b32_e64 v86, 0, v86, s16
	v_cndmask_b32_e32 v9, v87, v9, vcc_lo
	v_cndmask_b32_e64 v86, v86, 0x77, vcc_lo
	v_lshl_add_u32 v87, 0x100000, v86, -1
	v_lshlrev_b32_e64 v46, v86, 0x80000
	v_and_b32_e32 v87, v87, v9
	v_cmp_eq_u32_e64 s16, v87, v46
	v_lshrrev_b32_e32 v87, v86, v9
	v_add_nc_u32_e32 v9, 0xffffff89, v13
	v_lshrrev_b32_e32 v13, 23, v87
	v_cndmask_b32_e64 v9, v9, 0xffffff8a, vcc_lo
	v_xor_b32_e32 v13, 1, v13
	v_add_nc_u32_e32 v9, v86, v9
	v_bfe_u32 v86, v87, 20, 1
	v_add_nc_u32_e32 v86, -1, v86
	v_cndmask_b32_e64 v86, 0, v86, s16
	s_mov_b32 s16, exec_lo
	v_add_nc_u32_e32 v86, v86, v87
	v_and_b32_e32 v86, 0xfffff, v86
	v_add_nc_u32_e32 v46, v86, v87
	v_cmpx_ne_u32_e64 v9, v13
	s_xor_b32 s16, exec_lo, s16
; %bb.2367:                             ;   in Loop: Header=BB6_356 Depth=4
	v_cmp_lt_u32_e32 vcc_lo, 0xffffff, v46
	v_sub_nc_u32_e32 v9, v9, v13
	v_cndmask_b32_e64 v13, 0, 1, vcc_lo
	v_add_co_ci_u32_e64 v60, null, 0, v9, vcc_lo
	v_lshrrev_b32_e32 v46, v13, v46
; %bb.2368:                             ;   in Loop: Header=BB6_356 Depth=4
	s_andn2_saveexec_b32 s16, s16
; %bb.2369:                             ;   in Loop: Header=BB6_356 Depth=4
	v_bfe_u32 v60, v46, 23, 1
; %bb.2370:                             ;   in Loop: Header=BB6_356 Depth=4
	s_or_b32 exec_lo, exec_lo, s16
	v_lshrrev_b32_e32 v13, 20, v46
	v_min_i32_e32 v86, 15, v60
	v_cmp_gt_i32_e32 vcc_lo, 16, v60
	v_and_b32_sdwa v9, v99, v62 dst_sel:DWORD dst_unused:UNUSED_PAD src0_sel:BYTE_3 src1_sel:DWORD
	v_lshlrev_b32_e32 v86, 3, v86
	v_cndmask_b32_e32 v13, 7, v13, vcc_lo
	v_and_b32_e32 v86, 0xf8, v86
	v_or_b32_e32 v87, v60, v13
	v_and_b32_e32 v13, 7, v13
	v_cmp_ne_u32_e32 vcc_lo, 0, v87
	v_or3_b32 v9, v9, v86, v13
	v_lshlrev_b32_e32 v9, 8, v9
	v_cndmask_b32_e32 v9, 0, v9, vcc_lo
.LBB6_2371:                             ;   in Loop: Header=BB6_356 Depth=4
	s_or_b32 exec_lo, exec_lo, s73
.LBB6_2372:                             ;   in Loop: Header=BB6_356 Depth=4
	s_or_b32 exec_lo, exec_lo, s72
	v_cmp_gt_i16_sdwa s73, v14, v61 src0_sel:BYTE_0 src1_sel:DWORD
	s_andn2_b32 vcc_lo, exec_lo, s63
	s_mov_b32 s16, -1
                                        ; implicit-def: $vgpr99
	s_cbranch_vccnz .LBB6_2386
; %bb.2373:                             ;   in Loop: Header=BB6_356 Depth=4
	s_mov_b32 s72, 0
	s_and_saveexec_b32 s16, s73
	s_xor_b32 s16, exec_lo, s16
	s_cbranch_execz .LBB6_3106
; %bb.2374:                             ;   in Loop: Header=BB6_356 Depth=4
	v_cmp_eq_u16_sdwa s74, v14, v62 src0_sel:BYTE_0 src1_sel:DWORD
	s_mov_b32 s72, -1
	s_and_saveexec_b32 s73, s74
; %bb.2375:                             ;   in Loop: Header=BB6_356 Depth=4
	s_xor_b32 s72, exec_lo, -1
; %bb.2376:                             ;   in Loop: Header=BB6_356 Depth=4
	s_or_b32 exec_lo, exec_lo, s73
	s_and_b32 s72, s72, exec_lo
	s_or_saveexec_b32 s16, s16
	v_mov_b32_e32 v13, 0x7f800001
	s_xor_b32 exec_lo, exec_lo, s16
	s_cbranch_execnz .LBB6_3107
.LBB6_2377:                             ;   in Loop: Header=BB6_356 Depth=4
	s_or_b32 exec_lo, exec_lo, s16
	s_and_saveexec_b32 s16, s72
	s_cbranch_execz .LBB6_2379
.LBB6_2378:                             ;   in Loop: Header=BB6_356 Depth=4
	v_and_b32_e32 v13, 7, v14
	v_bfe_u32 v86, v14, 3, 4
	v_ffbh_u32_e32 v87, v13
	v_cmp_eq_u32_e32 vcc_lo, 0, v86
	v_min_u32_e32 v87, 32, v87
	v_subrev_nc_u32_e32 v99, 28, v87
	v_sub_nc_u32_e32 v87, 29, v87
	v_lshlrev_b32_e32 v99, v99, v14
	v_cndmask_b32_e32 v86, v86, v87, vcc_lo
	v_lshlrev_b32_e32 v87, 24, v14
	v_and_b32_e32 v99, 7, v99
	v_lshl_add_u32 v86, v86, 23, 0x3b800000
	v_and_b32_e32 v87, 0x80000000, v87
	v_cndmask_b32_e32 v13, v13, v99, vcc_lo
	v_lshlrev_b32_e32 v13, 20, v13
	v_or3_b32 v13, v87, v86, v13
.LBB6_2379:                             ;   in Loop: Header=BB6_356 Depth=4
	s_or_b32 exec_lo, exec_lo, s16
	v_cmp_gt_i16_sdwa s16, v10, v61 src0_sel:BYTE_0 src1_sel:DWORD
	s_mov_b32 s72, 0
	s_and_saveexec_b32 s73, s16
	s_xor_b32 s16, exec_lo, s73
	s_cbranch_execz .LBB6_3108
; %bb.2380:                             ;   in Loop: Header=BB6_356 Depth=4
	v_cmp_eq_u16_sdwa s74, v10, v62 src0_sel:BYTE_0 src1_sel:DWORD
	s_mov_b32 s72, -1
	s_and_saveexec_b32 s73, s74
; %bb.2381:                             ;   in Loop: Header=BB6_356 Depth=4
	s_xor_b32 s72, exec_lo, -1
; %bb.2382:                             ;   in Loop: Header=BB6_356 Depth=4
	s_or_b32 exec_lo, exec_lo, s73
	s_and_b32 s72, s72, exec_lo
	s_or_saveexec_b32 s16, s16
	v_mov_b32_e32 v86, 0x7f800001
	s_xor_b32 exec_lo, exec_lo, s16
	s_cbranch_execnz .LBB6_3109
.LBB6_2383:                             ;   in Loop: Header=BB6_356 Depth=4
	s_or_b32 exec_lo, exec_lo, s16
	s_and_saveexec_b32 s16, s72
	s_cbranch_execz .LBB6_2385
.LBB6_2384:                             ;   in Loop: Header=BB6_356 Depth=4
	v_and_b32_e32 v86, 7, v10
	v_bfe_u32 v87, v10, 3, 4
	v_ffbh_u32_e32 v99, v86
	v_cmp_eq_u32_e32 vcc_lo, 0, v87
	v_min_u32_e32 v99, 32, v99
	v_subrev_nc_u32_e32 v46, 28, v99
	v_sub_nc_u32_e32 v99, 29, v99
	v_lshlrev_b32_e32 v46, v46, v10
	v_cndmask_b32_e32 v87, v87, v99, vcc_lo
	v_lshlrev_b32_e32 v99, 24, v10
	v_and_b32_e32 v46, 7, v46
	v_lshl_add_u32 v87, v87, 23, 0x3b800000
	v_and_b32_e32 v99, 0x80000000, v99
	v_cndmask_b32_e32 v86, v86, v46, vcc_lo
	v_lshlrev_b32_e32 v86, 20, v86
	v_or3_b32 v86, v99, v87, v86
.LBB6_2385:                             ;   in Loop: Header=BB6_356 Depth=4
	s_or_b32 exec_lo, exec_lo, s16
	v_max_f32_e32 v86, v86, v86
	v_max_f32_e32 v13, v13, v13
	s_mov_b32 s16, 0
	v_max_f32_e32 v99, v13, v86
.LBB6_2386:                             ;   in Loop: Header=BB6_356 Depth=4
	s_and_b32 vcc_lo, exec_lo, s16
	s_cbranch_vccz .LBB6_2400
; %bb.2387:                             ;   in Loop: Header=BB6_356 Depth=4
	v_cmp_gt_i16_sdwa s16, v14, v61 src0_sel:BYTE_0 src1_sel:DWORD
	s_mov_b32 s72, 0
	s_and_saveexec_b32 s73, s16
	s_xor_b32 s16, exec_lo, s73
	s_cbranch_execz .LBB6_3110
; %bb.2388:                             ;   in Loop: Header=BB6_356 Depth=4
	v_cmp_eq_u16_sdwa s74, v14, v62 src0_sel:BYTE_0 src1_sel:DWORD
	s_mov_b32 s72, -1
	s_and_saveexec_b32 s73, s74
; %bb.2389:                             ;   in Loop: Header=BB6_356 Depth=4
	s_xor_b32 s72, exec_lo, -1
; %bb.2390:                             ;   in Loop: Header=BB6_356 Depth=4
	s_or_b32 exec_lo, exec_lo, s73
	s_and_b32 s72, s72, exec_lo
	s_or_saveexec_b32 s16, s16
	v_mov_b32_e32 v13, 0x7f800001
	s_xor_b32 exec_lo, exec_lo, s16
	s_cbranch_execnz .LBB6_3111
.LBB6_2391:                             ;   in Loop: Header=BB6_356 Depth=4
	s_or_b32 exec_lo, exec_lo, s16
	s_and_saveexec_b32 s16, s72
	s_cbranch_execz .LBB6_2393
.LBB6_2392:                             ;   in Loop: Header=BB6_356 Depth=4
	v_and_b32_e32 v13, 7, v14
	v_bfe_u32 v86, v14, 3, 4
	v_ffbh_u32_e32 v87, v13
	v_cmp_eq_u32_e32 vcc_lo, 0, v86
	v_min_u32_e32 v87, 32, v87
	v_subrev_nc_u32_e32 v99, 28, v87
	v_sub_nc_u32_e32 v87, 29, v87
	v_lshlrev_b32_e32 v99, v99, v14
	v_cndmask_b32_e32 v86, v86, v87, vcc_lo
	v_lshlrev_b32_e32 v87, 24, v14
	v_and_b32_e32 v99, 7, v99
	v_lshl_add_u32 v86, v86, 23, 0x3b800000
	v_and_b32_e32 v87, 0x80000000, v87
	v_cndmask_b32_e32 v13, v13, v99, vcc_lo
	v_lshlrev_b32_e32 v13, 20, v13
	v_or3_b32 v13, v87, v86, v13
.LBB6_2393:                             ;   in Loop: Header=BB6_356 Depth=4
	s_or_b32 exec_lo, exec_lo, s16
	v_cmp_gt_i16_sdwa s16, v10, v61 src0_sel:BYTE_0 src1_sel:DWORD
	s_mov_b32 s72, 0
	s_and_saveexec_b32 s73, s16
	s_xor_b32 s16, exec_lo, s73
	s_cbranch_execz .LBB6_3112
; %bb.2394:                             ;   in Loop: Header=BB6_356 Depth=4
	v_cmp_eq_u16_sdwa s74, v10, v62 src0_sel:BYTE_0 src1_sel:DWORD
	s_mov_b32 s72, -1
	s_and_saveexec_b32 s73, s74
; %bb.2395:                             ;   in Loop: Header=BB6_356 Depth=4
	s_xor_b32 s72, exec_lo, -1
; %bb.2396:                             ;   in Loop: Header=BB6_356 Depth=4
	s_or_b32 exec_lo, exec_lo, s73
	s_and_b32 s72, s72, exec_lo
	s_or_saveexec_b32 s16, s16
	v_mov_b32_e32 v86, 0x7f800001
	s_xor_b32 exec_lo, exec_lo, s16
	s_cbranch_execnz .LBB6_3113
.LBB6_2397:                             ;   in Loop: Header=BB6_356 Depth=4
	s_or_b32 exec_lo, exec_lo, s16
	s_and_saveexec_b32 s16, s72
	s_cbranch_execz .LBB6_2399
.LBB6_2398:                             ;   in Loop: Header=BB6_356 Depth=4
	v_and_b32_e32 v86, 7, v10
	v_bfe_u32 v87, v10, 3, 4
	v_ffbh_u32_e32 v99, v86
	v_cmp_eq_u32_e32 vcc_lo, 0, v87
	v_min_u32_e32 v99, 32, v99
	v_subrev_nc_u32_e32 v46, 28, v99
	v_sub_nc_u32_e32 v99, 29, v99
	v_lshlrev_b32_e32 v46, v46, v10
	v_cndmask_b32_e32 v87, v87, v99, vcc_lo
	v_lshlrev_b32_e32 v99, 24, v10
	v_and_b32_e32 v46, 7, v46
	v_lshl_add_u32 v87, v87, 23, 0x3b800000
	v_and_b32_e32 v99, 0x80000000, v99
	v_cndmask_b32_e32 v86, v86, v46, vcc_lo
	v_lshlrev_b32_e32 v86, 20, v86
	v_or3_b32 v86, v99, v87, v86
.LBB6_2399:                             ;   in Loop: Header=BB6_356 Depth=4
	s_or_b32 exec_lo, exec_lo, s16
	v_max_f32_e32 v86, v86, v86
	v_max_f32_e32 v13, v13, v13
	v_min_f32_e32 v99, v13, v86
.LBB6_2400:                             ;   in Loop: Header=BB6_356 Depth=4
	v_and_b32_e32 v13, 0x7f800000, v99
	v_cmp_ne_u32_e32 vcc_lo, 0x7f800000, v13
	v_mov_b32_e32 v13, 0x80
	s_and_saveexec_b32 s72, vcc_lo
	s_cbranch_execz .LBB6_2408
; %bb.2401:                             ;   in Loop: Header=BB6_356 Depth=4
	v_mov_b32_e32 v13, 0
	s_mov_b32 s73, exec_lo
	v_cmpx_ne_u32_e32 0, v99
	s_cbranch_execz .LBB6_2407
; %bb.2402:                             ;   in Loop: Header=BB6_356 Depth=4
	v_bfe_u32 v86, v99, 23, 8
	v_and_b32_e32 v13, 0x7fffff, v99
                                        ; implicit-def: $vgpr74
	v_cmp_gt_u32_e64 s16, 0x79, v86
	v_sub_nc_u32_e32 v87, 0x78, v86
	v_cmp_eq_u32_e32 vcc_lo, 0, v86
	v_or_b32_e32 v46, 0x800000, v13
	v_cndmask_b32_e64 v87, 0, v87, s16
	v_cndmask_b32_e32 v13, v46, v13, vcc_lo
	v_cndmask_b32_e64 v87, v87, 0x77, vcc_lo
	v_lshl_add_u32 v46, 0x100000, v87, -1
	v_lshlrev_b32_e64 v60, v87, 0x80000
	v_and_b32_e32 v46, v46, v13
	v_cmp_eq_u32_e64 s16, v46, v60
	v_lshrrev_b32_e32 v60, v87, v13
	v_add_nc_u32_e32 v13, 0xffffff89, v86
	v_lshrrev_b32_e32 v86, 23, v60
	v_cndmask_b32_e64 v13, v13, 0xffffff8a, vcc_lo
	v_xor_b32_e32 v46, 1, v86
	v_bfe_u32 v86, v60, 20, 1
	v_add_nc_u32_e32 v13, v87, v13
	v_add_nc_u32_e32 v86, -1, v86
	v_cndmask_b32_e64 v86, 0, v86, s16
	s_mov_b32 s16, exec_lo
	v_add_nc_u32_e32 v86, v86, v60
	v_and_b32_e32 v86, 0xfffff, v86
	v_add_nc_u32_e32 v60, v86, v60
	v_cmpx_ne_u32_e64 v13, v46
	s_xor_b32 s16, exec_lo, s16
; %bb.2403:                             ;   in Loop: Header=BB6_356 Depth=4
	v_cmp_lt_u32_e32 vcc_lo, 0xffffff, v60
	v_sub_nc_u32_e32 v13, v13, v46
	v_cndmask_b32_e64 v86, 0, 1, vcc_lo
	v_add_co_ci_u32_e64 v74, null, 0, v13, vcc_lo
	v_lshrrev_b32_e32 v60, v86, v60
; %bb.2404:                             ;   in Loop: Header=BB6_356 Depth=4
	s_andn2_saveexec_b32 s16, s16
; %bb.2405:                             ;   in Loop: Header=BB6_356 Depth=4
	v_bfe_u32 v74, v60, 23, 1
; %bb.2406:                             ;   in Loop: Header=BB6_356 Depth=4
	s_or_b32 exec_lo, exec_lo, s16
	v_lshrrev_b32_e32 v86, 20, v60
	v_min_i32_e32 v87, 15, v74
	v_cmp_gt_i32_e32 vcc_lo, 16, v74
	v_and_b32_sdwa v13, v99, v62 dst_sel:DWORD dst_unused:UNUSED_PAD src0_sel:BYTE_3 src1_sel:DWORD
	v_lshlrev_b32_e32 v87, 3, v87
	v_cndmask_b32_e32 v86, 7, v86, vcc_lo
	v_and_b32_e32 v87, 0xf8, v87
	v_or_b32_e32 v99, v74, v86
	v_and_b32_e32 v86, 7, v86
	v_cmp_ne_u32_e32 vcc_lo, 0, v99
	v_or3_b32 v13, v87, v13, v86
	v_cndmask_b32_e32 v13, 0, v13, vcc_lo
.LBB6_2407:                             ;   in Loop: Header=BB6_356 Depth=4
	s_or_b32 exec_lo, exec_lo, s73
.LBB6_2408:                             ;   in Loop: Header=BB6_356 Depth=4
	s_or_b32 exec_lo, exec_lo, s72
	v_cmp_gt_i16_sdwa s72, v14, v61 src0_sel:BYTE_1 src1_sel:DWORD
	s_andn2_b32 vcc_lo, exec_lo, s63
	s_mov_b32 s16, -1
                                        ; implicit-def: $vgpr46
	s_cbranch_vccnz .LBB6_2422
; %bb.2409:                             ;   in Loop: Header=BB6_356 Depth=4
	s_mov_b32 s16, 0
	s_and_saveexec_b32 s73, s72
	s_xor_b32 s72, exec_lo, s73
	s_cbranch_execz .LBB6_3114
; %bb.2410:                             ;   in Loop: Header=BB6_356 Depth=4
	v_cmp_eq_u16_sdwa s74, v14, v62 src0_sel:BYTE_1 src1_sel:DWORD
	s_mov_b32 s16, -1
	s_and_saveexec_b32 s73, s74
; %bb.2411:                             ;   in Loop: Header=BB6_356 Depth=4
	s_xor_b32 s16, exec_lo, -1
; %bb.2412:                             ;   in Loop: Header=BB6_356 Depth=4
	s_or_b32 exec_lo, exec_lo, s73
	s_and_b32 s16, s16, exec_lo
	s_or_saveexec_b32 s72, s72
	v_mov_b32_e32 v99, 0x7f800001
	s_xor_b32 exec_lo, exec_lo, s72
	s_cbranch_execnz .LBB6_3115
.LBB6_2413:                             ;   in Loop: Header=BB6_356 Depth=4
	s_or_b32 exec_lo, exec_lo, s72
	s_and_saveexec_b32 s72, s16
	s_cbranch_execz .LBB6_2415
.LBB6_2414:                             ;   in Loop: Header=BB6_356 Depth=4
	v_and_b32_sdwa v86, v63, v14 dst_sel:DWORD dst_unused:UNUSED_PAD src0_sel:DWORD src1_sel:BYTE_1
	v_and_b32_e32 v87, 7, v86
	v_bfe_u32 v60, v86, 3, 4
	v_ffbh_u32_e32 v99, v87
	v_cmp_eq_u32_e32 vcc_lo, 0, v60
	v_min_u32_e32 v99, 32, v99
	v_subrev_nc_u32_e32 v46, 28, v99
	v_sub_nc_u32_e32 v99, 29, v99
	v_lshlrev_b32_e32 v86, v46, v86
	v_lshlrev_b32_e32 v46, 16, v14
	v_cndmask_b32_e32 v99, v60, v99, vcc_lo
	v_and_b32_e32 v86, 7, v86
	v_lshl_add_u32 v99, v99, 23, 0x3b800000
	v_cndmask_b32_e32 v86, v87, v86, vcc_lo
	v_and_b32_e32 v87, 0x80000000, v46
	v_lshlrev_b32_e32 v86, 20, v86
	v_or3_b32 v99, v87, v99, v86
.LBB6_2415:                             ;   in Loop: Header=BB6_356 Depth=4
	s_or_b32 exec_lo, exec_lo, s72
	v_cmp_gt_i16_sdwa s72, v10, v61 src0_sel:BYTE_1 src1_sel:DWORD
	s_mov_b32 s16, 0
	s_and_saveexec_b32 s73, s72
	s_xor_b32 s72, exec_lo, s73
	s_cbranch_execz .LBB6_3116
; %bb.2416:                             ;   in Loop: Header=BB6_356 Depth=4
	v_cmp_eq_u16_sdwa s74, v10, v62 src0_sel:BYTE_1 src1_sel:DWORD
	s_mov_b32 s16, -1
	s_and_saveexec_b32 s73, s74
; %bb.2417:                             ;   in Loop: Header=BB6_356 Depth=4
	s_xor_b32 s16, exec_lo, -1
; %bb.2418:                             ;   in Loop: Header=BB6_356 Depth=4
	s_or_b32 exec_lo, exec_lo, s73
	s_and_b32 s16, s16, exec_lo
	s_or_saveexec_b32 s72, s72
	v_mov_b32_e32 v86, 0x7f800001
	s_xor_b32 exec_lo, exec_lo, s72
	s_cbranch_execnz .LBB6_3117
.LBB6_2419:                             ;   in Loop: Header=BB6_356 Depth=4
	s_or_b32 exec_lo, exec_lo, s72
	s_and_saveexec_b32 s72, s16
	s_cbranch_execz .LBB6_2421
.LBB6_2420:                             ;   in Loop: Header=BB6_356 Depth=4
	v_and_b32_sdwa v86, v63, v10 dst_sel:DWORD dst_unused:UNUSED_PAD src0_sel:DWORD src1_sel:BYTE_1
	v_and_b32_e32 v87, 7, v86
	v_bfe_u32 v74, v86, 3, 4
	v_ffbh_u32_e32 v46, v87
	v_cmp_eq_u32_e32 vcc_lo, 0, v74
	v_min_u32_e32 v46, 32, v46
	v_subrev_nc_u32_e32 v60, 28, v46
	v_sub_nc_u32_e32 v46, 29, v46
	v_lshlrev_b32_e32 v86, v60, v86
	v_lshlrev_b32_e32 v60, 16, v10
	v_cndmask_b32_e32 v46, v74, v46, vcc_lo
	v_and_b32_e32 v86, 7, v86
	v_lshl_add_u32 v46, v46, 23, 0x3b800000
	v_cndmask_b32_e32 v86, v87, v86, vcc_lo
	v_and_b32_e32 v87, 0x80000000, v60
	v_lshlrev_b32_e32 v86, 20, v86
	v_or3_b32 v86, v87, v46, v86
.LBB6_2421:                             ;   in Loop: Header=BB6_356 Depth=4
	s_or_b32 exec_lo, exec_lo, s72
	v_max_f32_e32 v86, v86, v86
	v_max_f32_e32 v87, v99, v99
	s_mov_b32 s16, 0
	v_max_f32_e32 v46, v87, v86
.LBB6_2422:                             ;   in Loop: Header=BB6_356 Depth=4
	s_and_b32 vcc_lo, exec_lo, s16
	s_cbranch_vccz .LBB6_2436
; %bb.2423:                             ;   in Loop: Header=BB6_356 Depth=4
	v_cmp_gt_i16_sdwa s72, v14, v61 src0_sel:BYTE_1 src1_sel:DWORD
	s_mov_b32 s16, 0
	s_and_saveexec_b32 s73, s72
	s_xor_b32 s72, exec_lo, s73
	s_cbranch_execz .LBB6_3118
; %bb.2424:                             ;   in Loop: Header=BB6_356 Depth=4
	v_cmp_eq_u16_sdwa s74, v14, v62 src0_sel:BYTE_1 src1_sel:DWORD
	s_mov_b32 s16, -1
	s_and_saveexec_b32 s73, s74
; %bb.2425:                             ;   in Loop: Header=BB6_356 Depth=4
	s_xor_b32 s16, exec_lo, -1
; %bb.2426:                             ;   in Loop: Header=BB6_356 Depth=4
	s_or_b32 exec_lo, exec_lo, s73
	s_and_b32 s16, s16, exec_lo
	s_or_saveexec_b32 s72, s72
	v_mov_b32_e32 v99, 0x7f800001
	s_xor_b32 exec_lo, exec_lo, s72
	s_cbranch_execnz .LBB6_3119
.LBB6_2427:                             ;   in Loop: Header=BB6_356 Depth=4
	s_or_b32 exec_lo, exec_lo, s72
	s_and_saveexec_b32 s72, s16
	s_cbranch_execz .LBB6_2429
.LBB6_2428:                             ;   in Loop: Header=BB6_356 Depth=4
	v_and_b32_sdwa v86, v63, v14 dst_sel:DWORD dst_unused:UNUSED_PAD src0_sel:DWORD src1_sel:BYTE_1
	v_and_b32_e32 v87, 7, v86
	v_bfe_u32 v60, v86, 3, 4
	v_ffbh_u32_e32 v99, v87
	v_cmp_eq_u32_e32 vcc_lo, 0, v60
	v_min_u32_e32 v99, 32, v99
	v_subrev_nc_u32_e32 v46, 28, v99
	v_sub_nc_u32_e32 v99, 29, v99
	v_lshlrev_b32_e32 v86, v46, v86
	v_lshlrev_b32_e32 v46, 16, v14
	v_cndmask_b32_e32 v99, v60, v99, vcc_lo
	v_and_b32_e32 v86, 7, v86
	v_lshl_add_u32 v99, v99, 23, 0x3b800000
	v_cndmask_b32_e32 v86, v87, v86, vcc_lo
	v_and_b32_e32 v87, 0x80000000, v46
	v_lshlrev_b32_e32 v86, 20, v86
	v_or3_b32 v99, v87, v99, v86
.LBB6_2429:                             ;   in Loop: Header=BB6_356 Depth=4
	s_or_b32 exec_lo, exec_lo, s72
	v_cmp_gt_i16_sdwa s72, v10, v61 src0_sel:BYTE_1 src1_sel:DWORD
	s_mov_b32 s16, 0
	s_and_saveexec_b32 s73, s72
	s_xor_b32 s72, exec_lo, s73
	s_cbranch_execz .LBB6_3120
; %bb.2430:                             ;   in Loop: Header=BB6_356 Depth=4
	v_cmp_eq_u16_sdwa s74, v10, v62 src0_sel:BYTE_1 src1_sel:DWORD
	s_mov_b32 s16, -1
	s_and_saveexec_b32 s73, s74
; %bb.2431:                             ;   in Loop: Header=BB6_356 Depth=4
	s_xor_b32 s16, exec_lo, -1
; %bb.2432:                             ;   in Loop: Header=BB6_356 Depth=4
	s_or_b32 exec_lo, exec_lo, s73
	s_and_b32 s16, s16, exec_lo
	s_or_saveexec_b32 s72, s72
	v_mov_b32_e32 v86, 0x7f800001
	s_xor_b32 exec_lo, exec_lo, s72
	s_cbranch_execnz .LBB6_3121
.LBB6_2433:                             ;   in Loop: Header=BB6_356 Depth=4
	s_or_b32 exec_lo, exec_lo, s72
	s_and_saveexec_b32 s72, s16
	s_cbranch_execz .LBB6_2435
.LBB6_2434:                             ;   in Loop: Header=BB6_356 Depth=4
	v_and_b32_sdwa v86, v63, v10 dst_sel:DWORD dst_unused:UNUSED_PAD src0_sel:DWORD src1_sel:BYTE_1
	v_and_b32_e32 v87, 7, v86
	v_bfe_u32 v74, v86, 3, 4
	v_ffbh_u32_e32 v46, v87
	v_cmp_eq_u32_e32 vcc_lo, 0, v74
	v_min_u32_e32 v46, 32, v46
	v_subrev_nc_u32_e32 v60, 28, v46
	v_sub_nc_u32_e32 v46, 29, v46
	v_lshlrev_b32_e32 v86, v60, v86
	v_lshlrev_b32_e32 v60, 16, v10
	v_cndmask_b32_e32 v46, v74, v46, vcc_lo
	v_and_b32_e32 v86, 7, v86
	v_lshl_add_u32 v46, v46, 23, 0x3b800000
	v_cndmask_b32_e32 v86, v87, v86, vcc_lo
	v_and_b32_e32 v87, 0x80000000, v60
	v_lshlrev_b32_e32 v86, 20, v86
	v_or3_b32 v86, v87, v46, v86
.LBB6_2435:                             ;   in Loop: Header=BB6_356 Depth=4
	s_or_b32 exec_lo, exec_lo, s72
	v_max_f32_e32 v86, v86, v86
	v_max_f32_e32 v87, v99, v99
	v_min_f32_e32 v46, v87, v86
.LBB6_2436:                             ;   in Loop: Header=BB6_356 Depth=4
	v_and_b32_e32 v86, 0x7f800000, v46
	v_mov_b32_e32 v99, 0x8000
	s_mov_b32 s72, exec_lo
	v_cmpx_ne_u32_e32 0x7f800000, v86
	s_cbranch_execz .LBB6_2444
; %bb.2437:                             ;   in Loop: Header=BB6_356 Depth=4
	v_mov_b32_e32 v99, 0
	s_mov_b32 s73, exec_lo
	v_cmpx_ne_u32_e32 0, v46
	s_cbranch_execz .LBB6_2443
; %bb.2438:                             ;   in Loop: Header=BB6_356 Depth=4
	v_bfe_u32 v87, v46, 23, 8
	v_and_b32_e32 v86, 0x7fffff, v46
                                        ; implicit-def: $vgpr88
	v_cmp_gt_u32_e64 s16, 0x79, v87
	v_sub_nc_u32_e32 v99, 0x78, v87
	v_cmp_eq_u32_e32 vcc_lo, 0, v87
	v_or_b32_e32 v60, 0x800000, v86
	v_add_nc_u32_e32 v87, 0xffffff89, v87
	v_cndmask_b32_e64 v99, 0, v99, s16
	v_cndmask_b32_e32 v86, v60, v86, vcc_lo
	v_cndmask_b32_e64 v87, v87, 0xffffff8a, vcc_lo
	v_cndmask_b32_e64 v99, v99, 0x77, vcc_lo
	v_lshl_add_u32 v60, 0x100000, v99, -1
	v_lshlrev_b32_e64 v74, v99, 0x80000
	v_and_b32_e32 v60, v60, v86
	v_lshrrev_b32_e32 v86, v99, v86
	v_add_nc_u32_e32 v99, v99, v87
	v_cmp_eq_u32_e64 s16, v60, v74
	v_lshrrev_b32_e32 v87, 23, v86
	v_xor_b32_e32 v60, 1, v87
	v_bfe_u32 v87, v86, 20, 1
	v_add_nc_u32_e32 v87, -1, v87
	v_cndmask_b32_e64 v87, 0, v87, s16
	s_mov_b32 s16, exec_lo
	v_add_nc_u32_e32 v87, v87, v86
	v_and_b32_e32 v87, 0xfffff, v87
	v_add_nc_u32_e32 v74, v87, v86
	v_cmpx_ne_u32_e64 v99, v60
	s_xor_b32 s16, exec_lo, s16
; %bb.2439:                             ;   in Loop: Header=BB6_356 Depth=4
	v_cmp_lt_u32_e32 vcc_lo, 0xffffff, v74
	v_sub_nc_u32_e32 v86, v99, v60
	v_cndmask_b32_e64 v87, 0, 1, vcc_lo
	v_add_co_ci_u32_e64 v88, null, 0, v86, vcc_lo
	v_lshrrev_b32_e32 v74, v87, v74
; %bb.2440:                             ;   in Loop: Header=BB6_356 Depth=4
	s_andn2_saveexec_b32 s16, s16
; %bb.2441:                             ;   in Loop: Header=BB6_356 Depth=4
	v_bfe_u32 v88, v74, 23, 1
; %bb.2442:                             ;   in Loop: Header=BB6_356 Depth=4
	s_or_b32 exec_lo, exec_lo, s16
	v_lshrrev_b32_e32 v87, 20, v74
	v_min_i32_e32 v99, 15, v88
	v_cmp_gt_i32_e32 vcc_lo, 16, v88
	v_and_b32_sdwa v86, v46, v62 dst_sel:DWORD dst_unused:UNUSED_PAD src0_sel:BYTE_3 src1_sel:DWORD
	v_lshlrev_b32_e32 v99, 3, v99
	v_cndmask_b32_e32 v87, 7, v87, vcc_lo
	v_and_b32_e32 v99, 0xf8, v99
	v_or_b32_e32 v46, v88, v87
	v_and_b32_e32 v87, 7, v87
	v_cmp_ne_u32_e32 vcc_lo, 0, v46
	v_or3_b32 v86, v86, v99, v87
	v_lshlrev_b32_e32 v86, 8, v86
	v_cndmask_b32_e32 v99, 0, v86, vcc_lo
.LBB6_2443:                             ;   in Loop: Header=BB6_356 Depth=4
	s_or_b32 exec_lo, exec_lo, s73
.LBB6_2444:                             ;   in Loop: Header=BB6_356 Depth=4
	s_or_b32 exec_lo, exec_lo, s72
	v_and_b32_sdwa v46, v14, v72 dst_sel:DWORD dst_unused:UNUSED_PAD src0_sel:WORD_1 src1_sel:DWORD
	s_andn2_b32 vcc_lo, exec_lo, s63
	s_mov_b32 s72, -1
                                        ; implicit-def: $vgpr74
	v_cmp_lt_i16_e64 s16, 0x7f, v46
	s_cbranch_vccnz .LBB6_2458
; %bb.2445:                             ;   in Loop: Header=BB6_356 Depth=4
	s_mov_b32 s72, 0
	s_and_saveexec_b32 s73, s16
	s_xor_b32 s16, exec_lo, s73
	s_cbranch_execz .LBB6_3122
; %bb.2446:                             ;   in Loop: Header=BB6_356 Depth=4
	s_mov_b32 s72, -1
	s_mov_b32 s73, exec_lo
	v_cmpx_eq_u16_e32 0x80, v46
; %bb.2447:                             ;   in Loop: Header=BB6_356 Depth=4
	s_xor_b32 s72, exec_lo, -1
; %bb.2448:                             ;   in Loop: Header=BB6_356 Depth=4
	s_or_b32 exec_lo, exec_lo, s73
	s_and_b32 s72, s72, exec_lo
	s_or_saveexec_b32 s16, s16
	v_mov_b32_e32 v60, 0x7f800001
	s_xor_b32 exec_lo, exec_lo, s16
	s_cbranch_execnz .LBB6_3123
.LBB6_2449:                             ;   in Loop: Header=BB6_356 Depth=4
	s_or_b32 exec_lo, exec_lo, s16
	s_and_saveexec_b32 s16, s72
	s_cbranch_execz .LBB6_2451
.LBB6_2450:                             ;   in Loop: Header=BB6_356 Depth=4
	v_bfe_u32 v86, v14, 16, 3
	v_bfe_u32 v87, v14, 19, 4
	v_ffbh_u32_e32 v60, v86
	v_cmp_eq_u32_e32 vcc_lo, 0, v87
	v_min_u32_e32 v60, 32, v60
	v_subrev_nc_u32_e32 v74, 28, v60
	v_sub_nc_u32_e32 v60, 29, v60
	v_lshlrev_b32_sdwa v74, v74, v14 dst_sel:DWORD dst_unused:UNUSED_PAD src0_sel:DWORD src1_sel:WORD_1
	v_cndmask_b32_e32 v87, v87, v60, vcc_lo
	v_lshlrev_b32_sdwa v60, v73, v14 dst_sel:DWORD dst_unused:UNUSED_PAD src0_sel:DWORD src1_sel:WORD_1
	v_and_b32_e32 v74, 7, v74
	v_lshl_add_u32 v87, v87, 23, 0x3b800000
	v_and_b32_e32 v60, 0x80000000, v60
	v_cndmask_b32_e32 v86, v86, v74, vcc_lo
	v_lshlrev_b32_e32 v86, 20, v86
	v_or3_b32 v60, v60, v87, v86
.LBB6_2451:                             ;   in Loop: Header=BB6_356 Depth=4
	s_or_b32 exec_lo, exec_lo, s16
	v_and_b32_sdwa v87, v10, v72 dst_sel:DWORD dst_unused:UNUSED_PAD src0_sel:WORD_1 src1_sel:DWORD
	s_mov_b32 s72, 0
	s_mov_b32 s16, exec_lo
	v_cmpx_lt_i16_e32 0x7f, v87
	s_xor_b32 s16, exec_lo, s16
	s_cbranch_execz .LBB6_3124
; %bb.2452:                             ;   in Loop: Header=BB6_356 Depth=4
	s_mov_b32 s72, -1
	s_mov_b32 s73, exec_lo
	v_cmpx_eq_u16_e32 0x80, v87
; %bb.2453:                             ;   in Loop: Header=BB6_356 Depth=4
	s_xor_b32 s72, exec_lo, -1
; %bb.2454:                             ;   in Loop: Header=BB6_356 Depth=4
	s_or_b32 exec_lo, exec_lo, s73
	s_and_b32 s72, s72, exec_lo
                                        ; implicit-def: $vgpr87
	s_or_saveexec_b32 s16, s16
	v_mov_b32_e32 v86, 0x7f800001
	s_xor_b32 exec_lo, exec_lo, s16
	s_cbranch_execnz .LBB6_3125
.LBB6_2455:                             ;   in Loop: Header=BB6_356 Depth=4
	s_or_b32 exec_lo, exec_lo, s16
	s_and_saveexec_b32 s16, s72
	s_cbranch_execz .LBB6_2457
.LBB6_2456:                             ;   in Loop: Header=BB6_356 Depth=4
	v_bfe_u32 v86, v10, 16, 3
	v_bfe_u32 v87, v10, 19, 4
	v_ffbh_u32_e32 v74, v86
	v_cmp_eq_u32_e32 vcc_lo, 0, v87
	v_min_u32_e32 v74, 32, v74
	v_subrev_nc_u32_e32 v88, 28, v74
	v_sub_nc_u32_e32 v74, 29, v74
	v_lshlrev_b32_sdwa v88, v88, v10 dst_sel:DWORD dst_unused:UNUSED_PAD src0_sel:DWORD src1_sel:WORD_1
	v_cndmask_b32_e32 v87, v87, v74, vcc_lo
	v_lshlrev_b32_sdwa v74, v73, v10 dst_sel:DWORD dst_unused:UNUSED_PAD src0_sel:DWORD src1_sel:WORD_1
	v_and_b32_e32 v88, 7, v88
	v_lshl_add_u32 v87, v87, 23, 0x3b800000
	v_and_b32_e32 v74, 0x80000000, v74
	v_cndmask_b32_e32 v86, v86, v88, vcc_lo
	v_lshlrev_b32_e32 v86, 20, v86
	v_or3_b32 v86, v74, v87, v86
.LBB6_2457:                             ;   in Loop: Header=BB6_356 Depth=4
	s_or_b32 exec_lo, exec_lo, s16
	v_max_f32_e32 v86, v86, v86
	v_max_f32_e32 v87, v60, v60
	s_mov_b32 s72, 0
	v_max_f32_e32 v74, v87, v86
.LBB6_2458:                             ;   in Loop: Header=BB6_356 Depth=4
	s_and_b32 vcc_lo, exec_lo, s72
	s_cbranch_vccz .LBB6_2472
; %bb.2459:                             ;   in Loop: Header=BB6_356 Depth=4
	s_mov_b32 s72, 0
	s_mov_b32 s16, exec_lo
	v_cmpx_lt_i16_e32 0x7f, v46
	s_xor_b32 s16, exec_lo, s16
	s_cbranch_execz .LBB6_3126
; %bb.2460:                             ;   in Loop: Header=BB6_356 Depth=4
	s_mov_b32 s72, -1
	s_mov_b32 s73, exec_lo
	v_cmpx_eq_u16_e32 0x80, v46
; %bb.2461:                             ;   in Loop: Header=BB6_356 Depth=4
	s_xor_b32 s72, exec_lo, -1
; %bb.2462:                             ;   in Loop: Header=BB6_356 Depth=4
	s_or_b32 exec_lo, exec_lo, s73
	s_and_b32 s72, s72, exec_lo
                                        ; implicit-def: $vgpr46
	s_or_saveexec_b32 s16, s16
	v_mov_b32_e32 v60, 0x7f800001
	s_xor_b32 exec_lo, exec_lo, s16
	s_cbranch_execnz .LBB6_3127
.LBB6_2463:                             ;   in Loop: Header=BB6_356 Depth=4
	s_or_b32 exec_lo, exec_lo, s16
	s_and_saveexec_b32 s16, s72
	s_cbranch_execz .LBB6_2465
.LBB6_2464:                             ;   in Loop: Header=BB6_356 Depth=4
	v_bfe_u32 v86, v14, 16, 3
	v_bfe_u32 v87, v14, 19, 4
	v_ffbh_u32_e32 v46, v86
	v_cmp_eq_u32_e32 vcc_lo, 0, v87
	v_min_u32_e32 v46, 32, v46
	v_subrev_nc_u32_e32 v60, 28, v46
	v_sub_nc_u32_e32 v46, 29, v46
	v_lshlrev_b32_sdwa v60, v60, v14 dst_sel:DWORD dst_unused:UNUSED_PAD src0_sel:DWORD src1_sel:WORD_1
	v_cndmask_b32_e32 v87, v87, v46, vcc_lo
	v_lshlrev_b32_sdwa v46, v73, v14 dst_sel:DWORD dst_unused:UNUSED_PAD src0_sel:DWORD src1_sel:WORD_1
	v_and_b32_e32 v60, 7, v60
	v_lshl_add_u32 v87, v87, 23, 0x3b800000
	v_and_b32_e32 v46, 0x80000000, v46
	v_cndmask_b32_e32 v86, v86, v60, vcc_lo
	v_lshlrev_b32_e32 v86, 20, v86
	v_or3_b32 v60, v46, v87, v86
.LBB6_2465:                             ;   in Loop: Header=BB6_356 Depth=4
	s_or_b32 exec_lo, exec_lo, s16
	v_and_b32_sdwa v87, v10, v72 dst_sel:DWORD dst_unused:UNUSED_PAD src0_sel:WORD_1 src1_sel:DWORD
	s_mov_b32 s72, 0
	s_mov_b32 s16, exec_lo
	v_cmpx_lt_i16_e32 0x7f, v87
	s_xor_b32 s16, exec_lo, s16
	s_cbranch_execz .LBB6_3128
; %bb.2466:                             ;   in Loop: Header=BB6_356 Depth=4
	s_mov_b32 s72, -1
	s_mov_b32 s73, exec_lo
	v_cmpx_eq_u16_e32 0x80, v87
; %bb.2467:                             ;   in Loop: Header=BB6_356 Depth=4
	s_xor_b32 s72, exec_lo, -1
; %bb.2468:                             ;   in Loop: Header=BB6_356 Depth=4
	s_or_b32 exec_lo, exec_lo, s73
	s_and_b32 s72, s72, exec_lo
                                        ; implicit-def: $vgpr87
	s_or_saveexec_b32 s16, s16
	v_mov_b32_e32 v86, 0x7f800001
	s_xor_b32 exec_lo, exec_lo, s16
	s_cbranch_execnz .LBB6_3129
.LBB6_2469:                             ;   in Loop: Header=BB6_356 Depth=4
	s_or_b32 exec_lo, exec_lo, s16
	s_and_saveexec_b32 s16, s72
	s_cbranch_execz .LBB6_2471
.LBB6_2470:                             ;   in Loop: Header=BB6_356 Depth=4
	v_bfe_u32 v86, v10, 16, 3
	v_bfe_u32 v87, v10, 19, 4
	v_ffbh_u32_e32 v46, v86
	v_cmp_eq_u32_e32 vcc_lo, 0, v87
	v_min_u32_e32 v46, 32, v46
	v_subrev_nc_u32_e32 v74, 28, v46
	v_sub_nc_u32_e32 v46, 29, v46
	v_lshlrev_b32_sdwa v74, v74, v10 dst_sel:DWORD dst_unused:UNUSED_PAD src0_sel:DWORD src1_sel:WORD_1
	v_cndmask_b32_e32 v87, v87, v46, vcc_lo
	v_lshlrev_b32_sdwa v46, v73, v10 dst_sel:DWORD dst_unused:UNUSED_PAD src0_sel:DWORD src1_sel:WORD_1
	v_and_b32_e32 v74, 7, v74
	v_lshl_add_u32 v87, v87, 23, 0x3b800000
	v_and_b32_e32 v46, 0x80000000, v46
	v_cndmask_b32_e32 v86, v86, v74, vcc_lo
	v_lshlrev_b32_e32 v86, 20, v86
	v_or3_b32 v86, v46, v87, v86
.LBB6_2471:                             ;   in Loop: Header=BB6_356 Depth=4
	s_or_b32 exec_lo, exec_lo, s16
	v_max_f32_e32 v86, v86, v86
	v_max_f32_e32 v87, v60, v60
	v_min_f32_e32 v74, v87, v86
.LBB6_2472:                             ;   in Loop: Header=BB6_356 Depth=4
	v_and_b32_e32 v86, 0x7f800000, v74
	v_mov_b32_e32 v88, 0x80
	s_mov_b32 s72, exec_lo
	v_cmpx_ne_u32_e32 0x7f800000, v86
	s_cbranch_execz .LBB6_2480
; %bb.2473:                             ;   in Loop: Header=BB6_356 Depth=4
	v_mov_b32_e32 v88, 0
	s_mov_b32 s73, exec_lo
	v_cmpx_ne_u32_e32 0, v74
	s_cbranch_execz .LBB6_2479
; %bb.2474:                             ;   in Loop: Header=BB6_356 Depth=4
	v_bfe_u32 v87, v74, 23, 8
	v_and_b32_e32 v86, 0x7fffff, v74
                                        ; implicit-def: $vgpr105
	v_cmp_gt_u32_e64 s16, 0x79, v87
	v_sub_nc_u32_e32 v46, 0x78, v87
	v_cmp_eq_u32_e32 vcc_lo, 0, v87
	v_or_b32_e32 v60, 0x800000, v86
	v_add_nc_u32_e32 v87, 0xffffff89, v87
	v_cndmask_b32_e64 v46, 0, v46, s16
	v_cndmask_b32_e32 v86, v60, v86, vcc_lo
	v_cndmask_b32_e64 v87, v87, 0xffffff8a, vcc_lo
	v_cndmask_b32_e64 v46, v46, 0x77, vcc_lo
	v_lshl_add_u32 v60, 0x100000, v46, -1
	v_lshlrev_b32_e64 v88, v46, 0x80000
	v_and_b32_e32 v60, v60, v86
	v_lshrrev_b32_e32 v86, v46, v86
	v_add_nc_u32_e32 v46, v46, v87
	v_cmp_eq_u32_e64 s16, v60, v88
	v_lshrrev_b32_e32 v87, 23, v86
	v_xor_b32_e32 v60, 1, v87
	v_bfe_u32 v87, v86, 20, 1
	v_add_nc_u32_e32 v87, -1, v87
	v_cndmask_b32_e64 v87, 0, v87, s16
	s_mov_b32 s16, exec_lo
	v_add_nc_u32_e32 v87, v87, v86
	v_and_b32_e32 v87, 0xfffff, v87
	v_add_nc_u32_e32 v88, v87, v86
	v_cmpx_ne_u32_e64 v46, v60
	s_xor_b32 s16, exec_lo, s16
; %bb.2475:                             ;   in Loop: Header=BB6_356 Depth=4
	v_cmp_lt_u32_e32 vcc_lo, 0xffffff, v88
	v_sub_nc_u32_e32 v86, v46, v60
	v_cndmask_b32_e64 v87, 0, 1, vcc_lo
	v_add_co_ci_u32_e64 v105, null, 0, v86, vcc_lo
	v_lshrrev_b32_e32 v88, v87, v88
; %bb.2476:                             ;   in Loop: Header=BB6_356 Depth=4
	s_andn2_saveexec_b32 s16, s16
; %bb.2477:                             ;   in Loop: Header=BB6_356 Depth=4
	v_bfe_u32 v105, v88, 23, 1
; %bb.2478:                             ;   in Loop: Header=BB6_356 Depth=4
	s_or_b32 exec_lo, exec_lo, s16
	v_lshrrev_b32_e32 v87, 20, v88
	v_min_i32_e32 v46, 15, v105
	v_cmp_gt_i32_e32 vcc_lo, 16, v105
	v_and_b32_sdwa v86, v74, v62 dst_sel:DWORD dst_unused:UNUSED_PAD src0_sel:BYTE_3 src1_sel:DWORD
	v_lshlrev_b32_e32 v46, 3, v46
	v_cndmask_b32_e32 v87, 7, v87, vcc_lo
	v_and_b32_e32 v46, 0xf8, v46
	v_or_b32_e32 v60, v105, v87
	v_and_b32_e32 v87, 7, v87
	v_cmp_ne_u32_e32 vcc_lo, 0, v60
	v_or3_b32 v86, v46, v86, v87
	v_cndmask_b32_e32 v88, 0, v86, vcc_lo
.LBB6_2479:                             ;   in Loop: Header=BB6_356 Depth=4
	s_or_b32 exec_lo, exec_lo, s73
.LBB6_2480:                             ;   in Loop: Header=BB6_356 Depth=4
	s_or_b32 exec_lo, exec_lo, s72
	v_cmp_gt_i16_sdwa s72, v14, v61 src0_sel:BYTE_3 src1_sel:DWORD
	s_andn2_b32 vcc_lo, exec_lo, s63
	s_mov_b32 s16, -1
                                        ; implicit-def: $vgpr46
	s_cbranch_vccnz .LBB6_2494
; %bb.2481:                             ;   in Loop: Header=BB6_356 Depth=4
	s_mov_b32 s16, 0
	s_and_saveexec_b32 s73, s72
	s_xor_b32 s72, exec_lo, s73
	s_cbranch_execz .LBB6_3130
; %bb.2482:                             ;   in Loop: Header=BB6_356 Depth=4
	v_cmp_eq_u16_sdwa s74, v14, v62 src0_sel:BYTE_3 src1_sel:DWORD
	s_mov_b32 s16, -1
	s_and_saveexec_b32 s73, s74
; %bb.2483:                             ;   in Loop: Header=BB6_356 Depth=4
	s_xor_b32 s16, exec_lo, -1
; %bb.2484:                             ;   in Loop: Header=BB6_356 Depth=4
	s_or_b32 exec_lo, exec_lo, s73
	s_and_b32 s16, s16, exec_lo
	s_or_saveexec_b32 s72, s72
	v_mov_b32_e32 v46, 0x7f800001
	s_xor_b32 exec_lo, exec_lo, s72
	s_cbranch_execnz .LBB6_3131
.LBB6_2485:                             ;   in Loop: Header=BB6_356 Depth=4
	s_or_b32 exec_lo, exec_lo, s72
	s_and_saveexec_b32 s72, s16
	s_cbranch_execz .LBB6_2487
.LBB6_2486:                             ;   in Loop: Header=BB6_356 Depth=4
	v_bfe_u32 v86, v14, 24, 3
	v_bfe_u32 v60, v14, 27, 4
	v_ffbh_u32_e32 v87, v86
	v_cmp_eq_u32_e32 vcc_lo, 0, v60
	v_min_u32_e32 v87, 32, v87
	v_subrev_nc_u32_e32 v46, 28, v87
	v_sub_nc_u32_e32 v87, 29, v87
	v_lshlrev_b32_sdwa v46, v46, v14 dst_sel:DWORD dst_unused:UNUSED_PAD src0_sel:DWORD src1_sel:BYTE_3
	v_cndmask_b32_e32 v87, v60, v87, vcc_lo
	v_and_b32_e32 v46, 7, v46
	v_lshl_add_u32 v87, v87, 23, 0x3b800000
	v_cndmask_b32_e32 v86, v86, v46, vcc_lo
	v_and_b32_e32 v46, 0x80000000, v14
	v_lshlrev_b32_e32 v86, 20, v86
	v_or3_b32 v46, v46, v87, v86
.LBB6_2487:                             ;   in Loop: Header=BB6_356 Depth=4
	s_or_b32 exec_lo, exec_lo, s72
	v_cmp_gt_i16_sdwa s72, v10, v61 src0_sel:BYTE_3 src1_sel:DWORD
	s_mov_b32 s16, 0
	s_and_saveexec_b32 s73, s72
	s_xor_b32 s72, exec_lo, s73
	s_cbranch_execz .LBB6_3132
; %bb.2488:                             ;   in Loop: Header=BB6_356 Depth=4
	v_cmp_eq_u16_sdwa s74, v10, v62 src0_sel:BYTE_3 src1_sel:DWORD
	s_mov_b32 s16, -1
	s_and_saveexec_b32 s73, s74
; %bb.2489:                             ;   in Loop: Header=BB6_356 Depth=4
	s_xor_b32 s16, exec_lo, -1
; %bb.2490:                             ;   in Loop: Header=BB6_356 Depth=4
	s_or_b32 exec_lo, exec_lo, s73
	s_and_b32 s16, s16, exec_lo
	s_or_saveexec_b32 s72, s72
	v_mov_b32_e32 v86, 0x7f800001
	s_xor_b32 exec_lo, exec_lo, s72
	s_cbranch_execnz .LBB6_3133
.LBB6_2491:                             ;   in Loop: Header=BB6_356 Depth=4
	s_or_b32 exec_lo, exec_lo, s72
	s_and_saveexec_b32 s72, s16
	s_cbranch_execz .LBB6_2493
.LBB6_2492:                             ;   in Loop: Header=BB6_356 Depth=4
	v_bfe_u32 v86, v10, 24, 3
	v_bfe_u32 v74, v10, 27, 4
	v_ffbh_u32_e32 v87, v86
	v_cmp_eq_u32_e32 vcc_lo, 0, v74
	v_min_u32_e32 v87, 32, v87
	v_subrev_nc_u32_e32 v60, 28, v87
	v_sub_nc_u32_e32 v87, 29, v87
	v_lshlrev_b32_sdwa v60, v60, v10 dst_sel:DWORD dst_unused:UNUSED_PAD src0_sel:DWORD src1_sel:BYTE_3
	v_cndmask_b32_e32 v87, v74, v87, vcc_lo
	v_and_b32_e32 v60, 7, v60
	v_lshl_add_u32 v87, v87, 23, 0x3b800000
	v_cndmask_b32_e32 v86, v86, v60, vcc_lo
	v_and_b32_e32 v60, 0x80000000, v10
	v_lshlrev_b32_e32 v86, 20, v86
	v_or3_b32 v86, v60, v87, v86
.LBB6_2493:                             ;   in Loop: Header=BB6_356 Depth=4
	s_or_b32 exec_lo, exec_lo, s72
	v_max_f32_e32 v86, v86, v86
	v_max_f32_e32 v87, v46, v46
	s_mov_b32 s16, 0
	v_max_f32_e32 v46, v87, v86
.LBB6_2494:                             ;   in Loop: Header=BB6_356 Depth=4
	s_and_b32 vcc_lo, exec_lo, s16
	s_cbranch_vccz .LBB6_2508
; %bb.2495:                             ;   in Loop: Header=BB6_356 Depth=4
	v_cmp_gt_i16_sdwa s72, v14, v61 src0_sel:BYTE_3 src1_sel:DWORD
	s_mov_b32 s16, 0
	s_and_saveexec_b32 s73, s72
	s_xor_b32 s72, exec_lo, s73
	s_cbranch_execz .LBB6_3134
; %bb.2496:                             ;   in Loop: Header=BB6_356 Depth=4
	v_cmp_eq_u16_sdwa s74, v14, v62 src0_sel:BYTE_3 src1_sel:DWORD
	s_mov_b32 s16, -1
	s_and_saveexec_b32 s73, s74
; %bb.2497:                             ;   in Loop: Header=BB6_356 Depth=4
	s_xor_b32 s16, exec_lo, -1
; %bb.2498:                             ;   in Loop: Header=BB6_356 Depth=4
	s_or_b32 exec_lo, exec_lo, s73
	s_and_b32 s16, s16, exec_lo
	s_or_saveexec_b32 s72, s72
	v_mov_b32_e32 v46, 0x7f800001
	s_xor_b32 exec_lo, exec_lo, s72
	s_cbranch_execnz .LBB6_3135
.LBB6_2499:                             ;   in Loop: Header=BB6_356 Depth=4
	s_or_b32 exec_lo, exec_lo, s72
	s_and_saveexec_b32 s72, s16
	s_cbranch_execz .LBB6_2501
.LBB6_2500:                             ;   in Loop: Header=BB6_356 Depth=4
	v_bfe_u32 v86, v14, 24, 3
	v_bfe_u32 v60, v14, 27, 4
	v_ffbh_u32_e32 v87, v86
	v_cmp_eq_u32_e32 vcc_lo, 0, v60
	v_min_u32_e32 v87, 32, v87
	v_subrev_nc_u32_e32 v46, 28, v87
	v_sub_nc_u32_e32 v87, 29, v87
	v_lshlrev_b32_sdwa v46, v46, v14 dst_sel:DWORD dst_unused:UNUSED_PAD src0_sel:DWORD src1_sel:BYTE_3
	v_cndmask_b32_e32 v87, v60, v87, vcc_lo
	v_and_b32_e32 v14, 0x80000000, v14
	v_and_b32_e32 v46, 7, v46
	v_lshl_add_u32 v87, v87, 23, 0x3b800000
	v_cndmask_b32_e32 v86, v86, v46, vcc_lo
	v_lshlrev_b32_e32 v86, 20, v86
	v_or3_b32 v46, v14, v87, v86
.LBB6_2501:                             ;   in Loop: Header=BB6_356 Depth=4
	s_or_b32 exec_lo, exec_lo, s72
	v_cmp_gt_i16_sdwa s72, v10, v61 src0_sel:BYTE_3 src1_sel:DWORD
	s_mov_b32 s16, 0
	s_and_saveexec_b32 s73, s72
	s_xor_b32 s72, exec_lo, s73
	s_cbranch_execz .LBB6_3136
; %bb.2502:                             ;   in Loop: Header=BB6_356 Depth=4
	v_cmp_eq_u16_sdwa s74, v10, v62 src0_sel:BYTE_3 src1_sel:DWORD
	s_mov_b32 s16, -1
	s_and_saveexec_b32 s73, s74
; %bb.2503:                             ;   in Loop: Header=BB6_356 Depth=4
	s_xor_b32 s16, exec_lo, -1
; %bb.2504:                             ;   in Loop: Header=BB6_356 Depth=4
	s_or_b32 exec_lo, exec_lo, s73
	s_and_b32 s16, s16, exec_lo
	s_or_saveexec_b32 s72, s72
	v_mov_b32_e32 v14, 0x7f800001
	s_xor_b32 exec_lo, exec_lo, s72
	s_cbranch_execnz .LBB6_3137
.LBB6_2505:                             ;   in Loop: Header=BB6_356 Depth=4
	s_or_b32 exec_lo, exec_lo, s72
	s_and_saveexec_b32 s72, s16
	s_cbranch_execz .LBB6_2507
.LBB6_2506:                             ;   in Loop: Header=BB6_356 Depth=4
	v_bfe_u32 v14, v10, 24, 3
	v_bfe_u32 v60, v10, 27, 4
	v_ffbh_u32_e32 v86, v14
	v_cmp_eq_u32_e32 vcc_lo, 0, v60
	v_min_u32_e32 v86, 32, v86
	v_subrev_nc_u32_e32 v87, 28, v86
	v_sub_nc_u32_e32 v86, 29, v86
	v_lshlrev_b32_sdwa v87, v87, v10 dst_sel:DWORD dst_unused:UNUSED_PAD src0_sel:DWORD src1_sel:BYTE_3
	v_cndmask_b32_e32 v86, v60, v86, vcc_lo
	v_and_b32_e32 v10, 0x80000000, v10
	v_and_b32_e32 v87, 7, v87
	v_lshl_add_u32 v86, v86, 23, 0x3b800000
	v_cndmask_b32_e32 v14, v14, v87, vcc_lo
	v_lshlrev_b32_e32 v14, 20, v14
	v_or3_b32 v14, v10, v86, v14
.LBB6_2507:                             ;   in Loop: Header=BB6_356 Depth=4
	s_or_b32 exec_lo, exec_lo, s72
	v_max_f32_e32 v10, v14, v14
	v_max_f32_e32 v14, v46, v46
	v_min_f32_e32 v46, v14, v10
.LBB6_2508:                             ;   in Loop: Header=BB6_356 Depth=4
	v_and_b32_e32 v10, 0x7f800000, v46
	v_cmp_ne_u32_e32 vcc_lo, 0x7f800000, v10
	v_mov_b32_e32 v10, 0x8000
	s_and_saveexec_b32 s72, vcc_lo
	s_cbranch_execz .LBB6_2516
; %bb.2509:                             ;   in Loop: Header=BB6_356 Depth=4
	v_mov_b32_e32 v10, 0
	s_mov_b32 s73, exec_lo
	v_cmpx_ne_u32_e32 0, v46
	s_cbranch_execz .LBB6_2515
; %bb.2510:                             ;   in Loop: Header=BB6_356 Depth=4
	v_bfe_u32 v14, v46, 23, 8
	v_and_b32_e32 v10, 0x7fffff, v46
                                        ; implicit-def: $vgpr74
	v_cmp_gt_u32_e64 s16, 0x79, v14
	v_sub_nc_u32_e32 v86, 0x78, v14
	v_cmp_eq_u32_e32 vcc_lo, 0, v14
	v_or_b32_e32 v87, 0x800000, v10
	v_cndmask_b32_e64 v86, 0, v86, s16
	v_cndmask_b32_e32 v10, v87, v10, vcc_lo
	v_cndmask_b32_e64 v86, v86, 0x77, vcc_lo
	v_lshl_add_u32 v87, 0x100000, v86, -1
	v_lshlrev_b32_e64 v60, v86, 0x80000
	v_and_b32_e32 v87, v87, v10
	v_cmp_eq_u32_e64 s16, v87, v60
	v_lshrrev_b32_e32 v87, v86, v10
	v_add_nc_u32_e32 v10, 0xffffff89, v14
	v_lshrrev_b32_e32 v14, 23, v87
	v_cndmask_b32_e64 v10, v10, 0xffffff8a, vcc_lo
	v_xor_b32_e32 v14, 1, v14
	v_add_nc_u32_e32 v10, v86, v10
	v_bfe_u32 v86, v87, 20, 1
	v_add_nc_u32_e32 v86, -1, v86
	v_cndmask_b32_e64 v86, 0, v86, s16
	s_mov_b32 s16, exec_lo
	v_add_nc_u32_e32 v86, v86, v87
	v_and_b32_e32 v86, 0xfffff, v86
	v_add_nc_u32_e32 v60, v86, v87
	v_cmpx_ne_u32_e64 v10, v14
	s_xor_b32 s16, exec_lo, s16
; %bb.2511:                             ;   in Loop: Header=BB6_356 Depth=4
	v_cmp_lt_u32_e32 vcc_lo, 0xffffff, v60
	v_sub_nc_u32_e32 v10, v10, v14
	v_cndmask_b32_e64 v14, 0, 1, vcc_lo
	v_add_co_ci_u32_e64 v74, null, 0, v10, vcc_lo
	v_lshrrev_b32_e32 v60, v14, v60
; %bb.2512:                             ;   in Loop: Header=BB6_356 Depth=4
	s_andn2_saveexec_b32 s16, s16
; %bb.2513:                             ;   in Loop: Header=BB6_356 Depth=4
	v_bfe_u32 v74, v60, 23, 1
; %bb.2514:                             ;   in Loop: Header=BB6_356 Depth=4
	s_or_b32 exec_lo, exec_lo, s16
	v_lshrrev_b32_e32 v14, 20, v60
	v_min_i32_e32 v86, 15, v74
	v_cmp_gt_i32_e32 vcc_lo, 16, v74
	v_and_b32_sdwa v10, v46, v62 dst_sel:DWORD dst_unused:UNUSED_PAD src0_sel:BYTE_3 src1_sel:DWORD
	v_lshlrev_b32_e32 v86, 3, v86
	v_cndmask_b32_e32 v14, 7, v14, vcc_lo
	v_and_b32_e32 v86, 0xf8, v86
	v_or_b32_e32 v87, v74, v14
	v_and_b32_e32 v14, 7, v14
	v_cmp_ne_u32_e32 vcc_lo, 0, v87
	v_or3_b32 v10, v10, v86, v14
	v_lshlrev_b32_e32 v10, 8, v10
	v_cndmask_b32_e32 v10, 0, v10, vcc_lo
.LBB6_2515:                             ;   in Loop: Header=BB6_356 Depth=4
	s_or_b32 exec_lo, exec_lo, s73
.LBB6_2516:                             ;   in Loop: Header=BB6_356 Depth=4
	s_or_b32 exec_lo, exec_lo, s72
	v_cmp_gt_i16_sdwa s73, v15, v61 src0_sel:BYTE_0 src1_sel:DWORD
	s_andn2_b32 vcc_lo, exec_lo, s63
	s_mov_b32 s16, -1
                                        ; implicit-def: $vgpr46
	s_cbranch_vccnz .LBB6_2530
; %bb.2517:                             ;   in Loop: Header=BB6_356 Depth=4
	s_mov_b32 s72, 0
	s_and_saveexec_b32 s16, s73
	s_xor_b32 s16, exec_lo, s16
	s_cbranch_execz .LBB6_3138
; %bb.2518:                             ;   in Loop: Header=BB6_356 Depth=4
	v_cmp_eq_u16_sdwa s74, v15, v62 src0_sel:BYTE_0 src1_sel:DWORD
	s_mov_b32 s72, -1
	s_and_saveexec_b32 s73, s74
; %bb.2519:                             ;   in Loop: Header=BB6_356 Depth=4
	s_xor_b32 s72, exec_lo, -1
; %bb.2520:                             ;   in Loop: Header=BB6_356 Depth=4
	s_or_b32 exec_lo, exec_lo, s73
	s_and_b32 s72, s72, exec_lo
	s_or_saveexec_b32 s16, s16
	v_mov_b32_e32 v14, 0x7f800001
	s_xor_b32 exec_lo, exec_lo, s16
	s_cbranch_execnz .LBB6_3139
.LBB6_2521:                             ;   in Loop: Header=BB6_356 Depth=4
	s_or_b32 exec_lo, exec_lo, s16
	s_and_saveexec_b32 s16, s72
	s_cbranch_execz .LBB6_2523
.LBB6_2522:                             ;   in Loop: Header=BB6_356 Depth=4
	v_and_b32_e32 v14, 7, v15
	v_bfe_u32 v86, v15, 3, 4
	v_ffbh_u32_e32 v87, v14
	v_cmp_eq_u32_e32 vcc_lo, 0, v86
	v_min_u32_e32 v87, 32, v87
	v_subrev_nc_u32_e32 v46, 28, v87
	v_sub_nc_u32_e32 v87, 29, v87
	v_lshlrev_b32_e32 v46, v46, v15
	v_cndmask_b32_e32 v86, v86, v87, vcc_lo
	v_lshlrev_b32_e32 v87, 24, v15
	v_and_b32_e32 v46, 7, v46
	v_lshl_add_u32 v86, v86, 23, 0x3b800000
	v_and_b32_e32 v87, 0x80000000, v87
	v_cndmask_b32_e32 v14, v14, v46, vcc_lo
	v_lshlrev_b32_e32 v14, 20, v14
	v_or3_b32 v14, v87, v86, v14
.LBB6_2523:                             ;   in Loop: Header=BB6_356 Depth=4
	s_or_b32 exec_lo, exec_lo, s16
	v_cmp_gt_i16_sdwa s16, v11, v61 src0_sel:BYTE_0 src1_sel:DWORD
	s_mov_b32 s72, 0
	s_and_saveexec_b32 s73, s16
	s_xor_b32 s16, exec_lo, s73
	s_cbranch_execz .LBB6_3140
; %bb.2524:                             ;   in Loop: Header=BB6_356 Depth=4
	v_cmp_eq_u16_sdwa s74, v11, v62 src0_sel:BYTE_0 src1_sel:DWORD
	s_mov_b32 s72, -1
	s_and_saveexec_b32 s73, s74
; %bb.2525:                             ;   in Loop: Header=BB6_356 Depth=4
	s_xor_b32 s72, exec_lo, -1
; %bb.2526:                             ;   in Loop: Header=BB6_356 Depth=4
	s_or_b32 exec_lo, exec_lo, s73
	s_and_b32 s72, s72, exec_lo
	s_or_saveexec_b32 s16, s16
	v_mov_b32_e32 v86, 0x7f800001
	s_xor_b32 exec_lo, exec_lo, s16
	s_cbranch_execnz .LBB6_3141
.LBB6_2527:                             ;   in Loop: Header=BB6_356 Depth=4
	s_or_b32 exec_lo, exec_lo, s16
	s_and_saveexec_b32 s16, s72
	s_cbranch_execz .LBB6_2529
.LBB6_2528:                             ;   in Loop: Header=BB6_356 Depth=4
	v_and_b32_e32 v86, 7, v11
	v_bfe_u32 v87, v11, 3, 4
	v_ffbh_u32_e32 v46, v86
	v_cmp_eq_u32_e32 vcc_lo, 0, v87
	v_min_u32_e32 v46, 32, v46
	v_subrev_nc_u32_e32 v60, 28, v46
	v_sub_nc_u32_e32 v46, 29, v46
	v_lshlrev_b32_e32 v60, v60, v11
	v_cndmask_b32_e32 v87, v87, v46, vcc_lo
	v_lshlrev_b32_e32 v46, 24, v11
	v_and_b32_e32 v60, 7, v60
	v_lshl_add_u32 v87, v87, 23, 0x3b800000
	v_and_b32_e32 v46, 0x80000000, v46
	v_cndmask_b32_e32 v86, v86, v60, vcc_lo
	v_lshlrev_b32_e32 v86, 20, v86
	v_or3_b32 v86, v46, v87, v86
.LBB6_2529:                             ;   in Loop: Header=BB6_356 Depth=4
	s_or_b32 exec_lo, exec_lo, s16
	v_max_f32_e32 v86, v86, v86
	v_max_f32_e32 v14, v14, v14
	s_mov_b32 s16, 0
	v_max_f32_e32 v46, v14, v86
.LBB6_2530:                             ;   in Loop: Header=BB6_356 Depth=4
	s_and_b32 vcc_lo, exec_lo, s16
	s_cbranch_vccz .LBB6_2544
; %bb.2531:                             ;   in Loop: Header=BB6_356 Depth=4
	v_cmp_gt_i16_sdwa s16, v15, v61 src0_sel:BYTE_0 src1_sel:DWORD
	s_mov_b32 s72, 0
	s_and_saveexec_b32 s73, s16
	s_xor_b32 s16, exec_lo, s73
	s_cbranch_execz .LBB6_3142
; %bb.2532:                             ;   in Loop: Header=BB6_356 Depth=4
	v_cmp_eq_u16_sdwa s74, v15, v62 src0_sel:BYTE_0 src1_sel:DWORD
	s_mov_b32 s72, -1
	s_and_saveexec_b32 s73, s74
; %bb.2533:                             ;   in Loop: Header=BB6_356 Depth=4
	s_xor_b32 s72, exec_lo, -1
; %bb.2534:                             ;   in Loop: Header=BB6_356 Depth=4
	s_or_b32 exec_lo, exec_lo, s73
	s_and_b32 s72, s72, exec_lo
	s_or_saveexec_b32 s16, s16
	v_mov_b32_e32 v14, 0x7f800001
	s_xor_b32 exec_lo, exec_lo, s16
	s_cbranch_execnz .LBB6_3143
.LBB6_2535:                             ;   in Loop: Header=BB6_356 Depth=4
	s_or_b32 exec_lo, exec_lo, s16
	s_and_saveexec_b32 s16, s72
	s_cbranch_execz .LBB6_2537
.LBB6_2536:                             ;   in Loop: Header=BB6_356 Depth=4
	v_and_b32_e32 v14, 7, v15
	v_bfe_u32 v86, v15, 3, 4
	v_ffbh_u32_e32 v87, v14
	v_cmp_eq_u32_e32 vcc_lo, 0, v86
	v_min_u32_e32 v87, 32, v87
	v_subrev_nc_u32_e32 v46, 28, v87
	v_sub_nc_u32_e32 v87, 29, v87
	v_lshlrev_b32_e32 v46, v46, v15
	v_cndmask_b32_e32 v86, v86, v87, vcc_lo
	v_lshlrev_b32_e32 v87, 24, v15
	v_and_b32_e32 v46, 7, v46
	v_lshl_add_u32 v86, v86, 23, 0x3b800000
	v_and_b32_e32 v87, 0x80000000, v87
	v_cndmask_b32_e32 v14, v14, v46, vcc_lo
	v_lshlrev_b32_e32 v14, 20, v14
	v_or3_b32 v14, v87, v86, v14
.LBB6_2537:                             ;   in Loop: Header=BB6_356 Depth=4
	s_or_b32 exec_lo, exec_lo, s16
	v_cmp_gt_i16_sdwa s16, v11, v61 src0_sel:BYTE_0 src1_sel:DWORD
	s_mov_b32 s72, 0
	s_and_saveexec_b32 s73, s16
	s_xor_b32 s16, exec_lo, s73
	s_cbranch_execz .LBB6_3144
; %bb.2538:                             ;   in Loop: Header=BB6_356 Depth=4
	v_cmp_eq_u16_sdwa s74, v11, v62 src0_sel:BYTE_0 src1_sel:DWORD
	s_mov_b32 s72, -1
	s_and_saveexec_b32 s73, s74
; %bb.2539:                             ;   in Loop: Header=BB6_356 Depth=4
	s_xor_b32 s72, exec_lo, -1
; %bb.2540:                             ;   in Loop: Header=BB6_356 Depth=4
	s_or_b32 exec_lo, exec_lo, s73
	s_and_b32 s72, s72, exec_lo
	s_or_saveexec_b32 s16, s16
	v_mov_b32_e32 v86, 0x7f800001
	s_xor_b32 exec_lo, exec_lo, s16
	s_cbranch_execnz .LBB6_3145
.LBB6_2541:                             ;   in Loop: Header=BB6_356 Depth=4
	s_or_b32 exec_lo, exec_lo, s16
	s_and_saveexec_b32 s16, s72
	s_cbranch_execz .LBB6_2543
.LBB6_2542:                             ;   in Loop: Header=BB6_356 Depth=4
	v_and_b32_e32 v86, 7, v11
	v_bfe_u32 v87, v11, 3, 4
	v_ffbh_u32_e32 v46, v86
	v_cmp_eq_u32_e32 vcc_lo, 0, v87
	v_min_u32_e32 v46, 32, v46
	v_subrev_nc_u32_e32 v60, 28, v46
	v_sub_nc_u32_e32 v46, 29, v46
	v_lshlrev_b32_e32 v60, v60, v11
	v_cndmask_b32_e32 v87, v87, v46, vcc_lo
	v_lshlrev_b32_e32 v46, 24, v11
	v_and_b32_e32 v60, 7, v60
	v_lshl_add_u32 v87, v87, 23, 0x3b800000
	v_and_b32_e32 v46, 0x80000000, v46
	v_cndmask_b32_e32 v86, v86, v60, vcc_lo
	v_lshlrev_b32_e32 v86, 20, v86
	v_or3_b32 v86, v46, v87, v86
.LBB6_2543:                             ;   in Loop: Header=BB6_356 Depth=4
	s_or_b32 exec_lo, exec_lo, s16
	v_max_f32_e32 v86, v86, v86
	v_max_f32_e32 v14, v14, v14
	v_min_f32_e32 v46, v14, v86
.LBB6_2544:                             ;   in Loop: Header=BB6_356 Depth=4
	v_and_b32_e32 v14, 0x7f800000, v46
	v_cmp_ne_u32_e32 vcc_lo, 0x7f800000, v14
	v_mov_b32_e32 v14, 0x80
	s_and_saveexec_b32 s72, vcc_lo
	s_cbranch_execz .LBB6_2552
; %bb.2545:                             ;   in Loop: Header=BB6_356 Depth=4
	v_mov_b32_e32 v14, 0
	s_mov_b32 s73, exec_lo
	v_cmpx_ne_u32_e32 0, v46
	s_cbranch_execz .LBB6_2551
; %bb.2546:                             ;   in Loop: Header=BB6_356 Depth=4
	v_bfe_u32 v86, v46, 23, 8
	v_and_b32_e32 v14, 0x7fffff, v46
                                        ; implicit-def: $vgpr105
	v_cmp_gt_u32_e64 s16, 0x79, v86
	v_sub_nc_u32_e32 v87, 0x78, v86
	v_cmp_eq_u32_e32 vcc_lo, 0, v86
	v_or_b32_e32 v60, 0x800000, v14
	v_cndmask_b32_e64 v87, 0, v87, s16
	v_cndmask_b32_e32 v14, v60, v14, vcc_lo
	v_cndmask_b32_e64 v87, v87, 0x77, vcc_lo
	v_lshl_add_u32 v60, 0x100000, v87, -1
	v_lshlrev_b32_e64 v74, v87, 0x80000
	v_and_b32_e32 v60, v60, v14
	v_cmp_eq_u32_e64 s16, v60, v74
	v_lshrrev_b32_e32 v74, v87, v14
	v_add_nc_u32_e32 v14, 0xffffff89, v86
	v_lshrrev_b32_e32 v86, 23, v74
	v_cndmask_b32_e64 v14, v14, 0xffffff8a, vcc_lo
	v_xor_b32_e32 v60, 1, v86
	v_bfe_u32 v86, v74, 20, 1
	v_add_nc_u32_e32 v14, v87, v14
	v_add_nc_u32_e32 v86, -1, v86
	v_cndmask_b32_e64 v86, 0, v86, s16
	s_mov_b32 s16, exec_lo
	v_add_nc_u32_e32 v86, v86, v74
	v_and_b32_e32 v86, 0xfffff, v86
	v_add_nc_u32_e32 v74, v86, v74
	v_cmpx_ne_u32_e64 v14, v60
	s_xor_b32 s16, exec_lo, s16
; %bb.2547:                             ;   in Loop: Header=BB6_356 Depth=4
	v_cmp_lt_u32_e32 vcc_lo, 0xffffff, v74
	v_sub_nc_u32_e32 v14, v14, v60
	v_cndmask_b32_e64 v86, 0, 1, vcc_lo
	v_add_co_ci_u32_e64 v105, null, 0, v14, vcc_lo
	v_lshrrev_b32_e32 v74, v86, v74
; %bb.2548:                             ;   in Loop: Header=BB6_356 Depth=4
	s_andn2_saveexec_b32 s16, s16
; %bb.2549:                             ;   in Loop: Header=BB6_356 Depth=4
	v_bfe_u32 v105, v74, 23, 1
; %bb.2550:                             ;   in Loop: Header=BB6_356 Depth=4
	s_or_b32 exec_lo, exec_lo, s16
	v_lshrrev_b32_e32 v86, 20, v74
	v_min_i32_e32 v87, 15, v105
	v_cmp_gt_i32_e32 vcc_lo, 16, v105
	v_and_b32_sdwa v14, v46, v62 dst_sel:DWORD dst_unused:UNUSED_PAD src0_sel:BYTE_3 src1_sel:DWORD
	v_lshlrev_b32_e32 v87, 3, v87
	v_cndmask_b32_e32 v86, 7, v86, vcc_lo
	v_and_b32_e32 v87, 0xf8, v87
	v_or_b32_e32 v46, v105, v86
	v_and_b32_e32 v86, 7, v86
	v_cmp_ne_u32_e32 vcc_lo, 0, v46
	v_or3_b32 v14, v87, v14, v86
	v_cndmask_b32_e32 v14, 0, v14, vcc_lo
.LBB6_2551:                             ;   in Loop: Header=BB6_356 Depth=4
	s_or_b32 exec_lo, exec_lo, s73
.LBB6_2552:                             ;   in Loop: Header=BB6_356 Depth=4
	s_or_b32 exec_lo, exec_lo, s72
	v_cmp_gt_i16_sdwa s72, v15, v61 src0_sel:BYTE_1 src1_sel:DWORD
	s_andn2_b32 vcc_lo, exec_lo, s63
	s_mov_b32 s16, -1
                                        ; implicit-def: $vgpr46
	s_cbranch_vccnz .LBB6_2566
; %bb.2553:                             ;   in Loop: Header=BB6_356 Depth=4
	s_mov_b32 s16, 0
	s_and_saveexec_b32 s73, s72
	s_xor_b32 s72, exec_lo, s73
	s_cbranch_execz .LBB6_3146
; %bb.2554:                             ;   in Loop: Header=BB6_356 Depth=4
	v_cmp_eq_u16_sdwa s74, v15, v62 src0_sel:BYTE_1 src1_sel:DWORD
	s_mov_b32 s16, -1
	s_and_saveexec_b32 s73, s74
; %bb.2555:                             ;   in Loop: Header=BB6_356 Depth=4
	s_xor_b32 s16, exec_lo, -1
; %bb.2556:                             ;   in Loop: Header=BB6_356 Depth=4
	s_or_b32 exec_lo, exec_lo, s73
	s_and_b32 s16, s16, exec_lo
	s_or_saveexec_b32 s72, s72
	v_mov_b32_e32 v46, 0x7f800001
	s_xor_b32 exec_lo, exec_lo, s72
	s_cbranch_execnz .LBB6_3147
.LBB6_2557:                             ;   in Loop: Header=BB6_356 Depth=4
	s_or_b32 exec_lo, exec_lo, s72
	s_and_saveexec_b32 s72, s16
	s_cbranch_execz .LBB6_2559
.LBB6_2558:                             ;   in Loop: Header=BB6_356 Depth=4
	v_and_b32_sdwa v86, v63, v15 dst_sel:DWORD dst_unused:UNUSED_PAD src0_sel:DWORD src1_sel:BYTE_1
	v_and_b32_e32 v87, 7, v86
	v_bfe_u32 v74, v86, 3, 4
	v_ffbh_u32_e32 v46, v87
	v_cmp_eq_u32_e32 vcc_lo, 0, v74
	v_min_u32_e32 v46, 32, v46
	v_subrev_nc_u32_e32 v60, 28, v46
	v_sub_nc_u32_e32 v46, 29, v46
	v_lshlrev_b32_e32 v86, v60, v86
	v_lshlrev_b32_e32 v60, 16, v15
	v_cndmask_b32_e32 v46, v74, v46, vcc_lo
	v_and_b32_e32 v86, 7, v86
	v_lshl_add_u32 v46, v46, 23, 0x3b800000
	v_cndmask_b32_e32 v86, v87, v86, vcc_lo
	v_and_b32_e32 v87, 0x80000000, v60
	v_lshlrev_b32_e32 v86, 20, v86
	v_or3_b32 v46, v87, v46, v86
.LBB6_2559:                             ;   in Loop: Header=BB6_356 Depth=4
	s_or_b32 exec_lo, exec_lo, s72
	v_cmp_gt_i16_sdwa s72, v11, v61 src0_sel:BYTE_1 src1_sel:DWORD
	s_mov_b32 s16, 0
	s_and_saveexec_b32 s73, s72
	s_xor_b32 s72, exec_lo, s73
	s_cbranch_execz .LBB6_3148
; %bb.2560:                             ;   in Loop: Header=BB6_356 Depth=4
	v_cmp_eq_u16_sdwa s74, v11, v62 src0_sel:BYTE_1 src1_sel:DWORD
	s_mov_b32 s16, -1
	s_and_saveexec_b32 s73, s74
; %bb.2561:                             ;   in Loop: Header=BB6_356 Depth=4
	s_xor_b32 s16, exec_lo, -1
; %bb.2562:                             ;   in Loop: Header=BB6_356 Depth=4
	s_or_b32 exec_lo, exec_lo, s73
	s_and_b32 s16, s16, exec_lo
	s_or_saveexec_b32 s72, s72
	v_mov_b32_e32 v86, 0x7f800001
	s_xor_b32 exec_lo, exec_lo, s72
	s_cbranch_execnz .LBB6_3149
.LBB6_2563:                             ;   in Loop: Header=BB6_356 Depth=4
	s_or_b32 exec_lo, exec_lo, s72
	s_and_saveexec_b32 s72, s16
	s_cbranch_execz .LBB6_2565
.LBB6_2564:                             ;   in Loop: Header=BB6_356 Depth=4
	v_and_b32_sdwa v86, v63, v11 dst_sel:DWORD dst_unused:UNUSED_PAD src0_sel:DWORD src1_sel:BYTE_1
	v_and_b32_e32 v87, 7, v86
	v_bfe_u32 v105, v86, 3, 4
	v_ffbh_u32_e32 v60, v87
	v_cmp_eq_u32_e32 vcc_lo, 0, v105
	v_min_u32_e32 v60, 32, v60
	v_subrev_nc_u32_e32 v74, 28, v60
	v_sub_nc_u32_e32 v60, 29, v60
	v_lshlrev_b32_e32 v86, v74, v86
	v_lshlrev_b32_e32 v74, 16, v11
	v_cndmask_b32_e32 v60, v105, v60, vcc_lo
	v_and_b32_e32 v86, 7, v86
	v_lshl_add_u32 v60, v60, 23, 0x3b800000
	v_cndmask_b32_e32 v86, v87, v86, vcc_lo
	v_and_b32_e32 v87, 0x80000000, v74
	v_lshlrev_b32_e32 v86, 20, v86
	v_or3_b32 v86, v87, v60, v86
.LBB6_2565:                             ;   in Loop: Header=BB6_356 Depth=4
	s_or_b32 exec_lo, exec_lo, s72
	v_max_f32_e32 v86, v86, v86
	v_max_f32_e32 v87, v46, v46
	s_mov_b32 s16, 0
	v_max_f32_e32 v46, v87, v86
.LBB6_2566:                             ;   in Loop: Header=BB6_356 Depth=4
	s_and_b32 vcc_lo, exec_lo, s16
	s_cbranch_vccz .LBB6_2580
; %bb.2567:                             ;   in Loop: Header=BB6_356 Depth=4
	v_cmp_gt_i16_sdwa s72, v15, v61 src0_sel:BYTE_1 src1_sel:DWORD
	s_mov_b32 s16, 0
	s_and_saveexec_b32 s73, s72
	s_xor_b32 s72, exec_lo, s73
	s_cbranch_execz .LBB6_3150
; %bb.2568:                             ;   in Loop: Header=BB6_356 Depth=4
	v_cmp_eq_u16_sdwa s74, v15, v62 src0_sel:BYTE_1 src1_sel:DWORD
	s_mov_b32 s16, -1
	s_and_saveexec_b32 s73, s74
; %bb.2569:                             ;   in Loop: Header=BB6_356 Depth=4
	s_xor_b32 s16, exec_lo, -1
; %bb.2570:                             ;   in Loop: Header=BB6_356 Depth=4
	s_or_b32 exec_lo, exec_lo, s73
	s_and_b32 s16, s16, exec_lo
	s_or_saveexec_b32 s72, s72
	v_mov_b32_e32 v46, 0x7f800001
	s_xor_b32 exec_lo, exec_lo, s72
	s_cbranch_execnz .LBB6_3151
.LBB6_2571:                             ;   in Loop: Header=BB6_356 Depth=4
	s_or_b32 exec_lo, exec_lo, s72
	s_and_saveexec_b32 s72, s16
	s_cbranch_execz .LBB6_2573
.LBB6_2572:                             ;   in Loop: Header=BB6_356 Depth=4
	v_and_b32_sdwa v86, v63, v15 dst_sel:DWORD dst_unused:UNUSED_PAD src0_sel:DWORD src1_sel:BYTE_1
	v_and_b32_e32 v87, 7, v86
	v_bfe_u32 v74, v86, 3, 4
	v_ffbh_u32_e32 v46, v87
	v_cmp_eq_u32_e32 vcc_lo, 0, v74
	v_min_u32_e32 v46, 32, v46
	v_subrev_nc_u32_e32 v60, 28, v46
	v_sub_nc_u32_e32 v46, 29, v46
	v_lshlrev_b32_e32 v86, v60, v86
	v_lshlrev_b32_e32 v60, 16, v15
	v_cndmask_b32_e32 v46, v74, v46, vcc_lo
	v_and_b32_e32 v86, 7, v86
	v_lshl_add_u32 v46, v46, 23, 0x3b800000
	v_cndmask_b32_e32 v86, v87, v86, vcc_lo
	v_and_b32_e32 v87, 0x80000000, v60
	v_lshlrev_b32_e32 v86, 20, v86
	v_or3_b32 v46, v87, v46, v86
.LBB6_2573:                             ;   in Loop: Header=BB6_356 Depth=4
	s_or_b32 exec_lo, exec_lo, s72
	v_cmp_gt_i16_sdwa s72, v11, v61 src0_sel:BYTE_1 src1_sel:DWORD
	s_mov_b32 s16, 0
	s_and_saveexec_b32 s73, s72
	s_xor_b32 s72, exec_lo, s73
	s_cbranch_execz .LBB6_3152
; %bb.2574:                             ;   in Loop: Header=BB6_356 Depth=4
	v_cmp_eq_u16_sdwa s74, v11, v62 src0_sel:BYTE_1 src1_sel:DWORD
	s_mov_b32 s16, -1
	s_and_saveexec_b32 s73, s74
; %bb.2575:                             ;   in Loop: Header=BB6_356 Depth=4
	s_xor_b32 s16, exec_lo, -1
; %bb.2576:                             ;   in Loop: Header=BB6_356 Depth=4
	s_or_b32 exec_lo, exec_lo, s73
	s_and_b32 s16, s16, exec_lo
	s_or_saveexec_b32 s72, s72
	v_mov_b32_e32 v86, 0x7f800001
	s_xor_b32 exec_lo, exec_lo, s72
	s_cbranch_execnz .LBB6_3153
.LBB6_2577:                             ;   in Loop: Header=BB6_356 Depth=4
	s_or_b32 exec_lo, exec_lo, s72
	s_and_saveexec_b32 s72, s16
	s_cbranch_execz .LBB6_2579
.LBB6_2578:                             ;   in Loop: Header=BB6_356 Depth=4
	v_and_b32_sdwa v86, v63, v11 dst_sel:DWORD dst_unused:UNUSED_PAD src0_sel:DWORD src1_sel:BYTE_1
	v_and_b32_e32 v87, 7, v86
	v_bfe_u32 v105, v86, 3, 4
	v_ffbh_u32_e32 v60, v87
	v_cmp_eq_u32_e32 vcc_lo, 0, v105
	v_min_u32_e32 v60, 32, v60
	v_subrev_nc_u32_e32 v74, 28, v60
	v_sub_nc_u32_e32 v60, 29, v60
	v_lshlrev_b32_e32 v86, v74, v86
	v_lshlrev_b32_e32 v74, 16, v11
	v_cndmask_b32_e32 v60, v105, v60, vcc_lo
	v_and_b32_e32 v86, 7, v86
	v_lshl_add_u32 v60, v60, 23, 0x3b800000
	v_cndmask_b32_e32 v86, v87, v86, vcc_lo
	v_and_b32_e32 v87, 0x80000000, v74
	v_lshlrev_b32_e32 v86, 20, v86
	v_or3_b32 v86, v87, v60, v86
.LBB6_2579:                             ;   in Loop: Header=BB6_356 Depth=4
	s_or_b32 exec_lo, exec_lo, s72
	v_max_f32_e32 v86, v86, v86
	v_max_f32_e32 v87, v46, v46
	v_min_f32_e32 v46, v87, v86
.LBB6_2580:                             ;   in Loop: Header=BB6_356 Depth=4
	v_and_b32_e32 v86, 0x7f800000, v46
	v_mov_b32_e32 v74, 0x8000
	s_mov_b32 s72, exec_lo
	v_cmpx_ne_u32_e32 0x7f800000, v86
	s_cbranch_execz .LBB6_2588
; %bb.2581:                             ;   in Loop: Header=BB6_356 Depth=4
	v_mov_b32_e32 v74, 0
	s_mov_b32 s73, exec_lo
	v_cmpx_ne_u32_e32 0, v46
	s_cbranch_execz .LBB6_2587
; %bb.2582:                             ;   in Loop: Header=BB6_356 Depth=4
	v_bfe_u32 v87, v46, 23, 8
	v_and_b32_e32 v86, 0x7fffff, v46
                                        ; implicit-def: $vgpr106
	v_cmp_gt_u32_e64 s16, 0x79, v87
	v_sub_nc_u32_e32 v60, 0x78, v87
	v_cmp_eq_u32_e32 vcc_lo, 0, v87
	v_or_b32_e32 v74, 0x800000, v86
	v_add_nc_u32_e32 v87, 0xffffff89, v87
	v_cndmask_b32_e64 v60, 0, v60, s16
	v_cndmask_b32_e32 v86, v74, v86, vcc_lo
	v_cndmask_b32_e64 v87, v87, 0xffffff8a, vcc_lo
	v_cndmask_b32_e64 v60, v60, 0x77, vcc_lo
	v_lshl_add_u32 v74, 0x100000, v60, -1
	v_lshlrev_b32_e64 v105, v60, 0x80000
	v_and_b32_e32 v74, v74, v86
	v_lshrrev_b32_e32 v86, v60, v86
	v_add_nc_u32_e32 v60, v60, v87
	v_cmp_eq_u32_e64 s16, v74, v105
	v_lshrrev_b32_e32 v87, 23, v86
	v_xor_b32_e32 v74, 1, v87
	v_bfe_u32 v87, v86, 20, 1
	v_add_nc_u32_e32 v87, -1, v87
	v_cndmask_b32_e64 v87, 0, v87, s16
	s_mov_b32 s16, exec_lo
	v_add_nc_u32_e32 v87, v87, v86
	v_and_b32_e32 v87, 0xfffff, v87
	v_add_nc_u32_e32 v105, v87, v86
	v_cmpx_ne_u32_e64 v60, v74
	s_xor_b32 s16, exec_lo, s16
; %bb.2583:                             ;   in Loop: Header=BB6_356 Depth=4
	v_cmp_lt_u32_e32 vcc_lo, 0xffffff, v105
	v_sub_nc_u32_e32 v86, v60, v74
	v_cndmask_b32_e64 v87, 0, 1, vcc_lo
	v_add_co_ci_u32_e64 v106, null, 0, v86, vcc_lo
	v_lshrrev_b32_e32 v105, v87, v105
; %bb.2584:                             ;   in Loop: Header=BB6_356 Depth=4
	s_andn2_saveexec_b32 s16, s16
; %bb.2585:                             ;   in Loop: Header=BB6_356 Depth=4
	v_bfe_u32 v106, v105, 23, 1
; %bb.2586:                             ;   in Loop: Header=BB6_356 Depth=4
	s_or_b32 exec_lo, exec_lo, s16
	v_and_b32_sdwa v86, v46, v62 dst_sel:DWORD dst_unused:UNUSED_PAD src0_sel:BYTE_3 src1_sel:DWORD
	v_lshrrev_b32_e32 v87, 20, v105
	v_min_i32_e32 v46, 15, v106
	v_cmp_gt_i32_e32 vcc_lo, 16, v106
	v_lshlrev_b32_e32 v46, 3, v46
	v_cndmask_b32_e32 v87, 7, v87, vcc_lo
	v_and_b32_e32 v46, 0xf8, v46
	v_or_b32_e32 v60, v106, v87
	v_and_b32_e32 v87, 7, v87
	v_cmp_ne_u32_e32 vcc_lo, 0, v60
	v_or3_b32 v86, v86, v46, v87
	v_lshlrev_b32_e32 v86, 8, v86
	v_cndmask_b32_e32 v74, 0, v86, vcc_lo
.LBB6_2587:                             ;   in Loop: Header=BB6_356 Depth=4
	s_or_b32 exec_lo, exec_lo, s73
.LBB6_2588:                             ;   in Loop: Header=BB6_356 Depth=4
	s_or_b32 exec_lo, exec_lo, s72
	v_and_b32_sdwa v46, v15, v72 dst_sel:DWORD dst_unused:UNUSED_PAD src0_sel:WORD_1 src1_sel:DWORD
	s_andn2_b32 vcc_lo, exec_lo, s63
	s_mov_b32 s72, -1
                                        ; implicit-def: $vgpr60
	v_cmp_lt_i16_e64 s16, 0x7f, v46
	s_cbranch_vccnz .LBB6_2602
; %bb.2589:                             ;   in Loop: Header=BB6_356 Depth=4
	s_mov_b32 s72, 0
	s_and_saveexec_b32 s73, s16
	s_xor_b32 s16, exec_lo, s73
	s_cbranch_execz .LBB6_3154
; %bb.2590:                             ;   in Loop: Header=BB6_356 Depth=4
	s_mov_b32 s72, -1
	s_mov_b32 s73, exec_lo
	v_cmpx_eq_u16_e32 0x80, v46
; %bb.2591:                             ;   in Loop: Header=BB6_356 Depth=4
	s_xor_b32 s72, exec_lo, -1
; %bb.2592:                             ;   in Loop: Header=BB6_356 Depth=4
	s_or_b32 exec_lo, exec_lo, s73
	s_and_b32 s72, s72, exec_lo
	s_or_saveexec_b32 s16, s16
	v_mov_b32_e32 v60, 0x7f800001
	s_xor_b32 exec_lo, exec_lo, s16
	s_cbranch_execnz .LBB6_3155
.LBB6_2593:                             ;   in Loop: Header=BB6_356 Depth=4
	s_or_b32 exec_lo, exec_lo, s16
	s_and_saveexec_b32 s16, s72
	s_cbranch_execz .LBB6_2595
.LBB6_2594:                             ;   in Loop: Header=BB6_356 Depth=4
	v_bfe_u32 v86, v15, 16, 3
	v_bfe_u32 v87, v15, 19, 4
	v_ffbh_u32_e32 v60, v86
	v_cmp_eq_u32_e32 vcc_lo, 0, v87
	v_min_u32_e32 v60, 32, v60
	v_subrev_nc_u32_e32 v105, 28, v60
	v_sub_nc_u32_e32 v60, 29, v60
	v_lshlrev_b32_sdwa v105, v105, v15 dst_sel:DWORD dst_unused:UNUSED_PAD src0_sel:DWORD src1_sel:WORD_1
	v_cndmask_b32_e32 v87, v87, v60, vcc_lo
	v_lshlrev_b32_sdwa v60, v73, v15 dst_sel:DWORD dst_unused:UNUSED_PAD src0_sel:DWORD src1_sel:WORD_1
	v_and_b32_e32 v105, 7, v105
	v_lshl_add_u32 v87, v87, 23, 0x3b800000
	v_and_b32_e32 v60, 0x80000000, v60
	v_cndmask_b32_e32 v86, v86, v105, vcc_lo
	v_lshlrev_b32_e32 v86, 20, v86
	v_or3_b32 v60, v60, v87, v86
.LBB6_2595:                             ;   in Loop: Header=BB6_356 Depth=4
	s_or_b32 exec_lo, exec_lo, s16
	v_and_b32_sdwa v87, v11, v72 dst_sel:DWORD dst_unused:UNUSED_PAD src0_sel:WORD_1 src1_sel:DWORD
	s_mov_b32 s72, 0
	s_mov_b32 s16, exec_lo
	v_cmpx_lt_i16_e32 0x7f, v87
	s_xor_b32 s16, exec_lo, s16
	s_cbranch_execz .LBB6_3156
; %bb.2596:                             ;   in Loop: Header=BB6_356 Depth=4
	s_mov_b32 s72, -1
	s_mov_b32 s73, exec_lo
	v_cmpx_eq_u16_e32 0x80, v87
; %bb.2597:                             ;   in Loop: Header=BB6_356 Depth=4
	s_xor_b32 s72, exec_lo, -1
; %bb.2598:                             ;   in Loop: Header=BB6_356 Depth=4
	s_or_b32 exec_lo, exec_lo, s73
	s_and_b32 s72, s72, exec_lo
                                        ; implicit-def: $vgpr87
	s_or_saveexec_b32 s16, s16
	v_mov_b32_e32 v86, 0x7f800001
	s_xor_b32 exec_lo, exec_lo, s16
	s_cbranch_execnz .LBB6_3157
.LBB6_2599:                             ;   in Loop: Header=BB6_356 Depth=4
	s_or_b32 exec_lo, exec_lo, s16
	s_and_saveexec_b32 s16, s72
	s_cbranch_execz .LBB6_2601
.LBB6_2600:                             ;   in Loop: Header=BB6_356 Depth=4
	v_bfe_u32 v86, v11, 16, 3
	v_bfe_u32 v87, v11, 19, 4
	v_ffbh_u32_e32 v105, v86
	v_cmp_eq_u32_e32 vcc_lo, 0, v87
	v_min_u32_e32 v105, 32, v105
	v_subrev_nc_u32_e32 v106, 28, v105
	v_sub_nc_u32_e32 v105, 29, v105
	v_lshlrev_b32_sdwa v106, v106, v11 dst_sel:DWORD dst_unused:UNUSED_PAD src0_sel:DWORD src1_sel:WORD_1
	v_cndmask_b32_e32 v87, v87, v105, vcc_lo
	v_lshlrev_b32_sdwa v105, v73, v11 dst_sel:DWORD dst_unused:UNUSED_PAD src0_sel:DWORD src1_sel:WORD_1
	v_and_b32_e32 v106, 7, v106
	v_lshl_add_u32 v87, v87, 23, 0x3b800000
	v_and_b32_e32 v105, 0x80000000, v105
	v_cndmask_b32_e32 v86, v86, v106, vcc_lo
	v_lshlrev_b32_e32 v86, 20, v86
	v_or3_b32 v86, v105, v87, v86
.LBB6_2601:                             ;   in Loop: Header=BB6_356 Depth=4
	s_or_b32 exec_lo, exec_lo, s16
	v_max_f32_e32 v86, v86, v86
	v_max_f32_e32 v87, v60, v60
	s_mov_b32 s72, 0
	v_max_f32_e32 v60, v87, v86
.LBB6_2602:                             ;   in Loop: Header=BB6_356 Depth=4
	s_and_b32 vcc_lo, exec_lo, s72
	s_cbranch_vccz .LBB6_2616
; %bb.2603:                             ;   in Loop: Header=BB6_356 Depth=4
	s_mov_b32 s72, 0
	s_mov_b32 s16, exec_lo
	v_cmpx_lt_i16_e32 0x7f, v46
	s_xor_b32 s16, exec_lo, s16
	s_cbranch_execz .LBB6_3158
; %bb.2604:                             ;   in Loop: Header=BB6_356 Depth=4
	s_mov_b32 s72, -1
	s_mov_b32 s73, exec_lo
	v_cmpx_eq_u16_e32 0x80, v46
; %bb.2605:                             ;   in Loop: Header=BB6_356 Depth=4
	s_xor_b32 s72, exec_lo, -1
; %bb.2606:                             ;   in Loop: Header=BB6_356 Depth=4
	s_or_b32 exec_lo, exec_lo, s73
	s_and_b32 s72, s72, exec_lo
                                        ; implicit-def: $vgpr46
	s_or_saveexec_b32 s16, s16
	v_mov_b32_e32 v60, 0x7f800001
	s_xor_b32 exec_lo, exec_lo, s16
	s_cbranch_execnz .LBB6_3159
.LBB6_2607:                             ;   in Loop: Header=BB6_356 Depth=4
	s_or_b32 exec_lo, exec_lo, s16
	s_and_saveexec_b32 s16, s72
	s_cbranch_execz .LBB6_2609
.LBB6_2608:                             ;   in Loop: Header=BB6_356 Depth=4
	v_bfe_u32 v86, v15, 16, 3
	v_bfe_u32 v87, v15, 19, 4
	v_ffbh_u32_e32 v46, v86
	v_cmp_eq_u32_e32 vcc_lo, 0, v87
	v_min_u32_e32 v46, 32, v46
	v_subrev_nc_u32_e32 v60, 28, v46
	v_sub_nc_u32_e32 v46, 29, v46
	v_lshlrev_b32_sdwa v60, v60, v15 dst_sel:DWORD dst_unused:UNUSED_PAD src0_sel:DWORD src1_sel:WORD_1
	v_cndmask_b32_e32 v87, v87, v46, vcc_lo
	v_lshlrev_b32_sdwa v46, v73, v15 dst_sel:DWORD dst_unused:UNUSED_PAD src0_sel:DWORD src1_sel:WORD_1
	v_and_b32_e32 v60, 7, v60
	v_lshl_add_u32 v87, v87, 23, 0x3b800000
	v_and_b32_e32 v46, 0x80000000, v46
	v_cndmask_b32_e32 v86, v86, v60, vcc_lo
	v_lshlrev_b32_e32 v86, 20, v86
	v_or3_b32 v60, v46, v87, v86
.LBB6_2609:                             ;   in Loop: Header=BB6_356 Depth=4
	s_or_b32 exec_lo, exec_lo, s16
	v_and_b32_sdwa v87, v11, v72 dst_sel:DWORD dst_unused:UNUSED_PAD src0_sel:WORD_1 src1_sel:DWORD
	s_mov_b32 s72, 0
	s_mov_b32 s16, exec_lo
	v_cmpx_lt_i16_e32 0x7f, v87
	s_xor_b32 s16, exec_lo, s16
	s_cbranch_execz .LBB6_3160
; %bb.2610:                             ;   in Loop: Header=BB6_356 Depth=4
	s_mov_b32 s72, -1
	s_mov_b32 s73, exec_lo
	v_cmpx_eq_u16_e32 0x80, v87
; %bb.2611:                             ;   in Loop: Header=BB6_356 Depth=4
	s_xor_b32 s72, exec_lo, -1
; %bb.2612:                             ;   in Loop: Header=BB6_356 Depth=4
	s_or_b32 exec_lo, exec_lo, s73
	s_and_b32 s72, s72, exec_lo
                                        ; implicit-def: $vgpr87
	s_or_saveexec_b32 s16, s16
	v_mov_b32_e32 v86, 0x7f800001
	s_xor_b32 exec_lo, exec_lo, s16
	s_cbranch_execnz .LBB6_3161
.LBB6_2613:                             ;   in Loop: Header=BB6_356 Depth=4
	s_or_b32 exec_lo, exec_lo, s16
	s_and_saveexec_b32 s16, s72
	s_cbranch_execz .LBB6_2615
.LBB6_2614:                             ;   in Loop: Header=BB6_356 Depth=4
	v_bfe_u32 v86, v11, 16, 3
	v_bfe_u32 v87, v11, 19, 4
	v_ffbh_u32_e32 v46, v86
	v_cmp_eq_u32_e32 vcc_lo, 0, v87
	v_min_u32_e32 v46, 32, v46
	v_subrev_nc_u32_e32 v105, 28, v46
	v_sub_nc_u32_e32 v46, 29, v46
	v_lshlrev_b32_sdwa v105, v105, v11 dst_sel:DWORD dst_unused:UNUSED_PAD src0_sel:DWORD src1_sel:WORD_1
	v_cndmask_b32_e32 v87, v87, v46, vcc_lo
	v_lshlrev_b32_sdwa v46, v73, v11 dst_sel:DWORD dst_unused:UNUSED_PAD src0_sel:DWORD src1_sel:WORD_1
	v_and_b32_e32 v105, 7, v105
	v_lshl_add_u32 v87, v87, 23, 0x3b800000
	v_and_b32_e32 v46, 0x80000000, v46
	v_cndmask_b32_e32 v86, v86, v105, vcc_lo
	v_lshlrev_b32_e32 v86, 20, v86
	v_or3_b32 v86, v46, v87, v86
.LBB6_2615:                             ;   in Loop: Header=BB6_356 Depth=4
	s_or_b32 exec_lo, exec_lo, s16
	v_max_f32_e32 v86, v86, v86
	v_max_f32_e32 v87, v60, v60
	v_min_f32_e32 v60, v87, v86
.LBB6_2616:                             ;   in Loop: Header=BB6_356 Depth=4
	v_and_b32_e32 v86, 0x7f800000, v60
	v_mov_b32_e32 v46, 0x80
	s_mov_b32 s72, exec_lo
	v_cmpx_ne_u32_e32 0x7f800000, v86
	s_cbranch_execz .LBB6_2624
; %bb.2617:                             ;   in Loop: Header=BB6_356 Depth=4
	v_mov_b32_e32 v46, 0
	s_mov_b32 s73, exec_lo
	v_cmpx_ne_u32_e32 0, v60
	s_cbranch_execz .LBB6_2623
; %bb.2618:                             ;   in Loop: Header=BB6_356 Depth=4
	v_bfe_u32 v87, v60, 23, 8
	v_and_b32_e32 v86, 0x7fffff, v60
	v_cmp_gt_u32_e64 s16, 0x79, v87
	v_sub_nc_u32_e32 v46, 0x78, v87
	v_cmp_eq_u32_e32 vcc_lo, 0, v87
	v_or_b32_e32 v105, 0x800000, v86
	v_add_nc_u32_e32 v87, 0xffffff89, v87
	v_cndmask_b32_e64 v46, 0, v46, s16
	v_cndmask_b32_e32 v86, v105, v86, vcc_lo
	v_cndmask_b32_e64 v87, v87, 0xffffff8a, vcc_lo
	v_cndmask_b32_e64 v46, v46, 0x77, vcc_lo
	v_lshl_add_u32 v105, 0x100000, v46, -1
	v_lshlrev_b32_e64 v106, v46, 0x80000
	v_and_b32_e32 v105, v105, v86
	v_lshrrev_b32_e32 v86, v46, v86
	v_add_nc_u32_e32 v46, v46, v87
	v_cmp_eq_u32_e64 s16, v105, v106
	v_lshrrev_b32_e32 v87, 23, v86
	v_xor_b32_e32 v105, 1, v87
	v_bfe_u32 v87, v86, 20, 1
	v_add_nc_u32_e32 v87, -1, v87
	v_cndmask_b32_e64 v87, 0, v87, s16
	s_mov_b32 s16, exec_lo
	v_add_nc_u32_e32 v87, v87, v86
	v_and_b32_e32 v87, 0xfffff, v87
	v_add_nc_u32_e32 v106, v87, v86
                                        ; implicit-def: $vgpr86
	v_cmpx_ne_u32_e64 v46, v105
	s_xor_b32 s16, exec_lo, s16
; %bb.2619:                             ;   in Loop: Header=BB6_356 Depth=4
	v_cmp_lt_u32_e32 vcc_lo, 0xffffff, v106
	v_sub_nc_u32_e32 v86, v46, v105
	v_cndmask_b32_e64 v87, 0, 1, vcc_lo
	v_add_co_ci_u32_e64 v86, null, 0, v86, vcc_lo
	v_lshrrev_b32_e32 v106, v87, v106
; %bb.2620:                             ;   in Loop: Header=BB6_356 Depth=4
	s_andn2_saveexec_b32 s16, s16
; %bb.2621:                             ;   in Loop: Header=BB6_356 Depth=4
	v_bfe_u32 v86, v106, 23, 1
; %bb.2622:                             ;   in Loop: Header=BB6_356 Depth=4
	s_or_b32 exec_lo, exec_lo, s16
	v_and_b32_sdwa v87, v60, v62 dst_sel:DWORD dst_unused:UNUSED_PAD src0_sel:BYTE_3 src1_sel:DWORD
	v_lshrrev_b32_e32 v46, 20, v106
	v_min_i32_e32 v60, 15, v86
	v_cmp_gt_i32_e32 vcc_lo, 16, v86
	v_lshlrev_b32_e32 v60, 3, v60
	v_cndmask_b32_e32 v46, 7, v46, vcc_lo
	v_and_b32_e32 v60, 0xf8, v60
	v_or_b32_e32 v86, v86, v46
	v_and_b32_e32 v46, 7, v46
	v_cmp_ne_u32_e32 vcc_lo, 0, v86
	v_or3_b32 v87, v60, v87, v46
	v_cndmask_b32_e32 v46, 0, v87, vcc_lo
.LBB6_2623:                             ;   in Loop: Header=BB6_356 Depth=4
	s_or_b32 exec_lo, exec_lo, s73
.LBB6_2624:                             ;   in Loop: Header=BB6_356 Depth=4
	s_or_b32 exec_lo, exec_lo, s72
	v_cmp_gt_i16_sdwa s72, v15, v61 src0_sel:BYTE_3 src1_sel:DWORD
	s_andn2_b32 vcc_lo, exec_lo, s63
	s_mov_b32 s16, -1
                                        ; implicit-def: $vgpr60
	s_cbranch_vccnz .LBB6_2638
; %bb.2625:                             ;   in Loop: Header=BB6_356 Depth=4
	s_mov_b32 s16, 0
	s_and_saveexec_b32 s73, s72
	s_xor_b32 s72, exec_lo, s73
	s_cbranch_execz .LBB6_3162
; %bb.2626:                             ;   in Loop: Header=BB6_356 Depth=4
	v_cmp_eq_u16_sdwa s74, v15, v62 src0_sel:BYTE_3 src1_sel:DWORD
	s_mov_b32 s16, -1
	s_and_saveexec_b32 s73, s74
; %bb.2627:                             ;   in Loop: Header=BB6_356 Depth=4
	s_xor_b32 s16, exec_lo, -1
; %bb.2628:                             ;   in Loop: Header=BB6_356 Depth=4
	s_or_b32 exec_lo, exec_lo, s73
	s_and_b32 s16, s16, exec_lo
	s_or_saveexec_b32 s72, s72
	v_mov_b32_e32 v60, 0x7f800001
	s_xor_b32 exec_lo, exec_lo, s72
	s_cbranch_execnz .LBB6_3163
.LBB6_2629:                             ;   in Loop: Header=BB6_356 Depth=4
	s_or_b32 exec_lo, exec_lo, s72
	s_and_saveexec_b32 s72, s16
	s_cbranch_execz .LBB6_2631
.LBB6_2630:                             ;   in Loop: Header=BB6_356 Depth=4
	v_bfe_u32 v86, v15, 24, 3
	v_bfe_u32 v105, v15, 27, 4
	v_ffbh_u32_e32 v87, v86
	v_cmp_eq_u32_e32 vcc_lo, 0, v105
	v_min_u32_e32 v87, 32, v87
	v_subrev_nc_u32_e32 v60, 28, v87
	v_sub_nc_u32_e32 v87, 29, v87
	v_lshlrev_b32_sdwa v60, v60, v15 dst_sel:DWORD dst_unused:UNUSED_PAD src0_sel:DWORD src1_sel:BYTE_3
	v_cndmask_b32_e32 v87, v105, v87, vcc_lo
	v_and_b32_e32 v60, 7, v60
	v_lshl_add_u32 v87, v87, 23, 0x3b800000
	v_cndmask_b32_e32 v86, v86, v60, vcc_lo
	v_and_b32_e32 v60, 0x80000000, v15
	v_lshlrev_b32_e32 v86, 20, v86
	v_or3_b32 v60, v60, v87, v86
.LBB6_2631:                             ;   in Loop: Header=BB6_356 Depth=4
	s_or_b32 exec_lo, exec_lo, s72
	v_cmp_gt_i16_sdwa s72, v11, v61 src0_sel:BYTE_3 src1_sel:DWORD
	s_mov_b32 s16, 0
	s_and_saveexec_b32 s73, s72
	s_xor_b32 s72, exec_lo, s73
	s_cbranch_execz .LBB6_3164
; %bb.2632:                             ;   in Loop: Header=BB6_356 Depth=4
	v_cmp_eq_u16_sdwa s74, v11, v62 src0_sel:BYTE_3 src1_sel:DWORD
	s_mov_b32 s16, -1
	s_and_saveexec_b32 s73, s74
; %bb.2633:                             ;   in Loop: Header=BB6_356 Depth=4
	s_xor_b32 s16, exec_lo, -1
; %bb.2634:                             ;   in Loop: Header=BB6_356 Depth=4
	s_or_b32 exec_lo, exec_lo, s73
	s_and_b32 s16, s16, exec_lo
	s_or_saveexec_b32 s72, s72
	v_mov_b32_e32 v86, 0x7f800001
	s_xor_b32 exec_lo, exec_lo, s72
	s_cbranch_execnz .LBB6_3165
.LBB6_2635:                             ;   in Loop: Header=BB6_356 Depth=4
	s_or_b32 exec_lo, exec_lo, s72
	s_and_saveexec_b32 s72, s16
	s_cbranch_execz .LBB6_2637
.LBB6_2636:                             ;   in Loop: Header=BB6_356 Depth=4
	v_bfe_u32 v86, v11, 24, 3
	v_bfe_u32 v106, v11, 27, 4
	v_ffbh_u32_e32 v87, v86
	v_cmp_eq_u32_e32 vcc_lo, 0, v106
	v_min_u32_e32 v87, 32, v87
	v_subrev_nc_u32_e32 v105, 28, v87
	v_sub_nc_u32_e32 v87, 29, v87
	v_lshlrev_b32_sdwa v105, v105, v11 dst_sel:DWORD dst_unused:UNUSED_PAD src0_sel:DWORD src1_sel:BYTE_3
	v_cndmask_b32_e32 v87, v106, v87, vcc_lo
	v_and_b32_e32 v105, 7, v105
	v_lshl_add_u32 v87, v87, 23, 0x3b800000
	v_cndmask_b32_e32 v86, v86, v105, vcc_lo
	v_and_b32_e32 v105, 0x80000000, v11
	v_lshlrev_b32_e32 v86, 20, v86
	v_or3_b32 v86, v105, v87, v86
.LBB6_2637:                             ;   in Loop: Header=BB6_356 Depth=4
	s_or_b32 exec_lo, exec_lo, s72
	v_max_f32_e32 v86, v86, v86
	v_max_f32_e32 v87, v60, v60
	s_mov_b32 s16, 0
	v_max_f32_e32 v60, v87, v86
.LBB6_2638:                             ;   in Loop: Header=BB6_356 Depth=4
	s_and_b32 vcc_lo, exec_lo, s16
	s_cbranch_vccz .LBB6_2652
; %bb.2639:                             ;   in Loop: Header=BB6_356 Depth=4
	v_cmp_gt_i16_sdwa s72, v15, v61 src0_sel:BYTE_3 src1_sel:DWORD
	s_mov_b32 s16, 0
	s_and_saveexec_b32 s73, s72
	s_xor_b32 s72, exec_lo, s73
	s_cbranch_execz .LBB6_3166
; %bb.2640:                             ;   in Loop: Header=BB6_356 Depth=4
	v_cmp_eq_u16_sdwa s74, v15, v62 src0_sel:BYTE_3 src1_sel:DWORD
	s_mov_b32 s16, -1
	s_and_saveexec_b32 s73, s74
; %bb.2641:                             ;   in Loop: Header=BB6_356 Depth=4
	s_xor_b32 s16, exec_lo, -1
; %bb.2642:                             ;   in Loop: Header=BB6_356 Depth=4
	s_or_b32 exec_lo, exec_lo, s73
	s_and_b32 s16, s16, exec_lo
	s_or_saveexec_b32 s72, s72
	v_mov_b32_e32 v60, 0x7f800001
	s_xor_b32 exec_lo, exec_lo, s72
	s_cbranch_execnz .LBB6_3167
.LBB6_2643:                             ;   in Loop: Header=BB6_356 Depth=4
	s_or_b32 exec_lo, exec_lo, s72
	s_and_saveexec_b32 s72, s16
	s_cbranch_execz .LBB6_2645
.LBB6_2644:                             ;   in Loop: Header=BB6_356 Depth=4
	v_bfe_u32 v86, v15, 24, 3
	v_bfe_u32 v105, v15, 27, 4
	v_ffbh_u32_e32 v87, v86
	v_cmp_eq_u32_e32 vcc_lo, 0, v105
	v_min_u32_e32 v87, 32, v87
	v_subrev_nc_u32_e32 v60, 28, v87
	v_sub_nc_u32_e32 v87, 29, v87
	v_lshlrev_b32_sdwa v60, v60, v15 dst_sel:DWORD dst_unused:UNUSED_PAD src0_sel:DWORD src1_sel:BYTE_3
	v_cndmask_b32_e32 v87, v105, v87, vcc_lo
	v_and_b32_e32 v15, 0x80000000, v15
	v_and_b32_e32 v60, 7, v60
	v_lshl_add_u32 v87, v87, 23, 0x3b800000
	v_cndmask_b32_e32 v86, v86, v60, vcc_lo
	v_lshlrev_b32_e32 v86, 20, v86
	v_or3_b32 v60, v15, v87, v86
.LBB6_2645:                             ;   in Loop: Header=BB6_356 Depth=4
	s_or_b32 exec_lo, exec_lo, s72
	v_cmp_gt_i16_sdwa s72, v11, v61 src0_sel:BYTE_3 src1_sel:DWORD
	s_mov_b32 s16, 0
	s_and_saveexec_b32 s73, s72
	s_xor_b32 s72, exec_lo, s73
	s_cbranch_execz .LBB6_3168
; %bb.2646:                             ;   in Loop: Header=BB6_356 Depth=4
	v_cmp_eq_u16_sdwa s74, v11, v62 src0_sel:BYTE_3 src1_sel:DWORD
	s_mov_b32 s16, -1
	s_and_saveexec_b32 s73, s74
; %bb.2647:                             ;   in Loop: Header=BB6_356 Depth=4
	s_xor_b32 s16, exec_lo, -1
; %bb.2648:                             ;   in Loop: Header=BB6_356 Depth=4
	s_or_b32 exec_lo, exec_lo, s73
	s_and_b32 s16, s16, exec_lo
	s_or_saveexec_b32 s72, s72
	v_mov_b32_e32 v15, 0x7f800001
	s_xor_b32 exec_lo, exec_lo, s72
	s_cbranch_execnz .LBB6_3169
.LBB6_2649:                             ;   in Loop: Header=BB6_356 Depth=4
	s_or_b32 exec_lo, exec_lo, s72
	s_and_saveexec_b32 s72, s16
	s_cbranch_execz .LBB6_2651
.LBB6_2650:                             ;   in Loop: Header=BB6_356 Depth=4
	v_bfe_u32 v15, v11, 24, 3
	v_bfe_u32 v105, v11, 27, 4
	v_ffbh_u32_e32 v86, v15
	v_cmp_eq_u32_e32 vcc_lo, 0, v105
	v_min_u32_e32 v86, 32, v86
	v_subrev_nc_u32_e32 v87, 28, v86
	v_sub_nc_u32_e32 v86, 29, v86
	v_lshlrev_b32_sdwa v87, v87, v11 dst_sel:DWORD dst_unused:UNUSED_PAD src0_sel:DWORD src1_sel:BYTE_3
	v_cndmask_b32_e32 v86, v105, v86, vcc_lo
	v_and_b32_e32 v11, 0x80000000, v11
	v_and_b32_e32 v87, 7, v87
	v_lshl_add_u32 v86, v86, 23, 0x3b800000
	v_cndmask_b32_e32 v15, v15, v87, vcc_lo
	v_lshlrev_b32_e32 v15, 20, v15
	v_or3_b32 v15, v11, v86, v15
.LBB6_2651:                             ;   in Loop: Header=BB6_356 Depth=4
	s_or_b32 exec_lo, exec_lo, s72
	v_max_f32_e32 v11, v15, v15
	v_max_f32_e32 v15, v60, v60
	v_min_f32_e32 v60, v15, v11
.LBB6_2652:                             ;   in Loop: Header=BB6_356 Depth=4
	v_and_b32_e32 v11, 0x7f800000, v60
	v_cmp_ne_u32_e32 vcc_lo, 0x7f800000, v11
	v_mov_b32_e32 v11, 0x8000
	s_and_saveexec_b32 s72, vcc_lo
	s_cbranch_execz .LBB6_355
; %bb.2653:                             ;   in Loop: Header=BB6_356 Depth=4
	v_mov_b32_e32 v11, 0
	s_mov_b32 s73, exec_lo
	v_cmpx_ne_u32_e32 0, v60
	s_cbranch_execz .LBB6_354
; %bb.2654:                             ;   in Loop: Header=BB6_356 Depth=4
	v_bfe_u32 v15, v60, 23, 8
	v_and_b32_e32 v11, 0x7fffff, v60
	v_cmp_gt_u32_e64 s16, 0x79, v15
	v_sub_nc_u32_e32 v86, 0x78, v15
	v_cmp_eq_u32_e32 vcc_lo, 0, v15
	v_or_b32_e32 v87, 0x800000, v11
	v_cndmask_b32_e64 v86, 0, v86, s16
	v_cndmask_b32_e32 v11, v87, v11, vcc_lo
	v_cndmask_b32_e64 v86, v86, 0x77, vcc_lo
	v_lshl_add_u32 v87, 0x100000, v86, -1
	v_lshlrev_b32_e64 v105, v86, 0x80000
	v_and_b32_e32 v87, v87, v11
	v_cmp_eq_u32_e64 s16, v87, v105
	v_lshrrev_b32_e32 v87, v86, v11
	v_add_nc_u32_e32 v11, 0xffffff89, v15
	v_lshrrev_b32_e32 v15, 23, v87
	v_cndmask_b32_e64 v11, v11, 0xffffff8a, vcc_lo
	v_xor_b32_e32 v15, 1, v15
	v_add_nc_u32_e32 v11, v86, v11
	v_bfe_u32 v86, v87, 20, 1
	v_add_nc_u32_e32 v86, -1, v86
	v_cndmask_b32_e64 v86, 0, v86, s16
	s_mov_b32 s16, exec_lo
	v_add_nc_u32_e32 v86, v86, v87
	v_and_b32_e32 v86, 0xfffff, v86
	v_add_nc_u32_e32 v105, v86, v87
                                        ; implicit-def: $vgpr86
	v_cmpx_ne_u32_e64 v11, v15
	s_xor_b32 s16, exec_lo, s16
; %bb.2655:                             ;   in Loop: Header=BB6_356 Depth=4
	v_cmp_lt_u32_e32 vcc_lo, 0xffffff, v105
	v_sub_nc_u32_e32 v11, v11, v15
	v_cndmask_b32_e64 v15, 0, 1, vcc_lo
	v_add_co_ci_u32_e64 v86, null, 0, v11, vcc_lo
	v_lshrrev_b32_e32 v105, v15, v105
; %bb.2656:                             ;   in Loop: Header=BB6_356 Depth=4
	s_andn2_saveexec_b32 s16, s16
	s_cbranch_execz .LBB6_353
; %bb.2657:                             ;   in Loop: Header=BB6_356 Depth=4
	v_bfe_u32 v86, v105, 23, 1
	s_branch .LBB6_353
.LBB6_2658:                             ;   in Loop: Header=BB6_356 Depth=4
	s_or_saveexec_b32 s72, s72
	v_mov_b32_e32 v1, 0x7f800001
	s_xor_b32 exec_lo, exec_lo, s72
	s_cbranch_execz .LBB6_361
.LBB6_2659:                             ;   in Loop: Header=BB6_356 Depth=4
	v_cmp_ne_u16_sdwa s73, v48, v2 src0_sel:BYTE_0 src1_sel:DWORD
	v_mov_b32_e32 v1, 0
	s_andn2_b32 s16, s16, exec_lo
	s_and_b32 s73, s73, exec_lo
	s_or_b32 s16, s16, s73
	s_or_b32 exec_lo, exec_lo, s72
	s_and_saveexec_b32 s72, s16
	s_cbranch_execnz .LBB6_362
	s_branch .LBB6_363
.LBB6_2660:                             ;   in Loop: Header=BB6_356 Depth=4
	s_or_saveexec_b32 s72, s72
	v_mov_b32_e32 v4, 0x7f800001
	s_xor_b32 exec_lo, exec_lo, s72
	s_cbranch_execz .LBB6_367
.LBB6_2661:                             ;   in Loop: Header=BB6_356 Depth=4
	v_cmp_ne_u16_sdwa s73, v36, v2 src0_sel:BYTE_0 src1_sel:DWORD
	v_mov_b32_e32 v4, 0
	s_andn2_b32 s16, s16, exec_lo
	s_and_b32 s73, s73, exec_lo
	s_or_b32 s16, s16, s73
	s_or_b32 exec_lo, exec_lo, s72
	s_and_saveexec_b32 s72, s16
	s_cbranch_execnz .LBB6_368
	s_branch .LBB6_369
.LBB6_2662:                             ;   in Loop: Header=BB6_356 Depth=4
	s_or_saveexec_b32 s72, s72
	v_mov_b32_e32 v1, 0x7f800001
	s_xor_b32 exec_lo, exec_lo, s72
	s_cbranch_execz .LBB6_375
.LBB6_2663:                             ;   in Loop: Header=BB6_356 Depth=4
	v_cmp_ne_u16_sdwa s73, v48, v2 src0_sel:BYTE_0 src1_sel:DWORD
	v_mov_b32_e32 v1, 0
	s_andn2_b32 s16, s16, exec_lo
	s_and_b32 s73, s73, exec_lo
	s_or_b32 s16, s16, s73
	s_or_b32 exec_lo, exec_lo, s72
	s_and_saveexec_b32 s72, s16
	s_cbranch_execnz .LBB6_376
	s_branch .LBB6_377
.LBB6_2664:                             ;   in Loop: Header=BB6_356 Depth=4
	s_or_saveexec_b32 s72, s72
	v_mov_b32_e32 v4, 0x7f800001
	s_xor_b32 exec_lo, exec_lo, s72
	s_cbranch_execz .LBB6_381
.LBB6_2665:                             ;   in Loop: Header=BB6_356 Depth=4
	v_cmp_ne_u16_sdwa s73, v36, v2 src0_sel:BYTE_0 src1_sel:DWORD
	v_mov_b32_e32 v4, 0
	s_andn2_b32 s16, s16, exec_lo
	s_and_b32 s73, s73, exec_lo
	s_or_b32 s16, s16, s73
	s_or_b32 exec_lo, exec_lo, s72
	s_and_saveexec_b32 s72, s16
	s_cbranch_execnz .LBB6_382
	s_branch .LBB6_383
.LBB6_2666:                             ;   in Loop: Header=BB6_356 Depth=4
	s_or_saveexec_b32 s72, s72
	v_mov_b32_e32 v1, 0x7f800001
	s_xor_b32 exec_lo, exec_lo, s72
	s_cbranch_execz .LBB6_397
.LBB6_2667:                             ;   in Loop: Header=BB6_356 Depth=4
	v_cmp_ne_u16_sdwa s73, v48, v2 src0_sel:BYTE_1 src1_sel:DWORD
	v_mov_b32_e32 v1, 0
	s_andn2_b32 s16, s16, exec_lo
	s_and_b32 s73, s73, exec_lo
	s_or_b32 s16, s16, s73
	s_or_b32 exec_lo, exec_lo, s72
	s_and_saveexec_b32 s72, s16
	s_cbranch_execnz .LBB6_398
	s_branch .LBB6_399
.LBB6_2668:                             ;   in Loop: Header=BB6_356 Depth=4
	s_or_saveexec_b32 s72, s72
	v_mov_b32_e32 v4, 0x7f800001
	s_xor_b32 exec_lo, exec_lo, s72
	s_cbranch_execz .LBB6_403
.LBB6_2669:                             ;   in Loop: Header=BB6_356 Depth=4
	v_cmp_ne_u16_sdwa s73, v36, v2 src0_sel:BYTE_1 src1_sel:DWORD
	v_mov_b32_e32 v4, 0
	s_andn2_b32 s16, s16, exec_lo
	s_and_b32 s73, s73, exec_lo
	s_or_b32 s16, s16, s73
	s_or_b32 exec_lo, exec_lo, s72
	s_and_saveexec_b32 s72, s16
	s_cbranch_execnz .LBB6_404
	s_branch .LBB6_405
.LBB6_2670:                             ;   in Loop: Header=BB6_356 Depth=4
	s_or_saveexec_b32 s72, s72
	v_mov_b32_e32 v1, 0x7f800001
	s_xor_b32 exec_lo, exec_lo, s72
	s_cbranch_execz .LBB6_411
.LBB6_2671:                             ;   in Loop: Header=BB6_356 Depth=4
	v_cmp_ne_u16_sdwa s73, v48, v2 src0_sel:BYTE_1 src1_sel:DWORD
	v_mov_b32_e32 v1, 0
	s_andn2_b32 s16, s16, exec_lo
	s_and_b32 s73, s73, exec_lo
	s_or_b32 s16, s16, s73
	s_or_b32 exec_lo, exec_lo, s72
	s_and_saveexec_b32 s72, s16
	s_cbranch_execnz .LBB6_412
	s_branch .LBB6_413
.LBB6_2672:                             ;   in Loop: Header=BB6_356 Depth=4
	s_or_saveexec_b32 s72, s72
	v_mov_b32_e32 v4, 0x7f800001
	s_xor_b32 exec_lo, exec_lo, s72
	s_cbranch_execz .LBB6_417
.LBB6_2673:                             ;   in Loop: Header=BB6_356 Depth=4
	v_cmp_ne_u16_sdwa s73, v36, v2 src0_sel:BYTE_1 src1_sel:DWORD
	v_mov_b32_e32 v4, 0
	s_andn2_b32 s16, s16, exec_lo
	s_and_b32 s73, s73, exec_lo
	s_or_b32 s16, s16, s73
	s_or_b32 exec_lo, exec_lo, s72
	s_and_saveexec_b32 s72, s16
	s_cbranch_execnz .LBB6_418
	s_branch .LBB6_419
.LBB6_2674:                             ;   in Loop: Header=BB6_356 Depth=4
	s_or_saveexec_b32 s16, s16
	v_mov_b32_e32 v4, 0x7f800001
	s_xor_b32 exec_lo, exec_lo, s16
	s_cbranch_execz .LBB6_433
.LBB6_2675:                             ;   in Loop: Header=BB6_356 Depth=4
	v_cmp_ne_u16_e32 vcc_lo, 0, v1
	v_mov_b32_e32 v4, 0
	s_andn2_b32 s72, s72, exec_lo
	s_and_b32 s73, vcc_lo, exec_lo
	s_or_b32 s72, s72, s73
	s_or_b32 exec_lo, exec_lo, s16
	s_and_saveexec_b32 s16, s72
	s_cbranch_execnz .LBB6_434
	s_branch .LBB6_435
.LBB6_2676:                             ;   in Loop: Header=BB6_356 Depth=4
	s_or_saveexec_b32 s72, s72
	v_mov_b32_e32 v5, 0x7f800001
	s_xor_b32 exec_lo, exec_lo, s72
	s_cbranch_execz .LBB6_439
.LBB6_2677:                             ;   in Loop: Header=BB6_356 Depth=4
	v_cmp_ne_u16_e32 vcc_lo, 0, v28
	v_mov_b32_e32 v5, 0
	s_andn2_b32 s16, s16, exec_lo
	s_and_b32 s73, vcc_lo, exec_lo
	s_or_b32 s16, s16, s73
	s_or_b32 exec_lo, exec_lo, s72
	s_and_saveexec_b32 s72, s16
	s_cbranch_execnz .LBB6_440
	s_branch .LBB6_441
.LBB6_2678:                             ;   in Loop: Header=BB6_356 Depth=4
	s_or_saveexec_b32 s72, s72
	v_mov_b32_e32 v4, 0x7f800001
	s_xor_b32 exec_lo, exec_lo, s72
	s_cbranch_execz .LBB6_447
.LBB6_2679:                             ;   in Loop: Header=BB6_356 Depth=4
	v_cmp_ne_u16_e32 vcc_lo, 0, v1
	v_mov_b32_e32 v4, 0
	s_andn2_b32 s16, s16, exec_lo
	s_and_b32 s73, vcc_lo, exec_lo
	s_or_b32 s16, s16, s73
	s_or_b32 exec_lo, exec_lo, s72
	s_and_saveexec_b32 s72, s16
	s_cbranch_execnz .LBB6_448
	s_branch .LBB6_449
.LBB6_2680:                             ;   in Loop: Header=BB6_356 Depth=4
	s_or_saveexec_b32 s72, s72
	v_mov_b32_e32 v1, 0x7f800001
	s_xor_b32 exec_lo, exec_lo, s72
	s_cbranch_execz .LBB6_453
.LBB6_2681:                             ;   in Loop: Header=BB6_356 Depth=4
	v_cmp_ne_u16_e32 vcc_lo, 0, v5
	v_mov_b32_e32 v1, 0
	s_andn2_b32 s16, s16, exec_lo
	s_and_b32 s73, vcc_lo, exec_lo
	s_or_b32 s16, s16, s73
	s_or_b32 exec_lo, exec_lo, s72
	s_and_saveexec_b32 s72, s16
	s_cbranch_execnz .LBB6_454
	s_branch .LBB6_455
.LBB6_2682:                             ;   in Loop: Header=BB6_356 Depth=4
	s_or_saveexec_b32 s72, s72
	v_mov_b32_e32 v1, 0x7f800001
	s_xor_b32 exec_lo, exec_lo, s72
	s_cbranch_execz .LBB6_469
.LBB6_2683:                             ;   in Loop: Header=BB6_356 Depth=4
	v_cmp_ne_u16_sdwa s73, v48, v2 src0_sel:BYTE_3 src1_sel:DWORD
	v_mov_b32_e32 v1, 0
	s_andn2_b32 s16, s16, exec_lo
	s_and_b32 s73, s73, exec_lo
	s_or_b32 s16, s16, s73
	s_or_b32 exec_lo, exec_lo, s72
	s_and_saveexec_b32 s72, s16
	s_cbranch_execnz .LBB6_470
	s_branch .LBB6_471
.LBB6_2684:                             ;   in Loop: Header=BB6_356 Depth=4
	s_or_saveexec_b32 s72, s72
	v_mov_b32_e32 v4, 0x7f800001
	s_xor_b32 exec_lo, exec_lo, s72
	s_cbranch_execz .LBB6_475
.LBB6_2685:                             ;   in Loop: Header=BB6_356 Depth=4
	v_cmp_ne_u16_sdwa s73, v36, v2 src0_sel:BYTE_3 src1_sel:DWORD
	v_mov_b32_e32 v4, 0
	s_andn2_b32 s16, s16, exec_lo
	s_and_b32 s73, s73, exec_lo
	s_or_b32 s16, s16, s73
	s_or_b32 exec_lo, exec_lo, s72
	s_and_saveexec_b32 s72, s16
	s_cbranch_execnz .LBB6_476
	s_branch .LBB6_477
.LBB6_2686:                             ;   in Loop: Header=BB6_356 Depth=4
	s_or_saveexec_b32 s72, s72
	v_mov_b32_e32 v1, 0x7f800001
	s_xor_b32 exec_lo, exec_lo, s72
	s_cbranch_execz .LBB6_483
.LBB6_2687:                             ;   in Loop: Header=BB6_356 Depth=4
	v_cmp_ne_u16_sdwa s73, v48, v2 src0_sel:BYTE_3 src1_sel:DWORD
	v_mov_b32_e32 v1, 0
	s_andn2_b32 s16, s16, exec_lo
	s_and_b32 s73, s73, exec_lo
	s_or_b32 s16, s16, s73
	s_or_b32 exec_lo, exec_lo, s72
	s_and_saveexec_b32 s72, s16
	s_cbranch_execnz .LBB6_484
	s_branch .LBB6_485
.LBB6_2688:                             ;   in Loop: Header=BB6_356 Depth=4
	s_or_saveexec_b32 s72, s72
	v_mov_b32_e32 v4, 0x7f800001
	s_xor_b32 exec_lo, exec_lo, s72
	s_cbranch_execz .LBB6_489
.LBB6_2689:                             ;   in Loop: Header=BB6_356 Depth=4
	v_cmp_ne_u16_sdwa s73, v36, v2 src0_sel:BYTE_3 src1_sel:DWORD
	v_mov_b32_e32 v4, 0
	s_andn2_b32 s16, s16, exec_lo
	s_and_b32 s73, s73, exec_lo
	s_or_b32 s16, s16, s73
	s_or_b32 exec_lo, exec_lo, s72
	s_and_saveexec_b32 s72, s16
	s_cbranch_execnz .LBB6_490
	s_branch .LBB6_491
.LBB6_2690:                             ;   in Loop: Header=BB6_356 Depth=4
	s_or_saveexec_b32 s72, s72
	v_mov_b32_e32 v1, 0x7f800001
	s_xor_b32 exec_lo, exec_lo, s72
	s_cbranch_execz .LBB6_505
.LBB6_2691:                             ;   in Loop: Header=BB6_356 Depth=4
	v_cmp_ne_u16_sdwa s73, v49, v2 src0_sel:BYTE_0 src1_sel:DWORD
	v_mov_b32_e32 v1, 0
	s_andn2_b32 s16, s16, exec_lo
	s_and_b32 s73, s73, exec_lo
	s_or_b32 s16, s16, s73
	s_or_b32 exec_lo, exec_lo, s72
	s_and_saveexec_b32 s72, s16
	s_cbranch_execnz .LBB6_506
	s_branch .LBB6_507
.LBB6_2692:                             ;   in Loop: Header=BB6_356 Depth=4
	s_or_saveexec_b32 s72, s72
	v_mov_b32_e32 v4, 0x7f800001
	s_xor_b32 exec_lo, exec_lo, s72
	s_cbranch_execz .LBB6_511
.LBB6_2693:                             ;   in Loop: Header=BB6_356 Depth=4
	v_cmp_ne_u16_sdwa s73, v37, v2 src0_sel:BYTE_0 src1_sel:DWORD
	v_mov_b32_e32 v4, 0
	s_andn2_b32 s16, s16, exec_lo
	s_and_b32 s73, s73, exec_lo
	s_or_b32 s16, s16, s73
	s_or_b32 exec_lo, exec_lo, s72
	s_and_saveexec_b32 s72, s16
	s_cbranch_execnz .LBB6_512
	s_branch .LBB6_513
.LBB6_2694:                             ;   in Loop: Header=BB6_356 Depth=4
	s_or_saveexec_b32 s72, s72
	v_mov_b32_e32 v1, 0x7f800001
	s_xor_b32 exec_lo, exec_lo, s72
	s_cbranch_execz .LBB6_519
.LBB6_2695:                             ;   in Loop: Header=BB6_356 Depth=4
	v_cmp_ne_u16_sdwa s73, v49, v2 src0_sel:BYTE_0 src1_sel:DWORD
	v_mov_b32_e32 v1, 0
	s_andn2_b32 s16, s16, exec_lo
	s_and_b32 s73, s73, exec_lo
	s_or_b32 s16, s16, s73
	s_or_b32 exec_lo, exec_lo, s72
	s_and_saveexec_b32 s72, s16
	s_cbranch_execnz .LBB6_520
	s_branch .LBB6_521
.LBB6_2696:                             ;   in Loop: Header=BB6_356 Depth=4
	s_or_saveexec_b32 s72, s72
	v_mov_b32_e32 v4, 0x7f800001
	s_xor_b32 exec_lo, exec_lo, s72
	s_cbranch_execz .LBB6_525
.LBB6_2697:                             ;   in Loop: Header=BB6_356 Depth=4
	v_cmp_ne_u16_sdwa s73, v37, v2 src0_sel:BYTE_0 src1_sel:DWORD
	v_mov_b32_e32 v4, 0
	s_andn2_b32 s16, s16, exec_lo
	s_and_b32 s73, s73, exec_lo
	s_or_b32 s16, s16, s73
	s_or_b32 exec_lo, exec_lo, s72
	s_and_saveexec_b32 s72, s16
	s_cbranch_execnz .LBB6_526
	s_branch .LBB6_527
.LBB6_2698:                             ;   in Loop: Header=BB6_356 Depth=4
	s_or_saveexec_b32 s72, s72
	v_mov_b32_e32 v1, 0x7f800001
	s_xor_b32 exec_lo, exec_lo, s72
	s_cbranch_execz .LBB6_541
.LBB6_2699:                             ;   in Loop: Header=BB6_356 Depth=4
	v_cmp_ne_u16_sdwa s73, v49, v2 src0_sel:BYTE_1 src1_sel:DWORD
	v_mov_b32_e32 v1, 0
	s_andn2_b32 s16, s16, exec_lo
	s_and_b32 s73, s73, exec_lo
	s_or_b32 s16, s16, s73
	s_or_b32 exec_lo, exec_lo, s72
	s_and_saveexec_b32 s72, s16
	s_cbranch_execnz .LBB6_542
	s_branch .LBB6_543
.LBB6_2700:                             ;   in Loop: Header=BB6_356 Depth=4
	s_or_saveexec_b32 s72, s72
	v_mov_b32_e32 v4, 0x7f800001
	s_xor_b32 exec_lo, exec_lo, s72
	s_cbranch_execz .LBB6_547
.LBB6_2701:                             ;   in Loop: Header=BB6_356 Depth=4
	v_cmp_ne_u16_sdwa s73, v37, v2 src0_sel:BYTE_1 src1_sel:DWORD
	v_mov_b32_e32 v4, 0
	s_andn2_b32 s16, s16, exec_lo
	s_and_b32 s73, s73, exec_lo
	s_or_b32 s16, s16, s73
	s_or_b32 exec_lo, exec_lo, s72
	s_and_saveexec_b32 s72, s16
	s_cbranch_execnz .LBB6_548
	s_branch .LBB6_549
.LBB6_2702:                             ;   in Loop: Header=BB6_356 Depth=4
	s_or_saveexec_b32 s72, s72
	v_mov_b32_e32 v1, 0x7f800001
	s_xor_b32 exec_lo, exec_lo, s72
	s_cbranch_execz .LBB6_555
.LBB6_2703:                             ;   in Loop: Header=BB6_356 Depth=4
	v_cmp_ne_u16_sdwa s73, v49, v2 src0_sel:BYTE_1 src1_sel:DWORD
	v_mov_b32_e32 v1, 0
	s_andn2_b32 s16, s16, exec_lo
	s_and_b32 s73, s73, exec_lo
	s_or_b32 s16, s16, s73
	s_or_b32 exec_lo, exec_lo, s72
	s_and_saveexec_b32 s72, s16
	s_cbranch_execnz .LBB6_556
	s_branch .LBB6_557
.LBB6_2704:                             ;   in Loop: Header=BB6_356 Depth=4
	s_or_saveexec_b32 s72, s72
	v_mov_b32_e32 v4, 0x7f800001
	s_xor_b32 exec_lo, exec_lo, s72
	s_cbranch_execz .LBB6_561
.LBB6_2705:                             ;   in Loop: Header=BB6_356 Depth=4
	v_cmp_ne_u16_sdwa s73, v37, v2 src0_sel:BYTE_1 src1_sel:DWORD
	v_mov_b32_e32 v4, 0
	s_andn2_b32 s16, s16, exec_lo
	s_and_b32 s73, s73, exec_lo
	s_or_b32 s16, s16, s73
	s_or_b32 exec_lo, exec_lo, s72
	s_and_saveexec_b32 s72, s16
	s_cbranch_execnz .LBB6_562
	s_branch .LBB6_563
.LBB6_2706:                             ;   in Loop: Header=BB6_356 Depth=4
	s_or_saveexec_b32 s16, s16
	v_mov_b32_e32 v4, 0x7f800001
	s_xor_b32 exec_lo, exec_lo, s16
	s_cbranch_execz .LBB6_577
.LBB6_2707:                             ;   in Loop: Header=BB6_356 Depth=4
	v_cmp_ne_u16_e32 vcc_lo, 0, v1
	v_mov_b32_e32 v4, 0
	s_andn2_b32 s72, s72, exec_lo
	s_and_b32 s73, vcc_lo, exec_lo
	s_or_b32 s72, s72, s73
	s_or_b32 exec_lo, exec_lo, s16
	s_and_saveexec_b32 s16, s72
	s_cbranch_execnz .LBB6_578
	s_branch .LBB6_579
.LBB6_2708:                             ;   in Loop: Header=BB6_356 Depth=4
	s_or_saveexec_b32 s16, s16
	v_mov_b32_e32 v5, 0x7f800001
	s_xor_b32 exec_lo, exec_lo, s16
	s_cbranch_execz .LBB6_583
.LBB6_2709:                             ;   in Loop: Header=BB6_356 Depth=4
	v_cmp_ne_u16_e32 vcc_lo, 0, v28
	v_mov_b32_e32 v5, 0
	s_andn2_b32 s72, s72, exec_lo
	s_and_b32 s73, vcc_lo, exec_lo
	s_or_b32 s72, s72, s73
	s_or_b32 exec_lo, exec_lo, s16
	s_and_saveexec_b32 s16, s72
	s_cbranch_execnz .LBB6_584
	s_branch .LBB6_585
.LBB6_2710:                             ;   in Loop: Header=BB6_356 Depth=4
	s_or_saveexec_b32 s72, s72
	v_mov_b32_e32 v4, 0x7f800001
	s_xor_b32 exec_lo, exec_lo, s72
	s_cbranch_execz .LBB6_591
.LBB6_2711:                             ;   in Loop: Header=BB6_356 Depth=4
	v_cmp_ne_u16_e32 vcc_lo, 0, v1
	v_mov_b32_e32 v4, 0
	s_andn2_b32 s16, s16, exec_lo
	s_and_b32 s73, vcc_lo, exec_lo
	s_or_b32 s16, s16, s73
	s_or_b32 exec_lo, exec_lo, s72
	s_and_saveexec_b32 s72, s16
	s_cbranch_execnz .LBB6_592
	s_branch .LBB6_593
.LBB6_2712:                             ;   in Loop: Header=BB6_356 Depth=4
	s_or_saveexec_b32 s72, s72
	v_mov_b32_e32 v1, 0x7f800001
	s_xor_b32 exec_lo, exec_lo, s72
	s_cbranch_execz .LBB6_597
.LBB6_2713:                             ;   in Loop: Header=BB6_356 Depth=4
	v_cmp_ne_u16_e32 vcc_lo, 0, v5
	v_mov_b32_e32 v1, 0
	s_andn2_b32 s16, s16, exec_lo
	s_and_b32 s73, vcc_lo, exec_lo
	s_or_b32 s16, s16, s73
	s_or_b32 exec_lo, exec_lo, s72
	s_and_saveexec_b32 s72, s16
	s_cbranch_execnz .LBB6_598
	s_branch .LBB6_599
.LBB6_2714:                             ;   in Loop: Header=BB6_356 Depth=4
	s_or_saveexec_b32 s72, s72
	v_mov_b32_e32 v1, 0x7f800001
	s_xor_b32 exec_lo, exec_lo, s72
	s_cbranch_execz .LBB6_613
.LBB6_2715:                             ;   in Loop: Header=BB6_356 Depth=4
	v_cmp_ne_u16_sdwa s73, v49, v2 src0_sel:BYTE_3 src1_sel:DWORD
	v_mov_b32_e32 v1, 0
	s_andn2_b32 s16, s16, exec_lo
	s_and_b32 s73, s73, exec_lo
	s_or_b32 s16, s16, s73
	s_or_b32 exec_lo, exec_lo, s72
	s_and_saveexec_b32 s72, s16
	s_cbranch_execnz .LBB6_614
	s_branch .LBB6_615
.LBB6_2716:                             ;   in Loop: Header=BB6_356 Depth=4
	s_or_saveexec_b32 s72, s72
	v_mov_b32_e32 v4, 0x7f800001
	s_xor_b32 exec_lo, exec_lo, s72
	s_cbranch_execz .LBB6_619
.LBB6_2717:                             ;   in Loop: Header=BB6_356 Depth=4
	v_cmp_ne_u16_sdwa s73, v37, v2 src0_sel:BYTE_3 src1_sel:DWORD
	v_mov_b32_e32 v4, 0
	s_andn2_b32 s16, s16, exec_lo
	s_and_b32 s73, s73, exec_lo
	s_or_b32 s16, s16, s73
	s_or_b32 exec_lo, exec_lo, s72
	s_and_saveexec_b32 s72, s16
	s_cbranch_execnz .LBB6_620
	s_branch .LBB6_621
.LBB6_2718:                             ;   in Loop: Header=BB6_356 Depth=4
	s_or_saveexec_b32 s72, s72
	v_mov_b32_e32 v1, 0x7f800001
	s_xor_b32 exec_lo, exec_lo, s72
	s_cbranch_execz .LBB6_627
.LBB6_2719:                             ;   in Loop: Header=BB6_356 Depth=4
	v_cmp_ne_u16_sdwa s73, v49, v2 src0_sel:BYTE_3 src1_sel:DWORD
	v_mov_b32_e32 v1, 0
	s_andn2_b32 s16, s16, exec_lo
	s_and_b32 s73, s73, exec_lo
	s_or_b32 s16, s16, s73
	s_or_b32 exec_lo, exec_lo, s72
	s_and_saveexec_b32 s72, s16
	s_cbranch_execnz .LBB6_628
	s_branch .LBB6_629
.LBB6_2720:                             ;   in Loop: Header=BB6_356 Depth=4
	s_or_saveexec_b32 s72, s72
	v_mov_b32_e32 v4, 0x7f800001
	s_xor_b32 exec_lo, exec_lo, s72
	s_cbranch_execz .LBB6_633
.LBB6_2721:                             ;   in Loop: Header=BB6_356 Depth=4
	v_cmp_ne_u16_sdwa s73, v37, v2 src0_sel:BYTE_3 src1_sel:DWORD
	v_mov_b32_e32 v4, 0
	s_andn2_b32 s16, s16, exec_lo
	s_and_b32 s73, s73, exec_lo
	s_or_b32 s16, s16, s73
	s_or_b32 exec_lo, exec_lo, s72
	s_and_saveexec_b32 s72, s16
	s_cbranch_execnz .LBB6_634
	s_branch .LBB6_635
.LBB6_2722:                             ;   in Loop: Header=BB6_356 Depth=4
	s_or_saveexec_b32 s72, s72
	v_mov_b32_e32 v1, 0x7f800001
	s_xor_b32 exec_lo, exec_lo, s72
	s_cbranch_execz .LBB6_649
.LBB6_2723:                             ;   in Loop: Header=BB6_356 Depth=4
	v_cmp_ne_u16_sdwa s73, v50, v2 src0_sel:BYTE_0 src1_sel:DWORD
	v_mov_b32_e32 v1, 0
	s_andn2_b32 s16, s16, exec_lo
	s_and_b32 s73, s73, exec_lo
	s_or_b32 s16, s16, s73
	s_or_b32 exec_lo, exec_lo, s72
	s_and_saveexec_b32 s72, s16
	s_cbranch_execnz .LBB6_650
	s_branch .LBB6_651
.LBB6_2724:                             ;   in Loop: Header=BB6_356 Depth=4
	s_or_saveexec_b32 s72, s72
	v_mov_b32_e32 v4, 0x7f800001
	s_xor_b32 exec_lo, exec_lo, s72
	s_cbranch_execz .LBB6_655
.LBB6_2725:                             ;   in Loop: Header=BB6_356 Depth=4
	v_cmp_ne_u16_sdwa s73, v38, v2 src0_sel:BYTE_0 src1_sel:DWORD
	v_mov_b32_e32 v4, 0
	s_andn2_b32 s16, s16, exec_lo
	s_and_b32 s73, s73, exec_lo
	s_or_b32 s16, s16, s73
	s_or_b32 exec_lo, exec_lo, s72
	s_and_saveexec_b32 s72, s16
	s_cbranch_execnz .LBB6_656
	s_branch .LBB6_657
.LBB6_2726:                             ;   in Loop: Header=BB6_356 Depth=4
	s_or_saveexec_b32 s72, s72
	v_mov_b32_e32 v1, 0x7f800001
	s_xor_b32 exec_lo, exec_lo, s72
	s_cbranch_execz .LBB6_663
.LBB6_2727:                             ;   in Loop: Header=BB6_356 Depth=4
	v_cmp_ne_u16_sdwa s73, v50, v2 src0_sel:BYTE_0 src1_sel:DWORD
	v_mov_b32_e32 v1, 0
	s_andn2_b32 s16, s16, exec_lo
	s_and_b32 s73, s73, exec_lo
	s_or_b32 s16, s16, s73
	s_or_b32 exec_lo, exec_lo, s72
	s_and_saveexec_b32 s72, s16
	s_cbranch_execnz .LBB6_664
	s_branch .LBB6_665
.LBB6_2728:                             ;   in Loop: Header=BB6_356 Depth=4
	s_or_saveexec_b32 s72, s72
	v_mov_b32_e32 v4, 0x7f800001
	s_xor_b32 exec_lo, exec_lo, s72
	s_cbranch_execz .LBB6_669
.LBB6_2729:                             ;   in Loop: Header=BB6_356 Depth=4
	v_cmp_ne_u16_sdwa s73, v38, v2 src0_sel:BYTE_0 src1_sel:DWORD
	v_mov_b32_e32 v4, 0
	s_andn2_b32 s16, s16, exec_lo
	s_and_b32 s73, s73, exec_lo
	s_or_b32 s16, s16, s73
	s_or_b32 exec_lo, exec_lo, s72
	s_and_saveexec_b32 s72, s16
	s_cbranch_execnz .LBB6_670
	s_branch .LBB6_671
.LBB6_2730:                             ;   in Loop: Header=BB6_356 Depth=4
	s_or_saveexec_b32 s72, s72
	v_mov_b32_e32 v1, 0x7f800001
	s_xor_b32 exec_lo, exec_lo, s72
	s_cbranch_execz .LBB6_685
.LBB6_2731:                             ;   in Loop: Header=BB6_356 Depth=4
	v_cmp_ne_u16_sdwa s73, v50, v2 src0_sel:BYTE_1 src1_sel:DWORD
	v_mov_b32_e32 v1, 0
	s_andn2_b32 s16, s16, exec_lo
	s_and_b32 s73, s73, exec_lo
	s_or_b32 s16, s16, s73
	s_or_b32 exec_lo, exec_lo, s72
	s_and_saveexec_b32 s72, s16
	s_cbranch_execnz .LBB6_686
	s_branch .LBB6_687
.LBB6_2732:                             ;   in Loop: Header=BB6_356 Depth=4
	s_or_saveexec_b32 s16, s16
	v_mov_b32_e32 v4, 0x7f800001
	s_xor_b32 exec_lo, exec_lo, s16
	s_cbranch_execz .LBB6_691
.LBB6_2733:                             ;   in Loop: Header=BB6_356 Depth=4
	v_cmp_ne_u16_sdwa s73, v38, v2 src0_sel:BYTE_1 src1_sel:DWORD
	v_mov_b32_e32 v4, 0
	s_andn2_b32 s72, s72, exec_lo
	s_and_b32 s73, s73, exec_lo
	s_or_b32 s72, s72, s73
	s_or_b32 exec_lo, exec_lo, s16
	s_and_saveexec_b32 s16, s72
	s_cbranch_execnz .LBB6_692
	s_branch .LBB6_693
.LBB6_2734:                             ;   in Loop: Header=BB6_356 Depth=4
	s_or_saveexec_b32 s72, s72
	v_mov_b32_e32 v1, 0x7f800001
	s_xor_b32 exec_lo, exec_lo, s72
	s_cbranch_execz .LBB6_699
.LBB6_2735:                             ;   in Loop: Header=BB6_356 Depth=4
	v_cmp_ne_u16_sdwa s73, v50, v2 src0_sel:BYTE_1 src1_sel:DWORD
	v_mov_b32_e32 v1, 0
	s_andn2_b32 s16, s16, exec_lo
	s_and_b32 s73, s73, exec_lo
	s_or_b32 s16, s16, s73
	s_or_b32 exec_lo, exec_lo, s72
	s_and_saveexec_b32 s72, s16
	s_cbranch_execnz .LBB6_700
	s_branch .LBB6_701
.LBB6_2736:                             ;   in Loop: Header=BB6_356 Depth=4
	s_or_saveexec_b32 s16, s16
	v_mov_b32_e32 v4, 0x7f800001
	s_xor_b32 exec_lo, exec_lo, s16
	s_cbranch_execz .LBB6_705
.LBB6_2737:                             ;   in Loop: Header=BB6_356 Depth=4
	v_cmp_ne_u16_sdwa s73, v38, v2 src0_sel:BYTE_1 src1_sel:DWORD
	v_mov_b32_e32 v4, 0
	s_andn2_b32 s72, s72, exec_lo
	s_and_b32 s73, s73, exec_lo
	s_or_b32 s72, s72, s73
	s_or_b32 exec_lo, exec_lo, s16
	s_and_saveexec_b32 s16, s72
	s_cbranch_execnz .LBB6_706
	s_branch .LBB6_707
.LBB6_2738:                             ;   in Loop: Header=BB6_356 Depth=4
	s_or_saveexec_b32 s16, s16
	v_mov_b32_e32 v4, 0x7f800001
	s_xor_b32 exec_lo, exec_lo, s16
	s_cbranch_execz .LBB6_721
.LBB6_2739:                             ;   in Loop: Header=BB6_356 Depth=4
	v_cmp_ne_u16_e32 vcc_lo, 0, v1
	v_mov_b32_e32 v4, 0
	s_andn2_b32 s72, s72, exec_lo
	s_and_b32 s73, vcc_lo, exec_lo
	s_or_b32 s72, s72, s73
	s_or_b32 exec_lo, exec_lo, s16
	s_and_saveexec_b32 s16, s72
	s_cbranch_execnz .LBB6_722
	s_branch .LBB6_723
.LBB6_2740:                             ;   in Loop: Header=BB6_356 Depth=4
	s_or_saveexec_b32 s16, s16
	v_mov_b32_e32 v5, 0x7f800001
	s_xor_b32 exec_lo, exec_lo, s16
	s_cbranch_execz .LBB6_727
.LBB6_2741:                             ;   in Loop: Header=BB6_356 Depth=4
	v_cmp_ne_u16_e32 vcc_lo, 0, v28
	v_mov_b32_e32 v5, 0
	s_andn2_b32 s72, s72, exec_lo
	s_and_b32 s73, vcc_lo, exec_lo
	s_or_b32 s72, s72, s73
	s_or_b32 exec_lo, exec_lo, s16
	s_and_saveexec_b32 s16, s72
	s_cbranch_execnz .LBB6_728
	s_branch .LBB6_729
.LBB6_2742:                             ;   in Loop: Header=BB6_356 Depth=4
	s_or_saveexec_b32 s16, s16
	v_mov_b32_e32 v4, 0x7f800001
	s_xor_b32 exec_lo, exec_lo, s16
	s_cbranch_execz .LBB6_735
.LBB6_2743:                             ;   in Loop: Header=BB6_356 Depth=4
	v_cmp_ne_u16_e32 vcc_lo, 0, v1
	v_mov_b32_e32 v4, 0
	s_andn2_b32 s72, s72, exec_lo
	s_and_b32 s73, vcc_lo, exec_lo
	s_or_b32 s72, s72, s73
	s_or_b32 exec_lo, exec_lo, s16
	s_and_saveexec_b32 s16, s72
	s_cbranch_execnz .LBB6_736
	s_branch .LBB6_737
.LBB6_2744:                             ;   in Loop: Header=BB6_356 Depth=4
	s_or_saveexec_b32 s16, s16
	v_mov_b32_e32 v1, 0x7f800001
	s_xor_b32 exec_lo, exec_lo, s16
	s_cbranch_execz .LBB6_741
.LBB6_2745:                             ;   in Loop: Header=BB6_356 Depth=4
	v_cmp_ne_u16_e32 vcc_lo, 0, v5
	v_mov_b32_e32 v1, 0
	s_andn2_b32 s72, s72, exec_lo
	s_and_b32 s73, vcc_lo, exec_lo
	s_or_b32 s72, s72, s73
	s_or_b32 exec_lo, exec_lo, s16
	s_and_saveexec_b32 s16, s72
	s_cbranch_execnz .LBB6_742
	s_branch .LBB6_743
.LBB6_2746:                             ;   in Loop: Header=BB6_356 Depth=4
	s_or_saveexec_b32 s16, s16
	v_mov_b32_e32 v1, 0x7f800001
	s_xor_b32 exec_lo, exec_lo, s16
	s_cbranch_execz .LBB6_757
.LBB6_2747:                             ;   in Loop: Header=BB6_356 Depth=4
	v_cmp_ne_u16_sdwa s73, v50, v2 src0_sel:BYTE_3 src1_sel:DWORD
	v_mov_b32_e32 v1, 0
	s_andn2_b32 s72, s72, exec_lo
	s_and_b32 s73, s73, exec_lo
	s_or_b32 s72, s72, s73
	s_or_b32 exec_lo, exec_lo, s16
	s_and_saveexec_b32 s16, s72
	s_cbranch_execnz .LBB6_758
	s_branch .LBB6_759
.LBB6_2748:                             ;   in Loop: Header=BB6_356 Depth=4
	s_or_saveexec_b32 s16, s16
	v_mov_b32_e32 v4, 0x7f800001
	s_xor_b32 exec_lo, exec_lo, s16
	s_cbranch_execz .LBB6_763
.LBB6_2749:                             ;   in Loop: Header=BB6_356 Depth=4
	v_cmp_ne_u16_sdwa s73, v38, v2 src0_sel:BYTE_3 src1_sel:DWORD
	v_mov_b32_e32 v4, 0
	s_andn2_b32 s72, s72, exec_lo
	s_and_b32 s73, s73, exec_lo
	s_or_b32 s72, s72, s73
	s_or_b32 exec_lo, exec_lo, s16
	s_and_saveexec_b32 s16, s72
	s_cbranch_execnz .LBB6_764
	s_branch .LBB6_765
.LBB6_2750:                             ;   in Loop: Header=BB6_356 Depth=4
	s_or_saveexec_b32 s16, s16
	v_mov_b32_e32 v1, 0x7f800001
	s_xor_b32 exec_lo, exec_lo, s16
	s_cbranch_execz .LBB6_771
.LBB6_2751:                             ;   in Loop: Header=BB6_356 Depth=4
	v_cmp_ne_u16_sdwa s73, v50, v2 src0_sel:BYTE_3 src1_sel:DWORD
	v_mov_b32_e32 v1, 0
	s_andn2_b32 s72, s72, exec_lo
	s_and_b32 s73, s73, exec_lo
	s_or_b32 s72, s72, s73
	s_or_b32 exec_lo, exec_lo, s16
	s_and_saveexec_b32 s16, s72
	s_cbranch_execnz .LBB6_772
	s_branch .LBB6_773
.LBB6_2752:                             ;   in Loop: Header=BB6_356 Depth=4
	s_or_saveexec_b32 s16, s16
	v_mov_b32_e32 v4, 0x7f800001
	s_xor_b32 exec_lo, exec_lo, s16
	s_cbranch_execz .LBB6_777
.LBB6_2753:                             ;   in Loop: Header=BB6_356 Depth=4
	v_cmp_ne_u16_sdwa s73, v38, v2 src0_sel:BYTE_3 src1_sel:DWORD
	v_mov_b32_e32 v4, 0
	s_andn2_b32 s72, s72, exec_lo
	s_and_b32 s73, s73, exec_lo
	s_or_b32 s72, s72, s73
	s_or_b32 exec_lo, exec_lo, s16
	s_and_saveexec_b32 s16, s72
	s_cbranch_execnz .LBB6_778
	s_branch .LBB6_779
.LBB6_2754:                             ;   in Loop: Header=BB6_356 Depth=4
	s_or_saveexec_b32 s16, s16
	v_mov_b32_e32 v1, 0x7f800001
	s_xor_b32 exec_lo, exec_lo, s16
	s_cbranch_execz .LBB6_793
.LBB6_2755:                             ;   in Loop: Header=BB6_356 Depth=4
	v_cmp_ne_u16_sdwa s73, v51, v2 src0_sel:BYTE_0 src1_sel:DWORD
	v_mov_b32_e32 v1, 0
	s_andn2_b32 s72, s72, exec_lo
	s_and_b32 s73, s73, exec_lo
	s_or_b32 s72, s72, s73
	s_or_b32 exec_lo, exec_lo, s16
	s_and_saveexec_b32 s16, s72
	s_cbranch_execnz .LBB6_794
	s_branch .LBB6_795
.LBB6_2756:                             ;   in Loop: Header=BB6_356 Depth=4
	s_or_saveexec_b32 s16, s16
	v_mov_b32_e32 v4, 0x7f800001
	s_xor_b32 exec_lo, exec_lo, s16
	s_cbranch_execz .LBB6_799
.LBB6_2757:                             ;   in Loop: Header=BB6_356 Depth=4
	v_cmp_ne_u16_sdwa s73, v39, v2 src0_sel:BYTE_0 src1_sel:DWORD
	v_mov_b32_e32 v4, 0
	s_andn2_b32 s72, s72, exec_lo
	s_and_b32 s73, s73, exec_lo
	s_or_b32 s72, s72, s73
	s_or_b32 exec_lo, exec_lo, s16
	s_and_saveexec_b32 s16, s72
	s_cbranch_execnz .LBB6_800
	s_branch .LBB6_801
.LBB6_2758:                             ;   in Loop: Header=BB6_356 Depth=4
	s_or_saveexec_b32 s16, s16
	v_mov_b32_e32 v1, 0x7f800001
	s_xor_b32 exec_lo, exec_lo, s16
	s_cbranch_execz .LBB6_807
.LBB6_2759:                             ;   in Loop: Header=BB6_356 Depth=4
	v_cmp_ne_u16_sdwa s73, v51, v2 src0_sel:BYTE_0 src1_sel:DWORD
	v_mov_b32_e32 v1, 0
	s_andn2_b32 s72, s72, exec_lo
	s_and_b32 s73, s73, exec_lo
	s_or_b32 s72, s72, s73
	s_or_b32 exec_lo, exec_lo, s16
	s_and_saveexec_b32 s16, s72
	s_cbranch_execnz .LBB6_808
	s_branch .LBB6_809
.LBB6_2760:                             ;   in Loop: Header=BB6_356 Depth=4
	s_or_saveexec_b32 s16, s16
	v_mov_b32_e32 v4, 0x7f800001
	s_xor_b32 exec_lo, exec_lo, s16
	s_cbranch_execz .LBB6_813
.LBB6_2761:                             ;   in Loop: Header=BB6_356 Depth=4
	v_cmp_ne_u16_sdwa s73, v39, v2 src0_sel:BYTE_0 src1_sel:DWORD
	v_mov_b32_e32 v4, 0
	s_andn2_b32 s72, s72, exec_lo
	s_and_b32 s73, s73, exec_lo
	s_or_b32 s72, s72, s73
	s_or_b32 exec_lo, exec_lo, s16
	s_and_saveexec_b32 s16, s72
	s_cbranch_execnz .LBB6_814
	s_branch .LBB6_815
.LBB6_2762:                             ;   in Loop: Header=BB6_356 Depth=4
	s_or_saveexec_b32 s16, s16
	v_mov_b32_e32 v1, 0x7f800001
	s_xor_b32 exec_lo, exec_lo, s16
	s_cbranch_execz .LBB6_829
.LBB6_2763:                             ;   in Loop: Header=BB6_356 Depth=4
	v_cmp_ne_u16_sdwa s73, v51, v2 src0_sel:BYTE_1 src1_sel:DWORD
	v_mov_b32_e32 v1, 0
	s_andn2_b32 s72, s72, exec_lo
	s_and_b32 s73, s73, exec_lo
	s_or_b32 s72, s72, s73
	s_or_b32 exec_lo, exec_lo, s16
	s_and_saveexec_b32 s16, s72
	s_cbranch_execnz .LBB6_830
	s_branch .LBB6_831
.LBB6_2764:                             ;   in Loop: Header=BB6_356 Depth=4
	s_or_saveexec_b32 s16, s16
	v_mov_b32_e32 v4, 0x7f800001
	s_xor_b32 exec_lo, exec_lo, s16
	s_cbranch_execz .LBB6_835
.LBB6_2765:                             ;   in Loop: Header=BB6_356 Depth=4
	v_cmp_ne_u16_sdwa s73, v39, v2 src0_sel:BYTE_1 src1_sel:DWORD
	v_mov_b32_e32 v4, 0
	s_andn2_b32 s72, s72, exec_lo
	s_and_b32 s73, s73, exec_lo
	s_or_b32 s72, s72, s73
	s_or_b32 exec_lo, exec_lo, s16
	s_and_saveexec_b32 s16, s72
	s_cbranch_execnz .LBB6_836
	s_branch .LBB6_837
.LBB6_2766:                             ;   in Loop: Header=BB6_356 Depth=4
	s_or_saveexec_b32 s16, s16
	v_mov_b32_e32 v1, 0x7f800001
	s_xor_b32 exec_lo, exec_lo, s16
	s_cbranch_execz .LBB6_843
.LBB6_2767:                             ;   in Loop: Header=BB6_356 Depth=4
	v_cmp_ne_u16_sdwa s73, v51, v2 src0_sel:BYTE_1 src1_sel:DWORD
	v_mov_b32_e32 v1, 0
	s_andn2_b32 s72, s72, exec_lo
	s_and_b32 s73, s73, exec_lo
	s_or_b32 s72, s72, s73
	s_or_b32 exec_lo, exec_lo, s16
	s_and_saveexec_b32 s16, s72
	s_cbranch_execnz .LBB6_844
	s_branch .LBB6_845
.LBB6_2768:                             ;   in Loop: Header=BB6_356 Depth=4
	s_or_saveexec_b32 s16, s16
	v_mov_b32_e32 v4, 0x7f800001
	s_xor_b32 exec_lo, exec_lo, s16
	s_cbranch_execz .LBB6_849
.LBB6_2769:                             ;   in Loop: Header=BB6_356 Depth=4
	v_cmp_ne_u16_sdwa s73, v39, v2 src0_sel:BYTE_1 src1_sel:DWORD
	v_mov_b32_e32 v4, 0
	s_andn2_b32 s72, s72, exec_lo
	s_and_b32 s73, s73, exec_lo
	s_or_b32 s72, s72, s73
	s_or_b32 exec_lo, exec_lo, s16
	s_and_saveexec_b32 s16, s72
	s_cbranch_execnz .LBB6_850
	s_branch .LBB6_851
.LBB6_2770:                             ;   in Loop: Header=BB6_356 Depth=4
	s_or_saveexec_b32 s16, s16
	v_mov_b32_e32 v4, 0x7f800001
	s_xor_b32 exec_lo, exec_lo, s16
	s_cbranch_execz .LBB6_865
.LBB6_2771:                             ;   in Loop: Header=BB6_356 Depth=4
	v_cmp_ne_u16_e32 vcc_lo, 0, v1
	v_mov_b32_e32 v4, 0
	s_andn2_b32 s72, s72, exec_lo
	s_and_b32 s73, vcc_lo, exec_lo
	s_or_b32 s72, s72, s73
	s_or_b32 exec_lo, exec_lo, s16
	s_and_saveexec_b32 s16, s72
	s_cbranch_execnz .LBB6_866
	s_branch .LBB6_867
.LBB6_2772:                             ;   in Loop: Header=BB6_356 Depth=4
	s_or_saveexec_b32 s16, s16
	v_mov_b32_e32 v5, 0x7f800001
	s_xor_b32 exec_lo, exec_lo, s16
	s_cbranch_execz .LBB6_871
.LBB6_2773:                             ;   in Loop: Header=BB6_356 Depth=4
	v_cmp_ne_u16_e32 vcc_lo, 0, v28
	v_mov_b32_e32 v5, 0
	s_andn2_b32 s72, s72, exec_lo
	s_and_b32 s73, vcc_lo, exec_lo
	s_or_b32 s72, s72, s73
	s_or_b32 exec_lo, exec_lo, s16
	s_and_saveexec_b32 s16, s72
	s_cbranch_execnz .LBB6_872
	s_branch .LBB6_873
.LBB6_2774:                             ;   in Loop: Header=BB6_356 Depth=4
	s_or_saveexec_b32 s16, s16
	v_mov_b32_e32 v4, 0x7f800001
	s_xor_b32 exec_lo, exec_lo, s16
	s_cbranch_execz .LBB6_879
.LBB6_2775:                             ;   in Loop: Header=BB6_356 Depth=4
	v_cmp_ne_u16_e32 vcc_lo, 0, v1
	v_mov_b32_e32 v4, 0
	s_andn2_b32 s72, s72, exec_lo
	s_and_b32 s73, vcc_lo, exec_lo
	s_or_b32 s72, s72, s73
	s_or_b32 exec_lo, exec_lo, s16
	s_and_saveexec_b32 s16, s72
	s_cbranch_execnz .LBB6_880
	s_branch .LBB6_881
.LBB6_2776:                             ;   in Loop: Header=BB6_356 Depth=4
	s_or_saveexec_b32 s16, s16
	v_mov_b32_e32 v1, 0x7f800001
	s_xor_b32 exec_lo, exec_lo, s16
	s_cbranch_execz .LBB6_885
.LBB6_2777:                             ;   in Loop: Header=BB6_356 Depth=4
	v_cmp_ne_u16_e32 vcc_lo, 0, v5
	v_mov_b32_e32 v1, 0
	s_andn2_b32 s72, s72, exec_lo
	s_and_b32 s73, vcc_lo, exec_lo
	s_or_b32 s72, s72, s73
	s_or_b32 exec_lo, exec_lo, s16
	s_and_saveexec_b32 s16, s72
	s_cbranch_execnz .LBB6_886
	s_branch .LBB6_887
.LBB6_2778:                             ;   in Loop: Header=BB6_356 Depth=4
	s_or_saveexec_b32 s16, s16
	v_mov_b32_e32 v1, 0x7f800001
	s_xor_b32 exec_lo, exec_lo, s16
	s_cbranch_execz .LBB6_901
.LBB6_2779:                             ;   in Loop: Header=BB6_356 Depth=4
	v_cmp_ne_u16_sdwa s73, v51, v2 src0_sel:BYTE_3 src1_sel:DWORD
	v_mov_b32_e32 v1, 0
	s_andn2_b32 s72, s72, exec_lo
	s_and_b32 s73, s73, exec_lo
	s_or_b32 s72, s72, s73
	s_or_b32 exec_lo, exec_lo, s16
	s_and_saveexec_b32 s16, s72
	s_cbranch_execnz .LBB6_902
	s_branch .LBB6_903
.LBB6_2780:                             ;   in Loop: Header=BB6_356 Depth=4
	s_or_saveexec_b32 s16, s16
	v_mov_b32_e32 v4, 0x7f800001
	s_xor_b32 exec_lo, exec_lo, s16
	s_cbranch_execz .LBB6_907
.LBB6_2781:                             ;   in Loop: Header=BB6_356 Depth=4
	v_cmp_ne_u16_sdwa s73, v39, v2 src0_sel:BYTE_3 src1_sel:DWORD
	v_mov_b32_e32 v4, 0
	s_andn2_b32 s72, s72, exec_lo
	s_and_b32 s73, s73, exec_lo
	s_or_b32 s72, s72, s73
	s_or_b32 exec_lo, exec_lo, s16
	s_and_saveexec_b32 s16, s72
	s_cbranch_execnz .LBB6_908
	s_branch .LBB6_909
.LBB6_2782:                             ;   in Loop: Header=BB6_356 Depth=4
	s_or_saveexec_b32 s16, s16
	v_mov_b32_e32 v1, 0x7f800001
	s_xor_b32 exec_lo, exec_lo, s16
	s_cbranch_execz .LBB6_915
.LBB6_2783:                             ;   in Loop: Header=BB6_356 Depth=4
	v_cmp_ne_u16_sdwa s73, v51, v2 src0_sel:BYTE_3 src1_sel:DWORD
	v_mov_b32_e32 v1, 0
	s_andn2_b32 s72, s72, exec_lo
	s_and_b32 s73, s73, exec_lo
	s_or_b32 s72, s72, s73
	s_or_b32 exec_lo, exec_lo, s16
	s_and_saveexec_b32 s16, s72
	s_cbranch_execnz .LBB6_916
	s_branch .LBB6_917
.LBB6_2784:                             ;   in Loop: Header=BB6_356 Depth=4
	s_or_saveexec_b32 s16, s16
	v_mov_b32_e32 v4, 0x7f800001
	s_xor_b32 exec_lo, exec_lo, s16
	s_cbranch_execz .LBB6_921
.LBB6_2785:                             ;   in Loop: Header=BB6_356 Depth=4
	v_cmp_ne_u16_sdwa s73, v39, v2 src0_sel:BYTE_3 src1_sel:DWORD
	v_mov_b32_e32 v4, 0
	s_andn2_b32 s72, s72, exec_lo
	s_and_b32 s73, s73, exec_lo
	s_or_b32 s72, s72, s73
	s_or_b32 exec_lo, exec_lo, s16
	s_and_saveexec_b32 s16, s72
	s_cbranch_execnz .LBB6_922
	s_branch .LBB6_923
.LBB6_2786:                             ;   in Loop: Header=BB6_356 Depth=4
	s_or_saveexec_b32 s16, s16
	v_mov_b32_e32 v1, 0x7f800001
	s_xor_b32 exec_lo, exec_lo, s16
	s_cbranch_execz .LBB6_937
.LBB6_2787:                             ;   in Loop: Header=BB6_356 Depth=4
	v_cmp_ne_u16_sdwa s73, v32, v2 src0_sel:BYTE_0 src1_sel:DWORD
	v_mov_b32_e32 v1, 0
	s_andn2_b32 s72, s72, exec_lo
	s_and_b32 s73, s73, exec_lo
	s_or_b32 s72, s72, s73
	s_or_b32 exec_lo, exec_lo, s16
	s_and_saveexec_b32 s16, s72
	s_cbranch_execnz .LBB6_938
	s_branch .LBB6_939
.LBB6_2788:                             ;   in Loop: Header=BB6_356 Depth=4
	s_or_saveexec_b32 s16, s16
	v_mov_b32_e32 v4, 0x7f800001
	s_xor_b32 exec_lo, exec_lo, s16
	s_cbranch_execz .LBB6_943
.LBB6_2789:                             ;   in Loop: Header=BB6_356 Depth=4
	v_cmp_ne_u16_sdwa s73, v24, v2 src0_sel:BYTE_0 src1_sel:DWORD
	v_mov_b32_e32 v4, 0
	s_andn2_b32 s72, s72, exec_lo
	s_and_b32 s73, s73, exec_lo
	s_or_b32 s72, s72, s73
	s_or_b32 exec_lo, exec_lo, s16
	s_and_saveexec_b32 s16, s72
	s_cbranch_execnz .LBB6_944
	s_branch .LBB6_945
.LBB6_2790:                             ;   in Loop: Header=BB6_356 Depth=4
	s_or_saveexec_b32 s16, s16
	v_mov_b32_e32 v1, 0x7f800001
	s_xor_b32 exec_lo, exec_lo, s16
	s_cbranch_execz .LBB6_951
.LBB6_2791:                             ;   in Loop: Header=BB6_356 Depth=4
	v_cmp_ne_u16_sdwa s73, v32, v2 src0_sel:BYTE_0 src1_sel:DWORD
	v_mov_b32_e32 v1, 0
	s_andn2_b32 s72, s72, exec_lo
	s_and_b32 s73, s73, exec_lo
	s_or_b32 s72, s72, s73
	s_or_b32 exec_lo, exec_lo, s16
	s_and_saveexec_b32 s16, s72
	s_cbranch_execnz .LBB6_952
	s_branch .LBB6_953
.LBB6_2792:                             ;   in Loop: Header=BB6_356 Depth=4
	s_or_saveexec_b32 s16, s16
	v_mov_b32_e32 v4, 0x7f800001
	s_xor_b32 exec_lo, exec_lo, s16
	s_cbranch_execz .LBB6_957
.LBB6_2793:                             ;   in Loop: Header=BB6_356 Depth=4
	v_cmp_ne_u16_sdwa s73, v24, v2 src0_sel:BYTE_0 src1_sel:DWORD
	v_mov_b32_e32 v4, 0
	s_andn2_b32 s72, s72, exec_lo
	s_and_b32 s73, s73, exec_lo
	s_or_b32 s72, s72, s73
	s_or_b32 exec_lo, exec_lo, s16
	s_and_saveexec_b32 s16, s72
	s_cbranch_execnz .LBB6_958
	s_branch .LBB6_959
.LBB6_2794:                             ;   in Loop: Header=BB6_356 Depth=4
	s_or_saveexec_b32 s72, s72
	v_mov_b32_e32 v1, 0x7f800001
	s_xor_b32 exec_lo, exec_lo, s72
	s_cbranch_execz .LBB6_973
.LBB6_2795:                             ;   in Loop: Header=BB6_356 Depth=4
	v_cmp_ne_u16_sdwa s73, v32, v2 src0_sel:BYTE_1 src1_sel:DWORD
	v_mov_b32_e32 v1, 0
	s_andn2_b32 s16, s16, exec_lo
	s_and_b32 s73, s73, exec_lo
	s_or_b32 s16, s16, s73
	s_or_b32 exec_lo, exec_lo, s72
	s_and_saveexec_b32 s72, s16
	s_cbranch_execnz .LBB6_974
	s_branch .LBB6_975
.LBB6_2796:                             ;   in Loop: Header=BB6_356 Depth=4
	s_or_saveexec_b32 s72, s72
	v_mov_b32_e32 v4, 0x7f800001
	s_xor_b32 exec_lo, exec_lo, s72
	s_cbranch_execz .LBB6_979
.LBB6_2797:                             ;   in Loop: Header=BB6_356 Depth=4
	v_cmp_ne_u16_sdwa s73, v24, v2 src0_sel:BYTE_1 src1_sel:DWORD
	v_mov_b32_e32 v4, 0
	s_andn2_b32 s16, s16, exec_lo
	s_and_b32 s73, s73, exec_lo
	s_or_b32 s16, s16, s73
	s_or_b32 exec_lo, exec_lo, s72
	s_and_saveexec_b32 s72, s16
	s_cbranch_execnz .LBB6_980
	s_branch .LBB6_981
.LBB6_2798:                             ;   in Loop: Header=BB6_356 Depth=4
	s_or_saveexec_b32 s72, s72
	v_mov_b32_e32 v1, 0x7f800001
	s_xor_b32 exec_lo, exec_lo, s72
	s_cbranch_execz .LBB6_987
.LBB6_2799:                             ;   in Loop: Header=BB6_356 Depth=4
	v_cmp_ne_u16_sdwa s73, v32, v2 src0_sel:BYTE_1 src1_sel:DWORD
	v_mov_b32_e32 v1, 0
	s_andn2_b32 s16, s16, exec_lo
	s_and_b32 s73, s73, exec_lo
	s_or_b32 s16, s16, s73
	s_or_b32 exec_lo, exec_lo, s72
	s_and_saveexec_b32 s72, s16
	s_cbranch_execnz .LBB6_988
	s_branch .LBB6_989
.LBB6_2800:                             ;   in Loop: Header=BB6_356 Depth=4
	s_or_saveexec_b32 s72, s72
	v_mov_b32_e32 v4, 0x7f800001
	s_xor_b32 exec_lo, exec_lo, s72
	s_cbranch_execz .LBB6_993
.LBB6_2801:                             ;   in Loop: Header=BB6_356 Depth=4
	v_cmp_ne_u16_sdwa s73, v24, v2 src0_sel:BYTE_1 src1_sel:DWORD
	v_mov_b32_e32 v4, 0
	s_andn2_b32 s16, s16, exec_lo
	s_and_b32 s73, s73, exec_lo
	s_or_b32 s16, s16, s73
	s_or_b32 exec_lo, exec_lo, s72
	s_and_saveexec_b32 s72, s16
	s_cbranch_execnz .LBB6_994
	s_branch .LBB6_995
.LBB6_2802:                             ;   in Loop: Header=BB6_356 Depth=4
	s_or_saveexec_b32 s16, s16
	v_mov_b32_e32 v4, 0x7f800001
	s_xor_b32 exec_lo, exec_lo, s16
	s_cbranch_execz .LBB6_1009
.LBB6_2803:                             ;   in Loop: Header=BB6_356 Depth=4
	v_cmp_ne_u16_e32 vcc_lo, 0, v1
	v_mov_b32_e32 v4, 0
	s_andn2_b32 s72, s72, exec_lo
	s_and_b32 s73, vcc_lo, exec_lo
	s_or_b32 s72, s72, s73
	s_or_b32 exec_lo, exec_lo, s16
	s_and_saveexec_b32 s16, s72
	s_cbranch_execnz .LBB6_1010
	s_branch .LBB6_1011
.LBB6_2804:                             ;   in Loop: Header=BB6_356 Depth=4
	s_or_saveexec_b32 s16, s16
	v_mov_b32_e32 v5, 0x7f800001
	s_xor_b32 exec_lo, exec_lo, s16
	s_cbranch_execz .LBB6_1015
.LBB6_2805:                             ;   in Loop: Header=BB6_356 Depth=4
	v_cmp_ne_u16_e32 vcc_lo, 0, v28
	v_mov_b32_e32 v5, 0
	s_andn2_b32 s72, s72, exec_lo
	s_and_b32 s73, vcc_lo, exec_lo
	s_or_b32 s72, s72, s73
	s_or_b32 exec_lo, exec_lo, s16
	s_and_saveexec_b32 s16, s72
	s_cbranch_execnz .LBB6_1016
	s_branch .LBB6_1017
.LBB6_2806:                             ;   in Loop: Header=BB6_356 Depth=4
	s_or_saveexec_b32 s16, s16
	v_mov_b32_e32 v4, 0x7f800001
	s_xor_b32 exec_lo, exec_lo, s16
	s_cbranch_execz .LBB6_1023
.LBB6_2807:                             ;   in Loop: Header=BB6_356 Depth=4
	v_cmp_ne_u16_e32 vcc_lo, 0, v1
	v_mov_b32_e32 v4, 0
	s_andn2_b32 s72, s72, exec_lo
	s_and_b32 s73, vcc_lo, exec_lo
	s_or_b32 s72, s72, s73
	s_or_b32 exec_lo, exec_lo, s16
	s_and_saveexec_b32 s16, s72
	s_cbranch_execnz .LBB6_1024
	s_branch .LBB6_1025
.LBB6_2808:                             ;   in Loop: Header=BB6_356 Depth=4
	s_or_saveexec_b32 s16, s16
	v_mov_b32_e32 v1, 0x7f800001
	s_xor_b32 exec_lo, exec_lo, s16
	s_cbranch_execz .LBB6_1029
.LBB6_2809:                             ;   in Loop: Header=BB6_356 Depth=4
	v_cmp_ne_u16_e32 vcc_lo, 0, v5
	v_mov_b32_e32 v1, 0
	s_andn2_b32 s72, s72, exec_lo
	s_and_b32 s73, vcc_lo, exec_lo
	s_or_b32 s72, s72, s73
	s_or_b32 exec_lo, exec_lo, s16
	s_and_saveexec_b32 s16, s72
	s_cbranch_execnz .LBB6_1030
	s_branch .LBB6_1031
.LBB6_2810:                             ;   in Loop: Header=BB6_356 Depth=4
	s_or_saveexec_b32 s72, s72
	v_mov_b32_e32 v1, 0x7f800001
	s_xor_b32 exec_lo, exec_lo, s72
	s_cbranch_execz .LBB6_1045
.LBB6_2811:                             ;   in Loop: Header=BB6_356 Depth=4
	v_cmp_ne_u16_sdwa s73, v32, v2 src0_sel:BYTE_3 src1_sel:DWORD
	v_mov_b32_e32 v1, 0
	s_andn2_b32 s16, s16, exec_lo
	s_and_b32 s73, s73, exec_lo
	s_or_b32 s16, s16, s73
	s_or_b32 exec_lo, exec_lo, s72
	s_and_saveexec_b32 s72, s16
	s_cbranch_execnz .LBB6_1046
	s_branch .LBB6_1047
.LBB6_2812:                             ;   in Loop: Header=BB6_356 Depth=4
	s_or_saveexec_b32 s72, s72
	v_mov_b32_e32 v4, 0x7f800001
	s_xor_b32 exec_lo, exec_lo, s72
	s_cbranch_execz .LBB6_1051
.LBB6_2813:                             ;   in Loop: Header=BB6_356 Depth=4
	v_cmp_ne_u16_sdwa s73, v24, v2 src0_sel:BYTE_3 src1_sel:DWORD
	v_mov_b32_e32 v4, 0
	s_andn2_b32 s16, s16, exec_lo
	s_and_b32 s73, s73, exec_lo
	s_or_b32 s16, s16, s73
	s_or_b32 exec_lo, exec_lo, s72
	s_and_saveexec_b32 s72, s16
	s_cbranch_execnz .LBB6_1052
	s_branch .LBB6_1053
.LBB6_2814:                             ;   in Loop: Header=BB6_356 Depth=4
	s_or_saveexec_b32 s72, s72
	v_mov_b32_e32 v1, 0x7f800001
	s_xor_b32 exec_lo, exec_lo, s72
	s_cbranch_execz .LBB6_1059
.LBB6_2815:                             ;   in Loop: Header=BB6_356 Depth=4
	v_cmp_ne_u16_sdwa s73, v32, v2 src0_sel:BYTE_3 src1_sel:DWORD
	v_mov_b32_e32 v1, 0
	s_andn2_b32 s16, s16, exec_lo
	s_and_b32 s73, s73, exec_lo
	s_or_b32 s16, s16, s73
	s_or_b32 exec_lo, exec_lo, s72
	s_and_saveexec_b32 s72, s16
	s_cbranch_execnz .LBB6_1060
	s_branch .LBB6_1061
.LBB6_2816:                             ;   in Loop: Header=BB6_356 Depth=4
	s_or_saveexec_b32 s72, s72
	v_mov_b32_e32 v4, 0x7f800001
	s_xor_b32 exec_lo, exec_lo, s72
	s_cbranch_execz .LBB6_1065
.LBB6_2817:                             ;   in Loop: Header=BB6_356 Depth=4
	v_cmp_ne_u16_sdwa s73, v24, v2 src0_sel:BYTE_3 src1_sel:DWORD
	v_mov_b32_e32 v4, 0
	s_andn2_b32 s16, s16, exec_lo
	s_and_b32 s73, s73, exec_lo
	s_or_b32 s16, s16, s73
	s_or_b32 exec_lo, exec_lo, s72
	s_and_saveexec_b32 s72, s16
	s_cbranch_execnz .LBB6_1066
	s_branch .LBB6_1067
.LBB6_2818:                             ;   in Loop: Header=BB6_356 Depth=4
	s_or_saveexec_b32 s16, s16
	v_mov_b32_e32 v1, 0x7f800001
	s_xor_b32 exec_lo, exec_lo, s16
	s_cbranch_execz .LBB6_1081
.LBB6_2819:                             ;   in Loop: Header=BB6_356 Depth=4
	v_cmp_ne_u16_sdwa s73, v33, v2 src0_sel:BYTE_0 src1_sel:DWORD
	v_mov_b32_e32 v1, 0
	s_andn2_b32 s72, s72, exec_lo
	s_and_b32 s73, s73, exec_lo
	s_or_b32 s72, s72, s73
	s_or_b32 exec_lo, exec_lo, s16
	s_and_saveexec_b32 s16, s72
	s_cbranch_execnz .LBB6_1082
	s_branch .LBB6_1083
.LBB6_2820:                             ;   in Loop: Header=BB6_356 Depth=4
	s_or_saveexec_b32 s16, s16
	v_mov_b32_e32 v4, 0x7f800001
	s_xor_b32 exec_lo, exec_lo, s16
	s_cbranch_execz .LBB6_1087
.LBB6_2821:                             ;   in Loop: Header=BB6_356 Depth=4
	v_cmp_ne_u16_sdwa s73, v25, v2 src0_sel:BYTE_0 src1_sel:DWORD
	v_mov_b32_e32 v4, 0
	s_andn2_b32 s72, s72, exec_lo
	s_and_b32 s73, s73, exec_lo
	s_or_b32 s72, s72, s73
	s_or_b32 exec_lo, exec_lo, s16
	s_and_saveexec_b32 s16, s72
	s_cbranch_execnz .LBB6_1088
	s_branch .LBB6_1089
.LBB6_2822:                             ;   in Loop: Header=BB6_356 Depth=4
	s_or_saveexec_b32 s16, s16
	v_mov_b32_e32 v1, 0x7f800001
	s_xor_b32 exec_lo, exec_lo, s16
	s_cbranch_execz .LBB6_1095
.LBB6_2823:                             ;   in Loop: Header=BB6_356 Depth=4
	v_cmp_ne_u16_sdwa s73, v33, v2 src0_sel:BYTE_0 src1_sel:DWORD
	v_mov_b32_e32 v1, 0
	s_andn2_b32 s72, s72, exec_lo
	s_and_b32 s73, s73, exec_lo
	s_or_b32 s72, s72, s73
	s_or_b32 exec_lo, exec_lo, s16
	s_and_saveexec_b32 s16, s72
	s_cbranch_execnz .LBB6_1096
	s_branch .LBB6_1097
.LBB6_2824:                             ;   in Loop: Header=BB6_356 Depth=4
	s_or_saveexec_b32 s16, s16
	v_mov_b32_e32 v4, 0x7f800001
	s_xor_b32 exec_lo, exec_lo, s16
	s_cbranch_execz .LBB6_1101
.LBB6_2825:                             ;   in Loop: Header=BB6_356 Depth=4
	v_cmp_ne_u16_sdwa s73, v25, v2 src0_sel:BYTE_0 src1_sel:DWORD
	v_mov_b32_e32 v4, 0
	s_andn2_b32 s72, s72, exec_lo
	s_and_b32 s73, s73, exec_lo
	s_or_b32 s72, s72, s73
	s_or_b32 exec_lo, exec_lo, s16
	s_and_saveexec_b32 s16, s72
	s_cbranch_execnz .LBB6_1102
	s_branch .LBB6_1103
.LBB6_2826:                             ;   in Loop: Header=BB6_356 Depth=4
	s_or_saveexec_b32 s72, s72
	v_mov_b32_e32 v1, 0x7f800001
	s_xor_b32 exec_lo, exec_lo, s72
	s_cbranch_execz .LBB6_1117
.LBB6_2827:                             ;   in Loop: Header=BB6_356 Depth=4
	v_cmp_ne_u16_sdwa s73, v33, v2 src0_sel:BYTE_1 src1_sel:DWORD
	v_mov_b32_e32 v1, 0
	s_andn2_b32 s16, s16, exec_lo
	s_and_b32 s73, s73, exec_lo
	s_or_b32 s16, s16, s73
	s_or_b32 exec_lo, exec_lo, s72
	s_and_saveexec_b32 s72, s16
	s_cbranch_execnz .LBB6_1118
	s_branch .LBB6_1119
.LBB6_2828:                             ;   in Loop: Header=BB6_356 Depth=4
	s_or_saveexec_b32 s72, s72
	v_mov_b32_e32 v4, 0x7f800001
	s_xor_b32 exec_lo, exec_lo, s72
	s_cbranch_execz .LBB6_1123
.LBB6_2829:                             ;   in Loop: Header=BB6_356 Depth=4
	v_cmp_ne_u16_sdwa s73, v25, v2 src0_sel:BYTE_1 src1_sel:DWORD
	v_mov_b32_e32 v4, 0
	s_andn2_b32 s16, s16, exec_lo
	s_and_b32 s73, s73, exec_lo
	s_or_b32 s16, s16, s73
	s_or_b32 exec_lo, exec_lo, s72
	s_and_saveexec_b32 s72, s16
	s_cbranch_execnz .LBB6_1124
	s_branch .LBB6_1125
.LBB6_2830:                             ;   in Loop: Header=BB6_356 Depth=4
	s_or_saveexec_b32 s72, s72
	v_mov_b32_e32 v1, 0x7f800001
	s_xor_b32 exec_lo, exec_lo, s72
	s_cbranch_execz .LBB6_1131
.LBB6_2831:                             ;   in Loop: Header=BB6_356 Depth=4
	v_cmp_ne_u16_sdwa s73, v33, v2 src0_sel:BYTE_1 src1_sel:DWORD
	v_mov_b32_e32 v1, 0
	s_andn2_b32 s16, s16, exec_lo
	s_and_b32 s73, s73, exec_lo
	s_or_b32 s16, s16, s73
	s_or_b32 exec_lo, exec_lo, s72
	s_and_saveexec_b32 s72, s16
	s_cbranch_execnz .LBB6_1132
	s_branch .LBB6_1133
.LBB6_2832:                             ;   in Loop: Header=BB6_356 Depth=4
	s_or_saveexec_b32 s72, s72
	v_mov_b32_e32 v4, 0x7f800001
	s_xor_b32 exec_lo, exec_lo, s72
	s_cbranch_execz .LBB6_1137
.LBB6_2833:                             ;   in Loop: Header=BB6_356 Depth=4
	v_cmp_ne_u16_sdwa s73, v25, v2 src0_sel:BYTE_1 src1_sel:DWORD
	v_mov_b32_e32 v4, 0
	s_andn2_b32 s16, s16, exec_lo
	s_and_b32 s73, s73, exec_lo
	s_or_b32 s16, s16, s73
	s_or_b32 exec_lo, exec_lo, s72
	s_and_saveexec_b32 s72, s16
	s_cbranch_execnz .LBB6_1138
	s_branch .LBB6_1139
.LBB6_2834:                             ;   in Loop: Header=BB6_356 Depth=4
	s_or_saveexec_b32 s16, s16
	v_mov_b32_e32 v4, 0x7f800001
	s_xor_b32 exec_lo, exec_lo, s16
	s_cbranch_execz .LBB6_1153
.LBB6_2835:                             ;   in Loop: Header=BB6_356 Depth=4
	v_cmp_ne_u16_e32 vcc_lo, 0, v1
	v_mov_b32_e32 v4, 0
	s_andn2_b32 s72, s72, exec_lo
	s_and_b32 s73, vcc_lo, exec_lo
	s_or_b32 s72, s72, s73
	s_or_b32 exec_lo, exec_lo, s16
	s_and_saveexec_b32 s16, s72
	s_cbranch_execnz .LBB6_1154
	s_branch .LBB6_1155
.LBB6_2836:                             ;   in Loop: Header=BB6_356 Depth=4
	s_or_saveexec_b32 s16, s16
	v_mov_b32_e32 v5, 0x7f800001
	s_xor_b32 exec_lo, exec_lo, s16
	s_cbranch_execz .LBB6_1159
.LBB6_2837:                             ;   in Loop: Header=BB6_356 Depth=4
	v_cmp_ne_u16_e32 vcc_lo, 0, v28
	v_mov_b32_e32 v5, 0
	s_andn2_b32 s72, s72, exec_lo
	s_and_b32 s73, vcc_lo, exec_lo
	s_or_b32 s72, s72, s73
	s_or_b32 exec_lo, exec_lo, s16
	s_and_saveexec_b32 s16, s72
	s_cbranch_execnz .LBB6_1160
	s_branch .LBB6_1161
.LBB6_2838:                             ;   in Loop: Header=BB6_356 Depth=4
	s_or_saveexec_b32 s16, s16
	v_mov_b32_e32 v4, 0x7f800001
	s_xor_b32 exec_lo, exec_lo, s16
	s_cbranch_execz .LBB6_1167
.LBB6_2839:                             ;   in Loop: Header=BB6_356 Depth=4
	v_cmp_ne_u16_e32 vcc_lo, 0, v1
	v_mov_b32_e32 v4, 0
	s_andn2_b32 s72, s72, exec_lo
	s_and_b32 s73, vcc_lo, exec_lo
	s_or_b32 s72, s72, s73
	s_or_b32 exec_lo, exec_lo, s16
	s_and_saveexec_b32 s16, s72
	s_cbranch_execnz .LBB6_1168
	s_branch .LBB6_1169
.LBB6_2840:                             ;   in Loop: Header=BB6_356 Depth=4
	s_or_saveexec_b32 s16, s16
	v_mov_b32_e32 v1, 0x7f800001
	s_xor_b32 exec_lo, exec_lo, s16
	s_cbranch_execz .LBB6_1173
.LBB6_2841:                             ;   in Loop: Header=BB6_356 Depth=4
	v_cmp_ne_u16_e32 vcc_lo, 0, v5
	v_mov_b32_e32 v1, 0
	s_andn2_b32 s72, s72, exec_lo
	s_and_b32 s73, vcc_lo, exec_lo
	s_or_b32 s72, s72, s73
	s_or_b32 exec_lo, exec_lo, s16
	s_and_saveexec_b32 s16, s72
	s_cbranch_execnz .LBB6_1174
	s_branch .LBB6_1175
.LBB6_2842:                             ;   in Loop: Header=BB6_356 Depth=4
	s_or_saveexec_b32 s72, s72
	v_mov_b32_e32 v1, 0x7f800001
	s_xor_b32 exec_lo, exec_lo, s72
	s_cbranch_execz .LBB6_1189
.LBB6_2843:                             ;   in Loop: Header=BB6_356 Depth=4
	v_cmp_ne_u16_sdwa s73, v33, v2 src0_sel:BYTE_3 src1_sel:DWORD
	v_mov_b32_e32 v1, 0
	s_andn2_b32 s16, s16, exec_lo
	s_and_b32 s73, s73, exec_lo
	s_or_b32 s16, s16, s73
	s_or_b32 exec_lo, exec_lo, s72
	s_and_saveexec_b32 s72, s16
	s_cbranch_execnz .LBB6_1190
	s_branch .LBB6_1191
.LBB6_2844:                             ;   in Loop: Header=BB6_356 Depth=4
	s_or_saveexec_b32 s72, s72
	v_mov_b32_e32 v4, 0x7f800001
	s_xor_b32 exec_lo, exec_lo, s72
	s_cbranch_execz .LBB6_1195
.LBB6_2845:                             ;   in Loop: Header=BB6_356 Depth=4
	v_cmp_ne_u16_sdwa s73, v25, v2 src0_sel:BYTE_3 src1_sel:DWORD
	v_mov_b32_e32 v4, 0
	s_andn2_b32 s16, s16, exec_lo
	s_and_b32 s73, s73, exec_lo
	s_or_b32 s16, s16, s73
	s_or_b32 exec_lo, exec_lo, s72
	s_and_saveexec_b32 s72, s16
	s_cbranch_execnz .LBB6_1196
	s_branch .LBB6_1197
.LBB6_2846:                             ;   in Loop: Header=BB6_356 Depth=4
	s_or_saveexec_b32 s72, s72
	v_mov_b32_e32 v1, 0x7f800001
	s_xor_b32 exec_lo, exec_lo, s72
	s_cbranch_execz .LBB6_1203
.LBB6_2847:                             ;   in Loop: Header=BB6_356 Depth=4
	v_cmp_ne_u16_sdwa s73, v33, v2 src0_sel:BYTE_3 src1_sel:DWORD
	v_mov_b32_e32 v1, 0
	s_andn2_b32 s16, s16, exec_lo
	s_and_b32 s73, s73, exec_lo
	s_or_b32 s16, s16, s73
	s_or_b32 exec_lo, exec_lo, s72
	s_and_saveexec_b32 s72, s16
	s_cbranch_execnz .LBB6_1204
	s_branch .LBB6_1205
.LBB6_2848:                             ;   in Loop: Header=BB6_356 Depth=4
	s_or_saveexec_b32 s72, s72
	v_mov_b32_e32 v4, 0x7f800001
	s_xor_b32 exec_lo, exec_lo, s72
	s_cbranch_execz .LBB6_1209
.LBB6_2849:                             ;   in Loop: Header=BB6_356 Depth=4
	v_cmp_ne_u16_sdwa s73, v25, v2 src0_sel:BYTE_3 src1_sel:DWORD
	v_mov_b32_e32 v4, 0
	s_andn2_b32 s16, s16, exec_lo
	s_and_b32 s73, s73, exec_lo
	s_or_b32 s16, s16, s73
	s_or_b32 exec_lo, exec_lo, s72
	s_and_saveexec_b32 s72, s16
	s_cbranch_execnz .LBB6_1210
	s_branch .LBB6_1211
.LBB6_2850:                             ;   in Loop: Header=BB6_356 Depth=4
	s_or_saveexec_b32 s16, s16
	v_mov_b32_e32 v1, 0x7f800001
	s_xor_b32 exec_lo, exec_lo, s16
	s_cbranch_execz .LBB6_1225
.LBB6_2851:                             ;   in Loop: Header=BB6_356 Depth=4
	v_cmp_ne_u16_sdwa s73, v34, v2 src0_sel:BYTE_0 src1_sel:DWORD
	v_mov_b32_e32 v1, 0
	s_andn2_b32 s72, s72, exec_lo
	s_and_b32 s73, s73, exec_lo
	s_or_b32 s72, s72, s73
	s_or_b32 exec_lo, exec_lo, s16
	s_and_saveexec_b32 s16, s72
	s_cbranch_execnz .LBB6_1226
	s_branch .LBB6_1227
.LBB6_2852:                             ;   in Loop: Header=BB6_356 Depth=4
	s_or_saveexec_b32 s16, s16
	v_mov_b32_e32 v4, 0x7f800001
	s_xor_b32 exec_lo, exec_lo, s16
	s_cbranch_execz .LBB6_1231
.LBB6_2853:                             ;   in Loop: Header=BB6_356 Depth=4
	v_cmp_ne_u16_sdwa s73, v26, v2 src0_sel:BYTE_0 src1_sel:DWORD
	v_mov_b32_e32 v4, 0
	s_andn2_b32 s72, s72, exec_lo
	s_and_b32 s73, s73, exec_lo
	s_or_b32 s72, s72, s73
	s_or_b32 exec_lo, exec_lo, s16
	s_and_saveexec_b32 s16, s72
	s_cbranch_execnz .LBB6_1232
	s_branch .LBB6_1233
.LBB6_2854:                             ;   in Loop: Header=BB6_356 Depth=4
	s_or_saveexec_b32 s16, s16
	v_mov_b32_e32 v1, 0x7f800001
	s_xor_b32 exec_lo, exec_lo, s16
	s_cbranch_execz .LBB6_1239
.LBB6_2855:                             ;   in Loop: Header=BB6_356 Depth=4
	v_cmp_ne_u16_sdwa s73, v34, v2 src0_sel:BYTE_0 src1_sel:DWORD
	v_mov_b32_e32 v1, 0
	s_andn2_b32 s72, s72, exec_lo
	s_and_b32 s73, s73, exec_lo
	s_or_b32 s72, s72, s73
	s_or_b32 exec_lo, exec_lo, s16
	s_and_saveexec_b32 s16, s72
	s_cbranch_execnz .LBB6_1240
	s_branch .LBB6_1241
.LBB6_2856:                             ;   in Loop: Header=BB6_356 Depth=4
	s_or_saveexec_b32 s16, s16
	v_mov_b32_e32 v4, 0x7f800001
	s_xor_b32 exec_lo, exec_lo, s16
	s_cbranch_execz .LBB6_1245
.LBB6_2857:                             ;   in Loop: Header=BB6_356 Depth=4
	v_cmp_ne_u16_sdwa s73, v26, v2 src0_sel:BYTE_0 src1_sel:DWORD
	v_mov_b32_e32 v4, 0
	s_andn2_b32 s72, s72, exec_lo
	s_and_b32 s73, s73, exec_lo
	s_or_b32 s72, s72, s73
	s_or_b32 exec_lo, exec_lo, s16
	s_and_saveexec_b32 s16, s72
	s_cbranch_execnz .LBB6_1246
	s_branch .LBB6_1247
.LBB6_2858:                             ;   in Loop: Header=BB6_356 Depth=4
	s_or_saveexec_b32 s72, s72
	v_mov_b32_e32 v1, 0x7f800001
	s_xor_b32 exec_lo, exec_lo, s72
	s_cbranch_execz .LBB6_1261
.LBB6_2859:                             ;   in Loop: Header=BB6_356 Depth=4
	v_cmp_ne_u16_sdwa s73, v34, v2 src0_sel:BYTE_1 src1_sel:DWORD
	v_mov_b32_e32 v1, 0
	s_andn2_b32 s16, s16, exec_lo
	s_and_b32 s73, s73, exec_lo
	s_or_b32 s16, s16, s73
	s_or_b32 exec_lo, exec_lo, s72
	s_and_saveexec_b32 s72, s16
	s_cbranch_execnz .LBB6_1262
	s_branch .LBB6_1263
.LBB6_2860:                             ;   in Loop: Header=BB6_356 Depth=4
	s_or_saveexec_b32 s72, s72
	v_mov_b32_e32 v4, 0x7f800001
	s_xor_b32 exec_lo, exec_lo, s72
	s_cbranch_execz .LBB6_1267
.LBB6_2861:                             ;   in Loop: Header=BB6_356 Depth=4
	v_cmp_ne_u16_sdwa s73, v26, v2 src0_sel:BYTE_1 src1_sel:DWORD
	v_mov_b32_e32 v4, 0
	s_andn2_b32 s16, s16, exec_lo
	s_and_b32 s73, s73, exec_lo
	s_or_b32 s16, s16, s73
	s_or_b32 exec_lo, exec_lo, s72
	s_and_saveexec_b32 s72, s16
	s_cbranch_execnz .LBB6_1268
	s_branch .LBB6_1269
.LBB6_2862:                             ;   in Loop: Header=BB6_356 Depth=4
	s_or_saveexec_b32 s72, s72
	v_mov_b32_e32 v1, 0x7f800001
	s_xor_b32 exec_lo, exec_lo, s72
	s_cbranch_execz .LBB6_1275
.LBB6_2863:                             ;   in Loop: Header=BB6_356 Depth=4
	v_cmp_ne_u16_sdwa s73, v34, v2 src0_sel:BYTE_1 src1_sel:DWORD
	v_mov_b32_e32 v1, 0
	s_andn2_b32 s16, s16, exec_lo
	s_and_b32 s73, s73, exec_lo
	s_or_b32 s16, s16, s73
	s_or_b32 exec_lo, exec_lo, s72
	s_and_saveexec_b32 s72, s16
	s_cbranch_execnz .LBB6_1276
	s_branch .LBB6_1277
.LBB6_2864:                             ;   in Loop: Header=BB6_356 Depth=4
	s_or_saveexec_b32 s72, s72
	v_mov_b32_e32 v4, 0x7f800001
	s_xor_b32 exec_lo, exec_lo, s72
	s_cbranch_execz .LBB6_1281
.LBB6_2865:                             ;   in Loop: Header=BB6_356 Depth=4
	v_cmp_ne_u16_sdwa s73, v26, v2 src0_sel:BYTE_1 src1_sel:DWORD
	v_mov_b32_e32 v4, 0
	s_andn2_b32 s16, s16, exec_lo
	s_and_b32 s73, s73, exec_lo
	s_or_b32 s16, s16, s73
	s_or_b32 exec_lo, exec_lo, s72
	s_and_saveexec_b32 s72, s16
	s_cbranch_execnz .LBB6_1282
	s_branch .LBB6_1283
.LBB6_2866:                             ;   in Loop: Header=BB6_356 Depth=4
	s_or_saveexec_b32 s16, s16
	v_mov_b32_e32 v4, 0x7f800001
	s_xor_b32 exec_lo, exec_lo, s16
	s_cbranch_execz .LBB6_1297
.LBB6_2867:                             ;   in Loop: Header=BB6_356 Depth=4
	v_cmp_ne_u16_e32 vcc_lo, 0, v1
	v_mov_b32_e32 v4, 0
	s_andn2_b32 s72, s72, exec_lo
	s_and_b32 s73, vcc_lo, exec_lo
	s_or_b32 s72, s72, s73
	s_or_b32 exec_lo, exec_lo, s16
	s_and_saveexec_b32 s16, s72
	s_cbranch_execnz .LBB6_1298
	s_branch .LBB6_1299
.LBB6_2868:                             ;   in Loop: Header=BB6_356 Depth=4
	s_or_saveexec_b32 s16, s16
	v_mov_b32_e32 v5, 0x7f800001
	s_xor_b32 exec_lo, exec_lo, s16
	s_cbranch_execz .LBB6_1303
.LBB6_2869:                             ;   in Loop: Header=BB6_356 Depth=4
	v_cmp_ne_u16_e32 vcc_lo, 0, v31
	v_mov_b32_e32 v5, 0
	s_andn2_b32 s72, s72, exec_lo
	s_and_b32 s73, vcc_lo, exec_lo
	s_or_b32 s72, s72, s73
	s_or_b32 exec_lo, exec_lo, s16
	s_and_saveexec_b32 s16, s72
	s_cbranch_execnz .LBB6_1304
	s_branch .LBB6_1305
.LBB6_2870:                             ;   in Loop: Header=BB6_356 Depth=4
	s_or_saveexec_b32 s16, s16
	v_mov_b32_e32 v4, 0x7f800001
	s_xor_b32 exec_lo, exec_lo, s16
	s_cbranch_execz .LBB6_1311
.LBB6_2871:                             ;   in Loop: Header=BB6_356 Depth=4
	v_cmp_ne_u16_e32 vcc_lo, 0, v1
	v_mov_b32_e32 v4, 0
	s_andn2_b32 s72, s72, exec_lo
	s_and_b32 s73, vcc_lo, exec_lo
	s_or_b32 s72, s72, s73
	s_or_b32 exec_lo, exec_lo, s16
	s_and_saveexec_b32 s16, s72
	s_cbranch_execnz .LBB6_1312
	s_branch .LBB6_1313
.LBB6_2872:                             ;   in Loop: Header=BB6_356 Depth=4
	s_or_saveexec_b32 s16, s16
	v_mov_b32_e32 v1, 0x7f800001
	s_xor_b32 exec_lo, exec_lo, s16
	s_cbranch_execz .LBB6_1317
.LBB6_2873:                             ;   in Loop: Header=BB6_356 Depth=4
	v_cmp_ne_u16_e32 vcc_lo, 0, v5
	v_mov_b32_e32 v1, 0
	s_andn2_b32 s72, s72, exec_lo
	s_and_b32 s73, vcc_lo, exec_lo
	s_or_b32 s72, s72, s73
	s_or_b32 exec_lo, exec_lo, s16
	s_and_saveexec_b32 s16, s72
	s_cbranch_execnz .LBB6_1318
	s_branch .LBB6_1319
.LBB6_2874:                             ;   in Loop: Header=BB6_356 Depth=4
	s_or_saveexec_b32 s72, s72
	v_mov_b32_e32 v1, 0x7f800001
	s_xor_b32 exec_lo, exec_lo, s72
	s_cbranch_execz .LBB6_1333
.LBB6_2875:                             ;   in Loop: Header=BB6_356 Depth=4
	v_cmp_ne_u16_sdwa s73, v34, v2 src0_sel:BYTE_3 src1_sel:DWORD
	v_mov_b32_e32 v1, 0
	s_andn2_b32 s16, s16, exec_lo
	s_and_b32 s73, s73, exec_lo
	s_or_b32 s16, s16, s73
	s_or_b32 exec_lo, exec_lo, s72
	s_and_saveexec_b32 s72, s16
	s_cbranch_execnz .LBB6_1334
	s_branch .LBB6_1335
.LBB6_2876:                             ;   in Loop: Header=BB6_356 Depth=4
	s_or_saveexec_b32 s72, s72
	v_mov_b32_e32 v4, 0x7f800001
	s_xor_b32 exec_lo, exec_lo, s72
	s_cbranch_execz .LBB6_1339
.LBB6_2877:                             ;   in Loop: Header=BB6_356 Depth=4
	v_cmp_ne_u16_sdwa s73, v26, v2 src0_sel:BYTE_3 src1_sel:DWORD
	v_mov_b32_e32 v4, 0
	s_andn2_b32 s16, s16, exec_lo
	s_and_b32 s73, s73, exec_lo
	s_or_b32 s16, s16, s73
	s_or_b32 exec_lo, exec_lo, s72
	s_and_saveexec_b32 s72, s16
	s_cbranch_execnz .LBB6_1340
	s_branch .LBB6_1341
.LBB6_2878:                             ;   in Loop: Header=BB6_356 Depth=4
	s_or_saveexec_b32 s72, s72
	v_mov_b32_e32 v1, 0x7f800001
	s_xor_b32 exec_lo, exec_lo, s72
	s_cbranch_execz .LBB6_1347
.LBB6_2879:                             ;   in Loop: Header=BB6_356 Depth=4
	v_cmp_ne_u16_sdwa s73, v34, v2 src0_sel:BYTE_3 src1_sel:DWORD
	v_mov_b32_e32 v1, 0
	s_andn2_b32 s16, s16, exec_lo
	s_and_b32 s73, s73, exec_lo
	s_or_b32 s16, s16, s73
	s_or_b32 exec_lo, exec_lo, s72
	s_and_saveexec_b32 s72, s16
	s_cbranch_execnz .LBB6_1348
	s_branch .LBB6_1349
.LBB6_2880:                             ;   in Loop: Header=BB6_356 Depth=4
	s_or_saveexec_b32 s72, s72
	v_mov_b32_e32 v4, 0x7f800001
	s_xor_b32 exec_lo, exec_lo, s72
	s_cbranch_execz .LBB6_1353
.LBB6_2881:                             ;   in Loop: Header=BB6_356 Depth=4
	v_cmp_ne_u16_sdwa s73, v26, v2 src0_sel:BYTE_3 src1_sel:DWORD
	v_mov_b32_e32 v4, 0
	s_andn2_b32 s16, s16, exec_lo
	s_and_b32 s73, s73, exec_lo
	s_or_b32 s16, s16, s73
	s_or_b32 exec_lo, exec_lo, s72
	s_and_saveexec_b32 s72, s16
	s_cbranch_execnz .LBB6_1354
	s_branch .LBB6_1355
.LBB6_2882:                             ;   in Loop: Header=BB6_356 Depth=4
	s_or_saveexec_b32 s16, s16
	v_mov_b32_e32 v1, 0x7f800001
	s_xor_b32 exec_lo, exec_lo, s16
	s_cbranch_execz .LBB6_1369
.LBB6_2883:                             ;   in Loop: Header=BB6_356 Depth=4
	v_cmp_ne_u16_sdwa s73, v35, v2 src0_sel:BYTE_0 src1_sel:DWORD
	v_mov_b32_e32 v1, 0
	s_andn2_b32 s72, s72, exec_lo
	s_and_b32 s73, s73, exec_lo
	s_or_b32 s72, s72, s73
	s_or_b32 exec_lo, exec_lo, s16
	s_and_saveexec_b32 s16, s72
	s_cbranch_execnz .LBB6_1370
	s_branch .LBB6_1371
.LBB6_2884:                             ;   in Loop: Header=BB6_356 Depth=4
	s_or_saveexec_b32 s16, s16
	v_mov_b32_e32 v4, 0x7f800001
	s_xor_b32 exec_lo, exec_lo, s16
	s_cbranch_execz .LBB6_1375
.LBB6_2885:                             ;   in Loop: Header=BB6_356 Depth=4
	v_cmp_ne_u16_sdwa s73, v27, v2 src0_sel:BYTE_0 src1_sel:DWORD
	v_mov_b32_e32 v4, 0
	s_andn2_b32 s72, s72, exec_lo
	s_and_b32 s73, s73, exec_lo
	s_or_b32 s72, s72, s73
	s_or_b32 exec_lo, exec_lo, s16
	s_and_saveexec_b32 s16, s72
	s_cbranch_execnz .LBB6_1376
	s_branch .LBB6_1377
.LBB6_2886:                             ;   in Loop: Header=BB6_356 Depth=4
	s_or_saveexec_b32 s16, s16
	v_mov_b32_e32 v1, 0x7f800001
	s_xor_b32 exec_lo, exec_lo, s16
	s_cbranch_execz .LBB6_1383
.LBB6_2887:                             ;   in Loop: Header=BB6_356 Depth=4
	v_cmp_ne_u16_sdwa s73, v35, v2 src0_sel:BYTE_0 src1_sel:DWORD
	v_mov_b32_e32 v1, 0
	s_andn2_b32 s72, s72, exec_lo
	s_and_b32 s73, s73, exec_lo
	s_or_b32 s72, s72, s73
	s_or_b32 exec_lo, exec_lo, s16
	s_and_saveexec_b32 s16, s72
	s_cbranch_execnz .LBB6_1384
	s_branch .LBB6_1385
.LBB6_2888:                             ;   in Loop: Header=BB6_356 Depth=4
	s_or_saveexec_b32 s16, s16
	v_mov_b32_e32 v4, 0x7f800001
	s_xor_b32 exec_lo, exec_lo, s16
	s_cbranch_execz .LBB6_1389
.LBB6_2889:                             ;   in Loop: Header=BB6_356 Depth=4
	v_cmp_ne_u16_sdwa s73, v27, v2 src0_sel:BYTE_0 src1_sel:DWORD
	v_mov_b32_e32 v4, 0
	s_andn2_b32 s72, s72, exec_lo
	s_and_b32 s73, s73, exec_lo
	s_or_b32 s72, s72, s73
	s_or_b32 exec_lo, exec_lo, s16
	s_and_saveexec_b32 s16, s72
	s_cbranch_execnz .LBB6_1390
	s_branch .LBB6_1391
.LBB6_2890:                             ;   in Loop: Header=BB6_356 Depth=4
	s_or_saveexec_b32 s72, s72
	v_mov_b32_e32 v1, 0x7f800001
	s_xor_b32 exec_lo, exec_lo, s72
	s_cbranch_execz .LBB6_1405
.LBB6_2891:                             ;   in Loop: Header=BB6_356 Depth=4
	v_cmp_ne_u16_sdwa s73, v35, v2 src0_sel:BYTE_1 src1_sel:DWORD
	v_mov_b32_e32 v1, 0
	s_andn2_b32 s16, s16, exec_lo
	s_and_b32 s73, s73, exec_lo
	s_or_b32 s16, s16, s73
	s_or_b32 exec_lo, exec_lo, s72
	s_and_saveexec_b32 s72, s16
	s_cbranch_execnz .LBB6_1406
	s_branch .LBB6_1407
.LBB6_2892:                             ;   in Loop: Header=BB6_356 Depth=4
	s_or_saveexec_b32 s72, s72
	v_mov_b32_e32 v4, 0x7f800001
	s_xor_b32 exec_lo, exec_lo, s72
	s_cbranch_execz .LBB6_1411
.LBB6_2893:                             ;   in Loop: Header=BB6_356 Depth=4
	v_cmp_ne_u16_sdwa s73, v27, v2 src0_sel:BYTE_1 src1_sel:DWORD
	v_mov_b32_e32 v4, 0
	s_andn2_b32 s16, s16, exec_lo
	s_and_b32 s73, s73, exec_lo
	s_or_b32 s16, s16, s73
	s_or_b32 exec_lo, exec_lo, s72
	s_and_saveexec_b32 s72, s16
	s_cbranch_execnz .LBB6_1412
	s_branch .LBB6_1413
.LBB6_2894:                             ;   in Loop: Header=BB6_356 Depth=4
	s_or_saveexec_b32 s72, s72
	v_mov_b32_e32 v1, 0x7f800001
	s_xor_b32 exec_lo, exec_lo, s72
	s_cbranch_execz .LBB6_1419
.LBB6_2895:                             ;   in Loop: Header=BB6_356 Depth=4
	v_cmp_ne_u16_sdwa s73, v35, v2 src0_sel:BYTE_1 src1_sel:DWORD
	v_mov_b32_e32 v1, 0
	s_andn2_b32 s16, s16, exec_lo
	s_and_b32 s73, s73, exec_lo
	s_or_b32 s16, s16, s73
	s_or_b32 exec_lo, exec_lo, s72
	s_and_saveexec_b32 s72, s16
	s_cbranch_execnz .LBB6_1420
	s_branch .LBB6_1421
.LBB6_2896:                             ;   in Loop: Header=BB6_356 Depth=4
	s_or_saveexec_b32 s72, s72
	v_mov_b32_e32 v4, 0x7f800001
	s_xor_b32 exec_lo, exec_lo, s72
	s_cbranch_execz .LBB6_1425
.LBB6_2897:                             ;   in Loop: Header=BB6_356 Depth=4
	v_cmp_ne_u16_sdwa s73, v27, v2 src0_sel:BYTE_1 src1_sel:DWORD
	v_mov_b32_e32 v4, 0
	s_andn2_b32 s16, s16, exec_lo
	s_and_b32 s73, s73, exec_lo
	s_or_b32 s16, s16, s73
	s_or_b32 exec_lo, exec_lo, s72
	s_and_saveexec_b32 s72, s16
	s_cbranch_execnz .LBB6_1426
	s_branch .LBB6_1427
.LBB6_2898:                             ;   in Loop: Header=BB6_356 Depth=4
	s_or_saveexec_b32 s16, s16
	v_mov_b32_e32 v4, 0x7f800001
	s_xor_b32 exec_lo, exec_lo, s16
	s_cbranch_execz .LBB6_1441
.LBB6_2899:                             ;   in Loop: Header=BB6_356 Depth=4
	v_cmp_ne_u16_e32 vcc_lo, 0, v1
	v_mov_b32_e32 v4, 0
	s_andn2_b32 s72, s72, exec_lo
	s_and_b32 s73, vcc_lo, exec_lo
	s_or_b32 s72, s72, s73
	s_or_b32 exec_lo, exec_lo, s16
	s_and_saveexec_b32 s16, s72
	s_cbranch_execnz .LBB6_1442
	s_branch .LBB6_1443
.LBB6_2900:                             ;   in Loop: Header=BB6_356 Depth=4
	s_or_saveexec_b32 s16, s16
	v_mov_b32_e32 v5, 0x7f800001
	s_xor_b32 exec_lo, exec_lo, s16
	s_cbranch_execz .LBB6_1447
.LBB6_2901:                             ;   in Loop: Header=BB6_356 Depth=4
	v_cmp_ne_u16_e32 vcc_lo, 0, v31
	v_mov_b32_e32 v5, 0
	s_andn2_b32 s72, s72, exec_lo
	s_and_b32 s73, vcc_lo, exec_lo
	s_or_b32 s72, s72, s73
	s_or_b32 exec_lo, exec_lo, s16
	s_and_saveexec_b32 s16, s72
	s_cbranch_execnz .LBB6_1448
	s_branch .LBB6_1449
.LBB6_2902:                             ;   in Loop: Header=BB6_356 Depth=4
	s_or_saveexec_b32 s16, s16
	v_mov_b32_e32 v4, 0x7f800001
	s_xor_b32 exec_lo, exec_lo, s16
	s_cbranch_execz .LBB6_1455
.LBB6_2903:                             ;   in Loop: Header=BB6_356 Depth=4
	v_cmp_ne_u16_e32 vcc_lo, 0, v1
	v_mov_b32_e32 v4, 0
	s_andn2_b32 s72, s72, exec_lo
	s_and_b32 s73, vcc_lo, exec_lo
	s_or_b32 s72, s72, s73
	s_or_b32 exec_lo, exec_lo, s16
	s_and_saveexec_b32 s16, s72
	s_cbranch_execnz .LBB6_1456
	s_branch .LBB6_1457
.LBB6_2904:                             ;   in Loop: Header=BB6_356 Depth=4
	s_or_saveexec_b32 s16, s16
	v_mov_b32_e32 v1, 0x7f800001
	s_xor_b32 exec_lo, exec_lo, s16
	s_cbranch_execz .LBB6_1461
.LBB6_2905:                             ;   in Loop: Header=BB6_356 Depth=4
	v_cmp_ne_u16_e32 vcc_lo, 0, v5
	v_mov_b32_e32 v1, 0
	s_andn2_b32 s72, s72, exec_lo
	s_and_b32 s73, vcc_lo, exec_lo
	s_or_b32 s72, s72, s73
	s_or_b32 exec_lo, exec_lo, s16
	s_and_saveexec_b32 s16, s72
	s_cbranch_execnz .LBB6_1462
	s_branch .LBB6_1463
.LBB6_2906:                             ;   in Loop: Header=BB6_356 Depth=4
	s_or_saveexec_b32 s72, s72
	v_mov_b32_e32 v1, 0x7f800001
	s_xor_b32 exec_lo, exec_lo, s72
	s_cbranch_execz .LBB6_1477
.LBB6_2907:                             ;   in Loop: Header=BB6_356 Depth=4
	v_cmp_ne_u16_sdwa s73, v35, v2 src0_sel:BYTE_3 src1_sel:DWORD
	v_mov_b32_e32 v1, 0
	s_andn2_b32 s16, s16, exec_lo
	s_and_b32 s73, s73, exec_lo
	s_or_b32 s16, s16, s73
	s_or_b32 exec_lo, exec_lo, s72
	s_and_saveexec_b32 s72, s16
	s_cbranch_execnz .LBB6_1478
	s_branch .LBB6_1479
.LBB6_2908:                             ;   in Loop: Header=BB6_356 Depth=4
	s_or_saveexec_b32 s72, s72
	v_mov_b32_e32 v5, 0x7f800001
	s_xor_b32 exec_lo, exec_lo, s72
	s_cbranch_execz .LBB6_1483
.LBB6_2909:                             ;   in Loop: Header=BB6_356 Depth=4
	v_cmp_ne_u16_sdwa s73, v27, v2 src0_sel:BYTE_3 src1_sel:DWORD
	v_mov_b32_e32 v5, 0
	s_andn2_b32 s16, s16, exec_lo
	s_and_b32 s73, s73, exec_lo
	s_or_b32 s16, s16, s73
	s_or_b32 exec_lo, exec_lo, s72
	s_and_saveexec_b32 s72, s16
	s_cbranch_execnz .LBB6_1484
	s_branch .LBB6_1485
.LBB6_2910:                             ;   in Loop: Header=BB6_356 Depth=4
	s_or_saveexec_b32 s72, s72
	v_mov_b32_e32 v1, 0x7f800001
	s_xor_b32 exec_lo, exec_lo, s72
	s_cbranch_execz .LBB6_1491
.LBB6_2911:                             ;   in Loop: Header=BB6_356 Depth=4
	v_cmp_ne_u16_sdwa s73, v35, v2 src0_sel:BYTE_3 src1_sel:DWORD
	v_mov_b32_e32 v1, 0
	s_andn2_b32 s16, s16, exec_lo
	s_and_b32 s73, s73, exec_lo
	s_or_b32 s16, s16, s73
	s_or_b32 exec_lo, exec_lo, s72
	s_and_saveexec_b32 s72, s16
	s_cbranch_execnz .LBB6_1492
	s_branch .LBB6_1493
.LBB6_2912:                             ;   in Loop: Header=BB6_356 Depth=4
	s_or_saveexec_b32 s72, s72
	v_mov_b32_e32 v5, 0x7f800001
	s_xor_b32 exec_lo, exec_lo, s72
	s_cbranch_execz .LBB6_1497
.LBB6_2913:                             ;   in Loop: Header=BB6_356 Depth=4
	v_cmp_ne_u16_sdwa s73, v27, v2 src0_sel:BYTE_3 src1_sel:DWORD
	v_mov_b32_e32 v5, 0
	s_andn2_b32 s16, s16, exec_lo
	s_and_b32 s73, s73, exec_lo
	s_or_b32 s16, s16, s73
	s_or_b32 exec_lo, exec_lo, s72
	s_and_saveexec_b32 s72, s16
	s_cbranch_execnz .LBB6_1498
	s_branch .LBB6_1499
.LBB6_2914:                             ;   in Loop: Header=BB6_356 Depth=4
	s_or_saveexec_b32 s16, s16
	v_mov_b32_e32 v1, 0x7f800001
	s_xor_b32 exec_lo, exec_lo, s16
	s_cbranch_execz .LBB6_1513
.LBB6_2915:                             ;   in Loop: Header=BB6_356 Depth=4
	v_cmp_ne_u16_sdwa s73, v20, v2 src0_sel:BYTE_0 src1_sel:DWORD
	v_mov_b32_e32 v1, 0
	s_andn2_b32 s72, s72, exec_lo
	s_and_b32 s73, s73, exec_lo
	s_or_b32 s72, s72, s73
	s_or_b32 exec_lo, exec_lo, s16
	s_and_saveexec_b32 s16, s72
	s_cbranch_execnz .LBB6_1514
	s_branch .LBB6_1515
.LBB6_2916:                             ;   in Loop: Header=BB6_356 Depth=4
	s_or_saveexec_b32 s16, s16
	v_mov_b32_e32 v27, 0x7f800001
	s_xor_b32 exec_lo, exec_lo, s16
	s_cbranch_execz .LBB6_1519
.LBB6_2917:                             ;   in Loop: Header=BB6_356 Depth=4
	v_cmp_ne_u16_sdwa s73, v16, v2 src0_sel:BYTE_0 src1_sel:DWORD
	v_mov_b32_e32 v27, 0
	s_andn2_b32 s72, s72, exec_lo
	s_and_b32 s73, s73, exec_lo
	s_or_b32 s72, s72, s73
	s_or_b32 exec_lo, exec_lo, s16
	s_and_saveexec_b32 s16, s72
	s_cbranch_execnz .LBB6_1520
	s_branch .LBB6_1521
.LBB6_2918:                             ;   in Loop: Header=BB6_356 Depth=4
	s_or_saveexec_b32 s16, s16
	v_mov_b32_e32 v1, 0x7f800001
	s_xor_b32 exec_lo, exec_lo, s16
	s_cbranch_execz .LBB6_1527
.LBB6_2919:                             ;   in Loop: Header=BB6_356 Depth=4
	v_cmp_ne_u16_sdwa s73, v20, v2 src0_sel:BYTE_0 src1_sel:DWORD
	v_mov_b32_e32 v1, 0
	s_andn2_b32 s72, s72, exec_lo
	s_and_b32 s73, s73, exec_lo
	s_or_b32 s72, s72, s73
	s_or_b32 exec_lo, exec_lo, s16
	s_and_saveexec_b32 s16, s72
	s_cbranch_execnz .LBB6_1528
	s_branch .LBB6_1529
.LBB6_2920:                             ;   in Loop: Header=BB6_356 Depth=4
	s_or_saveexec_b32 s16, s16
	v_mov_b32_e32 v27, 0x7f800001
	s_xor_b32 exec_lo, exec_lo, s16
	s_cbranch_execz .LBB6_1533
.LBB6_2921:                             ;   in Loop: Header=BB6_356 Depth=4
	v_cmp_ne_u16_sdwa s73, v16, v2 src0_sel:BYTE_0 src1_sel:DWORD
	v_mov_b32_e32 v27, 0
	s_andn2_b32 s72, s72, exec_lo
	s_and_b32 s73, s73, exec_lo
	s_or_b32 s72, s72, s73
	s_or_b32 exec_lo, exec_lo, s16
	s_and_saveexec_b32 s16, s72
	s_cbranch_execnz .LBB6_1534
	s_branch .LBB6_1535
.LBB6_2922:                             ;   in Loop: Header=BB6_356 Depth=4
	s_or_saveexec_b32 s72, s72
	v_mov_b32_e32 v1, 0x7f800001
	s_xor_b32 exec_lo, exec_lo, s72
	s_cbranch_execz .LBB6_1549
.LBB6_2923:                             ;   in Loop: Header=BB6_356 Depth=4
	v_cmp_ne_u16_sdwa s73, v20, v2 src0_sel:BYTE_1 src1_sel:DWORD
	v_mov_b32_e32 v1, 0
	s_andn2_b32 s16, s16, exec_lo
	s_and_b32 s73, s73, exec_lo
	s_or_b32 s16, s16, s73
	s_or_b32 exec_lo, exec_lo, s72
	s_and_saveexec_b32 s72, s16
	s_cbranch_execnz .LBB6_1550
	s_branch .LBB6_1551
.LBB6_2924:                             ;   in Loop: Header=BB6_356 Depth=4
	s_or_saveexec_b32 s72, s72
	v_mov_b32_e32 v31, 0x7f800001
	s_xor_b32 exec_lo, exec_lo, s72
	s_cbranch_execz .LBB6_1555
.LBB6_2925:                             ;   in Loop: Header=BB6_356 Depth=4
	v_cmp_ne_u16_sdwa s73, v16, v2 src0_sel:BYTE_1 src1_sel:DWORD
	v_mov_b32_e32 v31, 0
	s_andn2_b32 s16, s16, exec_lo
	s_and_b32 s73, s73, exec_lo
	s_or_b32 s16, s16, s73
	s_or_b32 exec_lo, exec_lo, s72
	s_and_saveexec_b32 s72, s16
	s_cbranch_execnz .LBB6_1556
	s_branch .LBB6_1557
.LBB6_2926:                             ;   in Loop: Header=BB6_356 Depth=4
	s_or_saveexec_b32 s72, s72
	v_mov_b32_e32 v1, 0x7f800001
	s_xor_b32 exec_lo, exec_lo, s72
	s_cbranch_execz .LBB6_1563
.LBB6_2927:                             ;   in Loop: Header=BB6_356 Depth=4
	v_cmp_ne_u16_sdwa s73, v20, v2 src0_sel:BYTE_1 src1_sel:DWORD
	v_mov_b32_e32 v1, 0
	s_andn2_b32 s16, s16, exec_lo
	s_and_b32 s73, s73, exec_lo
	s_or_b32 s16, s16, s73
	s_or_b32 exec_lo, exec_lo, s72
	s_and_saveexec_b32 s72, s16
	s_cbranch_execnz .LBB6_1564
	s_branch .LBB6_1565
.LBB6_2928:                             ;   in Loop: Header=BB6_356 Depth=4
	s_or_saveexec_b32 s72, s72
	v_mov_b32_e32 v31, 0x7f800001
	s_xor_b32 exec_lo, exec_lo, s72
	s_cbranch_execz .LBB6_1569
.LBB6_2929:                             ;   in Loop: Header=BB6_356 Depth=4
	v_cmp_ne_u16_sdwa s73, v16, v2 src0_sel:BYTE_1 src1_sel:DWORD
	v_mov_b32_e32 v31, 0
	s_andn2_b32 s16, s16, exec_lo
	s_and_b32 s73, s73, exec_lo
	s_or_b32 s16, s16, s73
	s_or_b32 exec_lo, exec_lo, s72
	s_and_saveexec_b32 s72, s16
	s_cbranch_execnz .LBB6_1570
	s_branch .LBB6_1571
.LBB6_2930:                             ;   in Loop: Header=BB6_356 Depth=4
	s_or_saveexec_b32 s16, s16
	v_mov_b32_e32 v31, 0x7f800001
	s_xor_b32 exec_lo, exec_lo, s16
	s_cbranch_execz .LBB6_1585
.LBB6_2931:                             ;   in Loop: Header=BB6_356 Depth=4
	v_cmp_ne_u16_e32 vcc_lo, 0, v1
	v_mov_b32_e32 v31, 0
	s_andn2_b32 s72, s72, exec_lo
	s_and_b32 s73, vcc_lo, exec_lo
	s_or_b32 s72, s72, s73
	s_or_b32 exec_lo, exec_lo, s16
	s_and_saveexec_b32 s16, s72
	s_cbranch_execnz .LBB6_1586
	s_branch .LBB6_1587
.LBB6_2932:                             ;   in Loop: Header=BB6_356 Depth=4
	s_or_saveexec_b32 s16, s16
	v_mov_b32_e32 v82, 0x7f800001
	s_xor_b32 exec_lo, exec_lo, s16
	s_cbranch_execz .LBB6_1591
.LBB6_2933:                             ;   in Loop: Header=BB6_356 Depth=4
	v_cmp_ne_u16_e32 vcc_lo, 0, v83
	v_mov_b32_e32 v82, 0
	s_andn2_b32 s72, s72, exec_lo
	s_and_b32 s73, vcc_lo, exec_lo
	s_or_b32 s72, s72, s73
	s_or_b32 exec_lo, exec_lo, s16
	s_and_saveexec_b32 s16, s72
	s_cbranch_execnz .LBB6_1592
	s_branch .LBB6_1593
.LBB6_2934:                             ;   in Loop: Header=BB6_356 Depth=4
	s_or_saveexec_b32 s16, s16
	v_mov_b32_e32 v31, 0x7f800001
	s_xor_b32 exec_lo, exec_lo, s16
	s_cbranch_execz .LBB6_1599
.LBB6_2935:                             ;   in Loop: Header=BB6_356 Depth=4
	v_cmp_ne_u16_e32 vcc_lo, 0, v1
	v_mov_b32_e32 v31, 0
	s_andn2_b32 s72, s72, exec_lo
	s_and_b32 s73, vcc_lo, exec_lo
	s_or_b32 s72, s72, s73
	s_or_b32 exec_lo, exec_lo, s16
	s_and_saveexec_b32 s16, s72
	s_cbranch_execnz .LBB6_1600
	s_branch .LBB6_1601
.LBB6_2936:                             ;   in Loop: Header=BB6_356 Depth=4
	s_or_saveexec_b32 s16, s16
	v_mov_b32_e32 v1, 0x7f800001
	s_xor_b32 exec_lo, exec_lo, s16
	s_cbranch_execz .LBB6_1605
.LBB6_2937:                             ;   in Loop: Header=BB6_356 Depth=4
	v_cmp_ne_u16_e32 vcc_lo, 0, v82
	v_mov_b32_e32 v1, 0
	s_andn2_b32 s72, s72, exec_lo
	s_and_b32 s73, vcc_lo, exec_lo
	s_or_b32 s72, s72, s73
	s_or_b32 exec_lo, exec_lo, s16
	s_and_saveexec_b32 s16, s72
	s_cbranch_execnz .LBB6_1606
	s_branch .LBB6_1607
.LBB6_2938:                             ;   in Loop: Header=BB6_356 Depth=4
	s_or_saveexec_b32 s72, s72
	v_mov_b32_e32 v1, 0x7f800001
	s_xor_b32 exec_lo, exec_lo, s72
	s_cbranch_execz .LBB6_1621
.LBB6_2939:                             ;   in Loop: Header=BB6_356 Depth=4
	v_cmp_ne_u16_sdwa s73, v20, v2 src0_sel:BYTE_3 src1_sel:DWORD
	v_mov_b32_e32 v1, 0
	s_andn2_b32 s16, s16, exec_lo
	s_and_b32 s73, s73, exec_lo
	s_or_b32 s16, s16, s73
	s_or_b32 exec_lo, exec_lo, s72
	s_and_saveexec_b32 s72, s16
	s_cbranch_execnz .LBB6_1622
	s_branch .LBB6_1623
.LBB6_2940:                             ;   in Loop: Header=BB6_356 Depth=4
	s_or_saveexec_b32 s72, s72
	v_mov_b32_e32 v31, 0x7f800001
	s_xor_b32 exec_lo, exec_lo, s72
	s_cbranch_execz .LBB6_1627
.LBB6_2941:                             ;   in Loop: Header=BB6_356 Depth=4
	v_cmp_ne_u16_sdwa s73, v16, v2 src0_sel:BYTE_3 src1_sel:DWORD
	v_mov_b32_e32 v31, 0
	s_andn2_b32 s16, s16, exec_lo
	s_and_b32 s73, s73, exec_lo
	s_or_b32 s16, s16, s73
	s_or_b32 exec_lo, exec_lo, s72
	s_and_saveexec_b32 s72, s16
	s_cbranch_execnz .LBB6_1628
	s_branch .LBB6_1629
.LBB6_2942:                             ;   in Loop: Header=BB6_356 Depth=4
	s_or_saveexec_b32 s72, s72
	v_mov_b32_e32 v1, 0x7f800001
	s_xor_b32 exec_lo, exec_lo, s72
	s_cbranch_execz .LBB6_1635
.LBB6_2943:                             ;   in Loop: Header=BB6_356 Depth=4
	v_cmp_ne_u16_sdwa s73, v20, v2 src0_sel:BYTE_3 src1_sel:DWORD
	v_mov_b32_e32 v1, 0
	s_andn2_b32 s16, s16, exec_lo
	s_and_b32 s73, s73, exec_lo
	s_or_b32 s16, s16, s73
	s_or_b32 exec_lo, exec_lo, s72
	s_and_saveexec_b32 s72, s16
	s_cbranch_execnz .LBB6_1636
	s_branch .LBB6_1637
.LBB6_2944:                             ;   in Loop: Header=BB6_356 Depth=4
	s_or_saveexec_b32 s72, s72
	v_mov_b32_e32 v20, 0x7f800001
	s_xor_b32 exec_lo, exec_lo, s72
	s_cbranch_execz .LBB6_1641
.LBB6_2945:                             ;   in Loop: Header=BB6_356 Depth=4
	v_cmp_ne_u16_sdwa s73, v16, v2 src0_sel:BYTE_3 src1_sel:DWORD
	v_mov_b32_e32 v20, 0
	s_andn2_b32 s16, s16, exec_lo
	s_and_b32 s73, s73, exec_lo
	s_or_b32 s16, s16, s73
	s_or_b32 exec_lo, exec_lo, s72
	s_and_saveexec_b32 s72, s16
	s_cbranch_execnz .LBB6_1642
	s_branch .LBB6_1643
.LBB6_2946:                             ;   in Loop: Header=BB6_356 Depth=4
	s_or_saveexec_b32 s16, s16
	v_mov_b32_e32 v1, 0x7f800001
	s_xor_b32 exec_lo, exec_lo, s16
	s_cbranch_execz .LBB6_1657
.LBB6_2947:                             ;   in Loop: Header=BB6_356 Depth=4
	v_cmp_ne_u16_sdwa s73, v21, v2 src0_sel:BYTE_0 src1_sel:DWORD
	v_mov_b32_e32 v1, 0
	s_andn2_b32 s72, s72, exec_lo
	s_and_b32 s73, s73, exec_lo
	s_or_b32 s72, s72, s73
	s_or_b32 exec_lo, exec_lo, s16
	s_and_saveexec_b32 s16, s72
	s_cbranch_execnz .LBB6_1658
	s_branch .LBB6_1659
.LBB6_2948:                             ;   in Loop: Header=BB6_356 Depth=4
	s_or_saveexec_b32 s16, s16
	v_mov_b32_e32 v20, 0x7f800001
	s_xor_b32 exec_lo, exec_lo, s16
	s_cbranch_execz .LBB6_1663
.LBB6_2949:                             ;   in Loop: Header=BB6_356 Depth=4
	v_cmp_ne_u16_sdwa s73, v17, v2 src0_sel:BYTE_0 src1_sel:DWORD
	v_mov_b32_e32 v20, 0
	s_andn2_b32 s72, s72, exec_lo
	s_and_b32 s73, s73, exec_lo
	s_or_b32 s72, s72, s73
	s_or_b32 exec_lo, exec_lo, s16
	s_and_saveexec_b32 s16, s72
	s_cbranch_execnz .LBB6_1664
	s_branch .LBB6_1665
.LBB6_2950:                             ;   in Loop: Header=BB6_356 Depth=4
	s_or_saveexec_b32 s16, s16
	v_mov_b32_e32 v1, 0x7f800001
	s_xor_b32 exec_lo, exec_lo, s16
	s_cbranch_execz .LBB6_1671
.LBB6_2951:                             ;   in Loop: Header=BB6_356 Depth=4
	v_cmp_ne_u16_sdwa s73, v21, v2 src0_sel:BYTE_0 src1_sel:DWORD
	v_mov_b32_e32 v1, 0
	s_andn2_b32 s72, s72, exec_lo
	s_and_b32 s73, s73, exec_lo
	s_or_b32 s72, s72, s73
	s_or_b32 exec_lo, exec_lo, s16
	s_and_saveexec_b32 s16, s72
	s_cbranch_execnz .LBB6_1672
	s_branch .LBB6_1673
.LBB6_2952:                             ;   in Loop: Header=BB6_356 Depth=4
	s_or_saveexec_b32 s16, s16
	v_mov_b32_e32 v20, 0x7f800001
	s_xor_b32 exec_lo, exec_lo, s16
	s_cbranch_execz .LBB6_1677
.LBB6_2953:                             ;   in Loop: Header=BB6_356 Depth=4
	v_cmp_ne_u16_sdwa s73, v17, v2 src0_sel:BYTE_0 src1_sel:DWORD
	v_mov_b32_e32 v20, 0
	s_andn2_b32 s72, s72, exec_lo
	s_and_b32 s73, s73, exec_lo
	s_or_b32 s72, s72, s73
	s_or_b32 exec_lo, exec_lo, s16
	s_and_saveexec_b32 s16, s72
	s_cbranch_execnz .LBB6_1678
	s_branch .LBB6_1679
.LBB6_2954:                             ;   in Loop: Header=BB6_356 Depth=4
	s_or_saveexec_b32 s72, s72
	v_mov_b32_e32 v1, 0x7f800001
	s_xor_b32 exec_lo, exec_lo, s72
	s_cbranch_execz .LBB6_1693
.LBB6_2955:                             ;   in Loop: Header=BB6_356 Depth=4
	v_cmp_ne_u16_sdwa s73, v21, v2 src0_sel:BYTE_1 src1_sel:DWORD
	v_mov_b32_e32 v1, 0
	s_andn2_b32 s16, s16, exec_lo
	s_and_b32 s73, s73, exec_lo
	s_or_b32 s16, s16, s73
	s_or_b32 exec_lo, exec_lo, s72
	s_and_saveexec_b32 s72, s16
	s_cbranch_execnz .LBB6_1694
	s_branch .LBB6_1695
.LBB6_2956:                             ;   in Loop: Header=BB6_356 Depth=4
	s_or_saveexec_b32 s72, s72
	v_mov_b32_e32 v31, 0x7f800001
	s_xor_b32 exec_lo, exec_lo, s72
	s_cbranch_execz .LBB6_1699
.LBB6_2957:                             ;   in Loop: Header=BB6_356 Depth=4
	v_cmp_ne_u16_sdwa s73, v17, v2 src0_sel:BYTE_1 src1_sel:DWORD
	v_mov_b32_e32 v31, 0
	s_andn2_b32 s16, s16, exec_lo
	s_and_b32 s73, s73, exec_lo
	s_or_b32 s16, s16, s73
	s_or_b32 exec_lo, exec_lo, s72
	s_and_saveexec_b32 s72, s16
	s_cbranch_execnz .LBB6_1700
	s_branch .LBB6_1701
.LBB6_2958:                             ;   in Loop: Header=BB6_356 Depth=4
	s_or_saveexec_b32 s72, s72
	v_mov_b32_e32 v1, 0x7f800001
	s_xor_b32 exec_lo, exec_lo, s72
	s_cbranch_execz .LBB6_1707
.LBB6_2959:                             ;   in Loop: Header=BB6_356 Depth=4
	v_cmp_ne_u16_sdwa s73, v21, v2 src0_sel:BYTE_1 src1_sel:DWORD
	v_mov_b32_e32 v1, 0
	s_andn2_b32 s16, s16, exec_lo
	s_and_b32 s73, s73, exec_lo
	s_or_b32 s16, s16, s73
	s_or_b32 exec_lo, exec_lo, s72
	s_and_saveexec_b32 s72, s16
	s_cbranch_execnz .LBB6_1708
	s_branch .LBB6_1709
.LBB6_2960:                             ;   in Loop: Header=BB6_356 Depth=4
	s_or_saveexec_b32 s72, s72
	v_mov_b32_e32 v31, 0x7f800001
	s_xor_b32 exec_lo, exec_lo, s72
	s_cbranch_execz .LBB6_1713
.LBB6_2961:                             ;   in Loop: Header=BB6_356 Depth=4
	v_cmp_ne_u16_sdwa s73, v17, v2 src0_sel:BYTE_1 src1_sel:DWORD
	v_mov_b32_e32 v31, 0
	s_andn2_b32 s16, s16, exec_lo
	s_and_b32 s73, s73, exec_lo
	s_or_b32 s16, s16, s73
	s_or_b32 exec_lo, exec_lo, s72
	s_and_saveexec_b32 s72, s16
	s_cbranch_execnz .LBB6_1714
	s_branch .LBB6_1715
.LBB6_2962:                             ;   in Loop: Header=BB6_356 Depth=4
	s_or_saveexec_b32 s16, s16
	v_mov_b32_e32 v31, 0x7f800001
	s_xor_b32 exec_lo, exec_lo, s16
	s_cbranch_execz .LBB6_1729
.LBB6_2963:                             ;   in Loop: Header=BB6_356 Depth=4
	v_cmp_ne_u16_e32 vcc_lo, 0, v1
	v_mov_b32_e32 v31, 0
	s_andn2_b32 s72, s72, exec_lo
	s_and_b32 s73, vcc_lo, exec_lo
	s_or_b32 s72, s72, s73
	s_or_b32 exec_lo, exec_lo, s16
	s_and_saveexec_b32 s16, s72
	s_cbranch_execnz .LBB6_1730
	s_branch .LBB6_1731
.LBB6_2964:                             ;   in Loop: Header=BB6_356 Depth=4
	s_or_saveexec_b32 s16, s16
	v_mov_b32_e32 v86, 0x7f800001
	s_xor_b32 exec_lo, exec_lo, s16
	s_cbranch_execz .LBB6_1735
.LBB6_2965:                             ;   in Loop: Header=BB6_356 Depth=4
	v_cmp_ne_u16_e32 vcc_lo, 0, v87
	v_mov_b32_e32 v86, 0
	s_andn2_b32 s72, s72, exec_lo
	s_and_b32 s73, vcc_lo, exec_lo
	s_or_b32 s72, s72, s73
	s_or_b32 exec_lo, exec_lo, s16
	s_and_saveexec_b32 s16, s72
	s_cbranch_execnz .LBB6_1736
	s_branch .LBB6_1737
.LBB6_2966:                             ;   in Loop: Header=BB6_356 Depth=4
	s_or_saveexec_b32 s16, s16
	v_mov_b32_e32 v31, 0x7f800001
	s_xor_b32 exec_lo, exec_lo, s16
	s_cbranch_execz .LBB6_1743
.LBB6_2967:                             ;   in Loop: Header=BB6_356 Depth=4
	v_cmp_ne_u16_e32 vcc_lo, 0, v1
	v_mov_b32_e32 v31, 0
	s_andn2_b32 s72, s72, exec_lo
	s_and_b32 s73, vcc_lo, exec_lo
	s_or_b32 s72, s72, s73
	s_or_b32 exec_lo, exec_lo, s16
	s_and_saveexec_b32 s16, s72
	s_cbranch_execnz .LBB6_1744
	s_branch .LBB6_1745
.LBB6_2968:                             ;   in Loop: Header=BB6_356 Depth=4
	s_or_saveexec_b32 s16, s16
	v_mov_b32_e32 v1, 0x7f800001
	s_xor_b32 exec_lo, exec_lo, s16
	s_cbranch_execz .LBB6_1749
.LBB6_2969:                             ;   in Loop: Header=BB6_356 Depth=4
	v_cmp_ne_u16_e32 vcc_lo, 0, v86
	v_mov_b32_e32 v1, 0
	s_andn2_b32 s72, s72, exec_lo
	s_and_b32 s73, vcc_lo, exec_lo
	s_or_b32 s72, s72, s73
	s_or_b32 exec_lo, exec_lo, s16
	s_and_saveexec_b32 s16, s72
	s_cbranch_execnz .LBB6_1750
	s_branch .LBB6_1751
.LBB6_2970:                             ;   in Loop: Header=BB6_356 Depth=4
	s_or_saveexec_b32 s72, s72
	v_mov_b32_e32 v1, 0x7f800001
	s_xor_b32 exec_lo, exec_lo, s72
	s_cbranch_execz .LBB6_1765
.LBB6_2971:                             ;   in Loop: Header=BB6_356 Depth=4
	v_cmp_ne_u16_sdwa s73, v21, v2 src0_sel:BYTE_3 src1_sel:DWORD
	v_mov_b32_e32 v1, 0
	s_andn2_b32 s16, s16, exec_lo
	s_and_b32 s73, s73, exec_lo
	s_or_b32 s16, s16, s73
	s_or_b32 exec_lo, exec_lo, s72
	s_and_saveexec_b32 s72, s16
	s_cbranch_execnz .LBB6_1766
	s_branch .LBB6_1767
.LBB6_2972:                             ;   in Loop: Header=BB6_356 Depth=4
	s_or_saveexec_b32 s72, s72
	v_mov_b32_e32 v31, 0x7f800001
	s_xor_b32 exec_lo, exec_lo, s72
	s_cbranch_execz .LBB6_1771
.LBB6_2973:                             ;   in Loop: Header=BB6_356 Depth=4
	v_cmp_ne_u16_sdwa s73, v17, v2 src0_sel:BYTE_3 src1_sel:DWORD
	v_mov_b32_e32 v31, 0
	s_andn2_b32 s16, s16, exec_lo
	s_and_b32 s73, s73, exec_lo
	s_or_b32 s16, s16, s73
	s_or_b32 exec_lo, exec_lo, s72
	s_and_saveexec_b32 s72, s16
	s_cbranch_execnz .LBB6_1772
	s_branch .LBB6_1773
.LBB6_2974:                             ;   in Loop: Header=BB6_356 Depth=4
	s_or_saveexec_b32 s72, s72
	v_mov_b32_e32 v1, 0x7f800001
	s_xor_b32 exec_lo, exec_lo, s72
	s_cbranch_execz .LBB6_1779
.LBB6_2975:                             ;   in Loop: Header=BB6_356 Depth=4
	v_cmp_ne_u16_sdwa s73, v21, v2 src0_sel:BYTE_3 src1_sel:DWORD
	v_mov_b32_e32 v1, 0
	s_andn2_b32 s16, s16, exec_lo
	s_and_b32 s73, s73, exec_lo
	s_or_b32 s16, s16, s73
	s_or_b32 exec_lo, exec_lo, s72
	s_and_saveexec_b32 s72, s16
	s_cbranch_execnz .LBB6_1780
	s_branch .LBB6_1781
.LBB6_2976:                             ;   in Loop: Header=BB6_356 Depth=4
	s_or_saveexec_b32 s72, s72
	v_mov_b32_e32 v21, 0x7f800001
	s_xor_b32 exec_lo, exec_lo, s72
	s_cbranch_execz .LBB6_1785
.LBB6_2977:                             ;   in Loop: Header=BB6_356 Depth=4
	v_cmp_ne_u16_sdwa s73, v17, v2 src0_sel:BYTE_3 src1_sel:DWORD
	v_mov_b32_e32 v21, 0
	s_andn2_b32 s16, s16, exec_lo
	s_and_b32 s73, s73, exec_lo
	s_or_b32 s16, s16, s73
	s_or_b32 exec_lo, exec_lo, s72
	s_and_saveexec_b32 s72, s16
	s_cbranch_execnz .LBB6_1786
	s_branch .LBB6_1787
.LBB6_2978:                             ;   in Loop: Header=BB6_356 Depth=4
	s_or_saveexec_b32 s16, s16
	v_mov_b32_e32 v1, 0x7f800001
	s_xor_b32 exec_lo, exec_lo, s16
	s_cbranch_execz .LBB6_1801
.LBB6_2979:                             ;   in Loop: Header=BB6_356 Depth=4
	v_cmp_ne_u16_sdwa s73, v22, v2 src0_sel:BYTE_0 src1_sel:DWORD
	v_mov_b32_e32 v1, 0
	s_andn2_b32 s72, s72, exec_lo
	s_and_b32 s73, s73, exec_lo
	s_or_b32 s72, s72, s73
	s_or_b32 exec_lo, exec_lo, s16
	s_and_saveexec_b32 s16, s72
	s_cbranch_execnz .LBB6_1802
	s_branch .LBB6_1803
.LBB6_2980:                             ;   in Loop: Header=BB6_356 Depth=4
	s_or_saveexec_b32 s16, s16
	v_mov_b32_e32 v21, 0x7f800001
	s_xor_b32 exec_lo, exec_lo, s16
	s_cbranch_execz .LBB6_1807
.LBB6_2981:                             ;   in Loop: Header=BB6_356 Depth=4
	v_cmp_ne_u16_sdwa s73, v18, v2 src0_sel:BYTE_0 src1_sel:DWORD
	v_mov_b32_e32 v21, 0
	s_andn2_b32 s72, s72, exec_lo
	s_and_b32 s73, s73, exec_lo
	s_or_b32 s72, s72, s73
	s_or_b32 exec_lo, exec_lo, s16
	s_and_saveexec_b32 s16, s72
	s_cbranch_execnz .LBB6_1808
	s_branch .LBB6_1809
.LBB6_2982:                             ;   in Loop: Header=BB6_356 Depth=4
	s_or_saveexec_b32 s16, s16
	v_mov_b32_e32 v1, 0x7f800001
	s_xor_b32 exec_lo, exec_lo, s16
	s_cbranch_execz .LBB6_1815
.LBB6_2983:                             ;   in Loop: Header=BB6_356 Depth=4
	v_cmp_ne_u16_sdwa s73, v22, v2 src0_sel:BYTE_0 src1_sel:DWORD
	v_mov_b32_e32 v1, 0
	s_andn2_b32 s72, s72, exec_lo
	s_and_b32 s73, s73, exec_lo
	s_or_b32 s72, s72, s73
	s_or_b32 exec_lo, exec_lo, s16
	s_and_saveexec_b32 s16, s72
	s_cbranch_execnz .LBB6_1816
	s_branch .LBB6_1817
.LBB6_2984:                             ;   in Loop: Header=BB6_356 Depth=4
	s_or_saveexec_b32 s16, s16
	v_mov_b32_e32 v21, 0x7f800001
	s_xor_b32 exec_lo, exec_lo, s16
	s_cbranch_execz .LBB6_1821
.LBB6_2985:                             ;   in Loop: Header=BB6_356 Depth=4
	v_cmp_ne_u16_sdwa s73, v18, v2 src0_sel:BYTE_0 src1_sel:DWORD
	v_mov_b32_e32 v21, 0
	s_andn2_b32 s72, s72, exec_lo
	s_and_b32 s73, s73, exec_lo
	s_or_b32 s72, s72, s73
	s_or_b32 exec_lo, exec_lo, s16
	s_and_saveexec_b32 s16, s72
	s_cbranch_execnz .LBB6_1822
	s_branch .LBB6_1823
.LBB6_2986:                             ;   in Loop: Header=BB6_356 Depth=4
	s_or_saveexec_b32 s72, s72
	v_mov_b32_e32 v1, 0x7f800001
	s_xor_b32 exec_lo, exec_lo, s72
	s_cbranch_execz .LBB6_1837
.LBB6_2987:                             ;   in Loop: Header=BB6_356 Depth=4
	v_cmp_ne_u16_sdwa s73, v22, v2 src0_sel:BYTE_1 src1_sel:DWORD
	v_mov_b32_e32 v1, 0
	s_andn2_b32 s16, s16, exec_lo
	s_and_b32 s73, s73, exec_lo
	s_or_b32 s16, s16, s73
	s_or_b32 exec_lo, exec_lo, s72
	s_and_saveexec_b32 s72, s16
	s_cbranch_execnz .LBB6_1838
	s_branch .LBB6_1839
.LBB6_2988:                             ;   in Loop: Header=BB6_356 Depth=4
	s_or_saveexec_b32 s72, s72
	v_mov_b32_e32 v31, 0x7f800001
	s_xor_b32 exec_lo, exec_lo, s72
	s_cbranch_execz .LBB6_1843
.LBB6_2989:                             ;   in Loop: Header=BB6_356 Depth=4
	v_cmp_ne_u16_sdwa s73, v18, v2 src0_sel:BYTE_1 src1_sel:DWORD
	v_mov_b32_e32 v31, 0
	s_andn2_b32 s16, s16, exec_lo
	s_and_b32 s73, s73, exec_lo
	s_or_b32 s16, s16, s73
	s_or_b32 exec_lo, exec_lo, s72
	s_and_saveexec_b32 s72, s16
	s_cbranch_execnz .LBB6_1844
	s_branch .LBB6_1845
.LBB6_2990:                             ;   in Loop: Header=BB6_356 Depth=4
	s_or_saveexec_b32 s72, s72
	v_mov_b32_e32 v1, 0x7f800001
	s_xor_b32 exec_lo, exec_lo, s72
	s_cbranch_execz .LBB6_1851
.LBB6_2991:                             ;   in Loop: Header=BB6_356 Depth=4
	v_cmp_ne_u16_sdwa s73, v22, v2 src0_sel:BYTE_1 src1_sel:DWORD
	v_mov_b32_e32 v1, 0
	s_andn2_b32 s16, s16, exec_lo
	s_and_b32 s73, s73, exec_lo
	s_or_b32 s16, s16, s73
	s_or_b32 exec_lo, exec_lo, s72
	s_and_saveexec_b32 s72, s16
	s_cbranch_execnz .LBB6_1852
	s_branch .LBB6_1853
.LBB6_2992:                             ;   in Loop: Header=BB6_356 Depth=4
	s_or_saveexec_b32 s72, s72
	v_mov_b32_e32 v31, 0x7f800001
	s_xor_b32 exec_lo, exec_lo, s72
	s_cbranch_execz .LBB6_1857
.LBB6_2993:                             ;   in Loop: Header=BB6_356 Depth=4
	v_cmp_ne_u16_sdwa s73, v18, v2 src0_sel:BYTE_1 src1_sel:DWORD
	v_mov_b32_e32 v31, 0
	s_andn2_b32 s16, s16, exec_lo
	s_and_b32 s73, s73, exec_lo
	s_or_b32 s16, s16, s73
	s_or_b32 exec_lo, exec_lo, s72
	s_and_saveexec_b32 s72, s16
	s_cbranch_execnz .LBB6_1858
	s_branch .LBB6_1859
.LBB6_2994:                             ;   in Loop: Header=BB6_356 Depth=4
	s_or_saveexec_b32 s16, s16
	v_mov_b32_e32 v98, 0x7f800001
	s_xor_b32 exec_lo, exec_lo, s16
	s_cbranch_execz .LBB6_1873
.LBB6_2995:                             ;   in Loop: Header=BB6_356 Depth=4
	v_cmp_ne_u16_e32 vcc_lo, 0, v1
	v_mov_b32_e32 v98, 0
	s_andn2_b32 s72, s72, exec_lo
	s_and_b32 s73, vcc_lo, exec_lo
	s_or_b32 s72, s72, s73
	s_or_b32 exec_lo, exec_lo, s16
	s_and_saveexec_b32 s16, s72
	s_cbranch_execnz .LBB6_1874
	s_branch .LBB6_1875
.LBB6_2996:                             ;   in Loop: Header=BB6_356 Depth=4
	s_or_saveexec_b32 s16, s16
	v_mov_b32_e32 v86, 0x7f800001
	s_xor_b32 exec_lo, exec_lo, s16
	s_cbranch_execz .LBB6_1879
.LBB6_2997:                             ;   in Loop: Header=BB6_356 Depth=4
	v_cmp_ne_u16_e32 vcc_lo, 0, v87
	v_mov_b32_e32 v86, 0
	s_andn2_b32 s72, s72, exec_lo
	s_and_b32 s73, vcc_lo, exec_lo
	s_or_b32 s72, s72, s73
	s_or_b32 exec_lo, exec_lo, s16
	s_and_saveexec_b32 s16, s72
	s_cbranch_execnz .LBB6_1880
	s_branch .LBB6_1881
.LBB6_2998:                             ;   in Loop: Header=BB6_356 Depth=4
	s_or_saveexec_b32 s16, s16
	v_mov_b32_e32 v98, 0x7f800001
	s_xor_b32 exec_lo, exec_lo, s16
	s_cbranch_execz .LBB6_1887
.LBB6_2999:                             ;   in Loop: Header=BB6_356 Depth=4
	v_cmp_ne_u16_e32 vcc_lo, 0, v1
	v_mov_b32_e32 v98, 0
	s_andn2_b32 s72, s72, exec_lo
	s_and_b32 s73, vcc_lo, exec_lo
	s_or_b32 s72, s72, s73
	s_or_b32 exec_lo, exec_lo, s16
	s_and_saveexec_b32 s16, s72
	s_cbranch_execnz .LBB6_1888
	s_branch .LBB6_1889
.LBB6_3000:                             ;   in Loop: Header=BB6_356 Depth=4
	s_or_saveexec_b32 s16, s16
	v_mov_b32_e32 v1, 0x7f800001
	s_xor_b32 exec_lo, exec_lo, s16
	s_cbranch_execz .LBB6_1893
.LBB6_3001:                             ;   in Loop: Header=BB6_356 Depth=4
	v_cmp_ne_u16_e32 vcc_lo, 0, v86
	v_mov_b32_e32 v1, 0
	s_andn2_b32 s72, s72, exec_lo
	s_and_b32 s73, vcc_lo, exec_lo
	s_or_b32 s72, s72, s73
	s_or_b32 exec_lo, exec_lo, s16
	s_and_saveexec_b32 s16, s72
	s_cbranch_execnz .LBB6_1894
	s_branch .LBB6_1895
.LBB6_3002:                             ;   in Loop: Header=BB6_356 Depth=4
	s_or_saveexec_b32 s72, s72
	v_mov_b32_e32 v98, 0x7f800001
	s_xor_b32 exec_lo, exec_lo, s72
	s_cbranch_execz .LBB6_1909
.LBB6_3003:                             ;   in Loop: Header=BB6_356 Depth=4
	v_cmp_ne_u16_sdwa s73, v22, v2 src0_sel:BYTE_3 src1_sel:DWORD
	v_mov_b32_e32 v98, 0
	s_andn2_b32 s16, s16, exec_lo
	s_and_b32 s73, s73, exec_lo
	s_or_b32 s16, s16, s73
	s_or_b32 exec_lo, exec_lo, s72
	s_and_saveexec_b32 s72, s16
	s_cbranch_execnz .LBB6_1910
	s_branch .LBB6_1911
.LBB6_3004:                             ;   in Loop: Header=BB6_356 Depth=4
	s_or_saveexec_b32 s72, s72
	v_mov_b32_e32 v86, 0x7f800001
	s_xor_b32 exec_lo, exec_lo, s72
	s_cbranch_execz .LBB6_1915
.LBB6_3005:                             ;   in Loop: Header=BB6_356 Depth=4
	v_cmp_ne_u16_sdwa s73, v18, v2 src0_sel:BYTE_3 src1_sel:DWORD
	v_mov_b32_e32 v86, 0
	s_andn2_b32 s16, s16, exec_lo
	s_and_b32 s73, s73, exec_lo
	s_or_b32 s16, s16, s73
	s_or_b32 exec_lo, exec_lo, s72
	s_and_saveexec_b32 s72, s16
	s_cbranch_execnz .LBB6_1916
	s_branch .LBB6_1917
.LBB6_3006:                             ;   in Loop: Header=BB6_356 Depth=4
	s_or_saveexec_b32 s72, s72
	v_mov_b32_e32 v98, 0x7f800001
	s_xor_b32 exec_lo, exec_lo, s72
	s_cbranch_execz .LBB6_1923
.LBB6_3007:                             ;   in Loop: Header=BB6_356 Depth=4
	v_cmp_ne_u16_sdwa s73, v22, v2 src0_sel:BYTE_3 src1_sel:DWORD
	v_mov_b32_e32 v98, 0
	s_andn2_b32 s16, s16, exec_lo
	s_and_b32 s73, s73, exec_lo
	s_or_b32 s16, s16, s73
	s_or_b32 exec_lo, exec_lo, s72
	s_and_saveexec_b32 s72, s16
	s_cbranch_execnz .LBB6_1924
	s_branch .LBB6_1925
.LBB6_3008:                             ;   in Loop: Header=BB6_356 Depth=4
	s_or_saveexec_b32 s72, s72
	v_mov_b32_e32 v22, 0x7f800001
	s_xor_b32 exec_lo, exec_lo, s72
	s_cbranch_execz .LBB6_1929
.LBB6_3009:                             ;   in Loop: Header=BB6_356 Depth=4
	v_cmp_ne_u16_sdwa s73, v18, v2 src0_sel:BYTE_3 src1_sel:DWORD
	v_mov_b32_e32 v22, 0
	s_andn2_b32 s16, s16, exec_lo
	s_and_b32 s73, s73, exec_lo
	s_or_b32 s16, s16, s73
	s_or_b32 exec_lo, exec_lo, s72
	s_and_saveexec_b32 s72, s16
	s_cbranch_execnz .LBB6_1930
	s_branch .LBB6_1931
.LBB6_3010:                             ;   in Loop: Header=BB6_356 Depth=4
	s_or_saveexec_b32 s16, s16
	v_mov_b32_e32 v22, 0x7f800001
	s_xor_b32 exec_lo, exec_lo, s16
	s_cbranch_execz .LBB6_1945
.LBB6_3011:                             ;   in Loop: Header=BB6_356 Depth=4
	v_cmp_ne_u16_sdwa s73, v23, v2 src0_sel:BYTE_0 src1_sel:DWORD
	v_mov_b32_e32 v22, 0
	s_andn2_b32 s72, s72, exec_lo
	s_and_b32 s73, s73, exec_lo
	s_or_b32 s72, s72, s73
	s_or_b32 exec_lo, exec_lo, s16
	s_and_saveexec_b32 s16, s72
	s_cbranch_execnz .LBB6_1946
	s_branch .LBB6_1947
.LBB6_3012:                             ;   in Loop: Header=BB6_356 Depth=4
	s_or_saveexec_b32 s16, s16
	v_mov_b32_e32 v86, 0x7f800001
	s_xor_b32 exec_lo, exec_lo, s16
	s_cbranch_execz .LBB6_1951
.LBB6_3013:                             ;   in Loop: Header=BB6_356 Depth=4
	v_cmp_ne_u16_sdwa s73, v19, v2 src0_sel:BYTE_0 src1_sel:DWORD
	v_mov_b32_e32 v86, 0
	s_andn2_b32 s72, s72, exec_lo
	s_and_b32 s73, s73, exec_lo
	s_or_b32 s72, s72, s73
	s_or_b32 exec_lo, exec_lo, s16
	s_and_saveexec_b32 s16, s72
	s_cbranch_execnz .LBB6_1952
	s_branch .LBB6_1953
.LBB6_3014:                             ;   in Loop: Header=BB6_356 Depth=4
	s_or_saveexec_b32 s16, s16
	v_mov_b32_e32 v22, 0x7f800001
	s_xor_b32 exec_lo, exec_lo, s16
	s_cbranch_execz .LBB6_1959
.LBB6_3015:                             ;   in Loop: Header=BB6_356 Depth=4
	v_cmp_ne_u16_sdwa s73, v23, v2 src0_sel:BYTE_0 src1_sel:DWORD
	v_mov_b32_e32 v22, 0
	s_andn2_b32 s72, s72, exec_lo
	s_and_b32 s73, s73, exec_lo
	s_or_b32 s72, s72, s73
	s_or_b32 exec_lo, exec_lo, s16
	s_and_saveexec_b32 s16, s72
	s_cbranch_execnz .LBB6_1960
	s_branch .LBB6_1961
.LBB6_3016:                             ;   in Loop: Header=BB6_356 Depth=4
	s_or_saveexec_b32 s16, s16
	v_mov_b32_e32 v86, 0x7f800001
	s_xor_b32 exec_lo, exec_lo, s16
	s_cbranch_execz .LBB6_1965
.LBB6_3017:                             ;   in Loop: Header=BB6_356 Depth=4
	v_cmp_ne_u16_sdwa s73, v19, v2 src0_sel:BYTE_0 src1_sel:DWORD
	v_mov_b32_e32 v86, 0
	s_andn2_b32 s72, s72, exec_lo
	s_and_b32 s73, s73, exec_lo
	s_or_b32 s72, s72, s73
	s_or_b32 exec_lo, exec_lo, s16
	s_and_saveexec_b32 s16, s72
	s_cbranch_execnz .LBB6_1966
	s_branch .LBB6_1967
.LBB6_3018:                             ;   in Loop: Header=BB6_356 Depth=4
	s_or_saveexec_b32 s72, s72
	v_mov_b32_e32 v98, 0x7f800001
	s_xor_b32 exec_lo, exec_lo, s72
	s_cbranch_execz .LBB6_1981
.LBB6_3019:                             ;   in Loop: Header=BB6_356 Depth=4
	v_cmp_ne_u16_sdwa s73, v23, v2 src0_sel:BYTE_1 src1_sel:DWORD
	v_mov_b32_e32 v98, 0
	s_andn2_b32 s16, s16, exec_lo
	s_and_b32 s73, s73, exec_lo
	s_or_b32 s16, s16, s73
	s_or_b32 exec_lo, exec_lo, s72
	s_and_saveexec_b32 s72, s16
	s_cbranch_execnz .LBB6_1982
	s_branch .LBB6_1983
.LBB6_3020:                             ;   in Loop: Header=BB6_356 Depth=4
	s_or_saveexec_b32 s72, s72
	v_mov_b32_e32 v86, 0x7f800001
	s_xor_b32 exec_lo, exec_lo, s72
	s_cbranch_execz .LBB6_1987
.LBB6_3021:                             ;   in Loop: Header=BB6_356 Depth=4
	v_cmp_ne_u16_sdwa s73, v19, v2 src0_sel:BYTE_1 src1_sel:DWORD
	v_mov_b32_e32 v86, 0
	s_andn2_b32 s16, s16, exec_lo
	s_and_b32 s73, s73, exec_lo
	s_or_b32 s16, s16, s73
	s_or_b32 exec_lo, exec_lo, s72
	s_and_saveexec_b32 s72, s16
	s_cbranch_execnz .LBB6_1988
	s_branch .LBB6_1989
.LBB6_3022:                             ;   in Loop: Header=BB6_356 Depth=4
	s_or_saveexec_b32 s72, s72
	v_mov_b32_e32 v98, 0x7f800001
	s_xor_b32 exec_lo, exec_lo, s72
	s_cbranch_execz .LBB6_1995
.LBB6_3023:                             ;   in Loop: Header=BB6_356 Depth=4
	v_cmp_ne_u16_sdwa s73, v23, v2 src0_sel:BYTE_1 src1_sel:DWORD
	v_mov_b32_e32 v98, 0
	s_andn2_b32 s16, s16, exec_lo
	s_and_b32 s73, s73, exec_lo
	s_or_b32 s16, s16, s73
	s_or_b32 exec_lo, exec_lo, s72
	s_and_saveexec_b32 s72, s16
	s_cbranch_execnz .LBB6_1996
	s_branch .LBB6_1997
.LBB6_3024:                             ;   in Loop: Header=BB6_356 Depth=4
	s_or_saveexec_b32 s72, s72
	v_mov_b32_e32 v86, 0x7f800001
	s_xor_b32 exec_lo, exec_lo, s72
	s_cbranch_execz .LBB6_2001
.LBB6_3025:                             ;   in Loop: Header=BB6_356 Depth=4
	v_cmp_ne_u16_sdwa s73, v19, v2 src0_sel:BYTE_1 src1_sel:DWORD
	v_mov_b32_e32 v86, 0
	s_andn2_b32 s16, s16, exec_lo
	s_and_b32 s73, s73, exec_lo
	s_or_b32 s16, s16, s73
	s_or_b32 exec_lo, exec_lo, s72
	s_and_saveexec_b32 s72, s16
	s_cbranch_execnz .LBB6_2002
	s_branch .LBB6_2003
.LBB6_3026:                             ;   in Loop: Header=BB6_356 Depth=4
	s_or_saveexec_b32 s16, s16
	v_mov_b32_e32 v99, 0x7f800001
	s_xor_b32 exec_lo, exec_lo, s16
	s_cbranch_execz .LBB6_2017
.LBB6_3027:                             ;   in Loop: Header=BB6_356 Depth=4
	v_cmp_ne_u16_e32 vcc_lo, 0, v98
	v_mov_b32_e32 v99, 0
	s_andn2_b32 s72, s72, exec_lo
	s_and_b32 s73, vcc_lo, exec_lo
	s_or_b32 s72, s72, s73
	s_or_b32 exec_lo, exec_lo, s16
	s_and_saveexec_b32 s16, s72
	s_cbranch_execnz .LBB6_2018
	s_branch .LBB6_2019
.LBB6_3028:                             ;   in Loop: Header=BB6_356 Depth=4
	s_or_saveexec_b32 s16, s16
	v_mov_b32_e32 v86, 0x7f800001
	s_xor_b32 exec_lo, exec_lo, s16
	s_cbranch_execz .LBB6_2023
.LBB6_3029:                             ;   in Loop: Header=BB6_356 Depth=4
	v_cmp_ne_u16_e32 vcc_lo, 0, v87
	v_mov_b32_e32 v86, 0
	s_andn2_b32 s72, s72, exec_lo
	s_and_b32 s73, vcc_lo, exec_lo
	s_or_b32 s72, s72, s73
	s_or_b32 exec_lo, exec_lo, s16
	s_and_saveexec_b32 s16, s72
	s_cbranch_execnz .LBB6_2024
	s_branch .LBB6_2025
.LBB6_3030:                             ;   in Loop: Header=BB6_356 Depth=4
	s_or_saveexec_b32 s16, s16
	v_mov_b32_e32 v99, 0x7f800001
	s_xor_b32 exec_lo, exec_lo, s16
	s_cbranch_execz .LBB6_2031
.LBB6_3031:                             ;   in Loop: Header=BB6_356 Depth=4
	v_cmp_ne_u16_e32 vcc_lo, 0, v98
	v_mov_b32_e32 v99, 0
	s_andn2_b32 s72, s72, exec_lo
	s_and_b32 s73, vcc_lo, exec_lo
	s_or_b32 s72, s72, s73
	s_or_b32 exec_lo, exec_lo, s16
	s_and_saveexec_b32 s16, s72
	s_cbranch_execnz .LBB6_2032
	s_branch .LBB6_2033
.LBB6_3032:                             ;   in Loop: Header=BB6_356 Depth=4
	s_or_saveexec_b32 s16, s16
	v_mov_b32_e32 v86, 0x7f800001
	s_xor_b32 exec_lo, exec_lo, s16
	s_cbranch_execz .LBB6_2037
.LBB6_3033:                             ;   in Loop: Header=BB6_356 Depth=4
	v_cmp_ne_u16_e32 vcc_lo, 0, v87
	v_mov_b32_e32 v86, 0
	s_andn2_b32 s72, s72, exec_lo
	s_and_b32 s73, vcc_lo, exec_lo
	s_or_b32 s72, s72, s73
	s_or_b32 exec_lo, exec_lo, s16
	s_and_saveexec_b32 s16, s72
	s_cbranch_execnz .LBB6_2038
	s_branch .LBB6_2039
.LBB6_3034:                             ;   in Loop: Header=BB6_356 Depth=4
	s_or_saveexec_b32 s72, s72
	v_mov_b32_e32 v98, 0x7f800001
	s_xor_b32 exec_lo, exec_lo, s72
	s_cbranch_execz .LBB6_2053
.LBB6_3035:                             ;   in Loop: Header=BB6_356 Depth=4
	v_cmp_ne_u16_sdwa s73, v23, v2 src0_sel:BYTE_3 src1_sel:DWORD
	v_mov_b32_e32 v98, 0
	s_andn2_b32 s16, s16, exec_lo
	s_and_b32 s73, s73, exec_lo
	s_or_b32 s16, s16, s73
	s_or_b32 exec_lo, exec_lo, s72
	s_and_saveexec_b32 s72, s16
	s_cbranch_execnz .LBB6_2054
	s_branch .LBB6_2055
.LBB6_3036:                             ;   in Loop: Header=BB6_356 Depth=4
	s_or_saveexec_b32 s72, s72
	v_mov_b32_e32 v86, 0x7f800001
	s_xor_b32 exec_lo, exec_lo, s72
	s_cbranch_execz .LBB6_2059
.LBB6_3037:                             ;   in Loop: Header=BB6_356 Depth=4
	v_cmp_ne_u16_sdwa s73, v19, v2 src0_sel:BYTE_3 src1_sel:DWORD
	v_mov_b32_e32 v86, 0
	s_andn2_b32 s16, s16, exec_lo
	s_and_b32 s73, s73, exec_lo
	s_or_b32 s16, s16, s73
	s_or_b32 exec_lo, exec_lo, s72
	s_and_saveexec_b32 s72, s16
	s_cbranch_execnz .LBB6_2060
	s_branch .LBB6_2061
.LBB6_3038:                             ;   in Loop: Header=BB6_356 Depth=4
	s_or_saveexec_b32 s72, s72
	v_mov_b32_e32 v98, 0x7f800001
	s_xor_b32 exec_lo, exec_lo, s72
	s_cbranch_execz .LBB6_2067
.LBB6_3039:                             ;   in Loop: Header=BB6_356 Depth=4
	v_cmp_ne_u16_sdwa s73, v23, v2 src0_sel:BYTE_3 src1_sel:DWORD
	v_mov_b32_e32 v98, 0
	s_andn2_b32 s16, s16, exec_lo
	s_and_b32 s73, s73, exec_lo
	s_or_b32 s16, s16, s73
	s_or_b32 exec_lo, exec_lo, s72
	s_and_saveexec_b32 s72, s16
	s_cbranch_execnz .LBB6_2068
	s_branch .LBB6_2069
.LBB6_3040:                             ;   in Loop: Header=BB6_356 Depth=4
	s_or_saveexec_b32 s72, s72
	v_mov_b32_e32 v23, 0x7f800001
	s_xor_b32 exec_lo, exec_lo, s72
	s_cbranch_execz .LBB6_2073
.LBB6_3041:                             ;   in Loop: Header=BB6_356 Depth=4
	v_cmp_ne_u16_sdwa s73, v19, v2 src0_sel:BYTE_3 src1_sel:DWORD
	v_mov_b32_e32 v23, 0
	s_andn2_b32 s16, s16, exec_lo
	s_and_b32 s73, s73, exec_lo
	s_or_b32 s16, s16, s73
	s_or_b32 exec_lo, exec_lo, s72
	s_and_saveexec_b32 s72, s16
	s_cbranch_execnz .LBB6_2074
	s_branch .LBB6_2075
.LBB6_3042:                             ;   in Loop: Header=BB6_356 Depth=4
	s_or_saveexec_b32 s16, s16
	v_mov_b32_e32 v23, 0x7f800001
	s_xor_b32 exec_lo, exec_lo, s16
	s_cbranch_execz .LBB6_2089
.LBB6_3043:                             ;   in Loop: Header=BB6_356 Depth=4
	v_cmp_ne_u16_sdwa s73, v12, v2 src0_sel:BYTE_0 src1_sel:DWORD
	v_mov_b32_e32 v23, 0
	s_andn2_b32 s72, s72, exec_lo
	s_and_b32 s73, s73, exec_lo
	s_or_b32 s72, s72, s73
	s_or_b32 exec_lo, exec_lo, s16
	s_and_saveexec_b32 s16, s72
	s_cbranch_execnz .LBB6_2090
	s_branch .LBB6_2091
.LBB6_3044:                             ;   in Loop: Header=BB6_356 Depth=4
	s_or_saveexec_b32 s16, s16
	v_mov_b32_e32 v86, 0x7f800001
	s_xor_b32 exec_lo, exec_lo, s16
	s_cbranch_execz .LBB6_2095
.LBB6_3045:                             ;   in Loop: Header=BB6_356 Depth=4
	v_cmp_ne_u16_sdwa s73, v8, v2 src0_sel:BYTE_0 src1_sel:DWORD
	v_mov_b32_e32 v86, 0
	s_andn2_b32 s72, s72, exec_lo
	s_and_b32 s73, s73, exec_lo
	s_or_b32 s72, s72, s73
	s_or_b32 exec_lo, exec_lo, s16
	s_and_saveexec_b32 s16, s72
	s_cbranch_execnz .LBB6_2096
	s_branch .LBB6_2097
.LBB6_3046:                             ;   in Loop: Header=BB6_356 Depth=4
	s_or_saveexec_b32 s16, s16
	v_mov_b32_e32 v23, 0x7f800001
	s_xor_b32 exec_lo, exec_lo, s16
	s_cbranch_execz .LBB6_2103
.LBB6_3047:                             ;   in Loop: Header=BB6_356 Depth=4
	v_cmp_ne_u16_sdwa s73, v12, v2 src0_sel:BYTE_0 src1_sel:DWORD
	v_mov_b32_e32 v23, 0
	s_andn2_b32 s72, s72, exec_lo
	s_and_b32 s73, s73, exec_lo
	s_or_b32 s72, s72, s73
	s_or_b32 exec_lo, exec_lo, s16
	s_and_saveexec_b32 s16, s72
	s_cbranch_execnz .LBB6_2104
	s_branch .LBB6_2105
.LBB6_3048:                             ;   in Loop: Header=BB6_356 Depth=4
	s_or_saveexec_b32 s16, s16
	v_mov_b32_e32 v86, 0x7f800001
	s_xor_b32 exec_lo, exec_lo, s16
	s_cbranch_execz .LBB6_2109
.LBB6_3049:                             ;   in Loop: Header=BB6_356 Depth=4
	v_cmp_ne_u16_sdwa s73, v8, v2 src0_sel:BYTE_0 src1_sel:DWORD
	v_mov_b32_e32 v86, 0
	s_andn2_b32 s72, s72, exec_lo
	s_and_b32 s73, s73, exec_lo
	s_or_b32 s72, s72, s73
	s_or_b32 exec_lo, exec_lo, s16
	s_and_saveexec_b32 s16, s72
	s_cbranch_execnz .LBB6_2110
	s_branch .LBB6_2111
.LBB6_3050:                             ;   in Loop: Header=BB6_356 Depth=4
	s_or_saveexec_b32 s72, s72
	v_mov_b32_e32 v98, 0x7f800001
	s_xor_b32 exec_lo, exec_lo, s72
	s_cbranch_execz .LBB6_2125
.LBB6_3051:                             ;   in Loop: Header=BB6_356 Depth=4
	v_cmp_ne_u16_sdwa s73, v12, v2 src0_sel:BYTE_1 src1_sel:DWORD
	v_mov_b32_e32 v98, 0
	s_andn2_b32 s16, s16, exec_lo
	s_and_b32 s73, s73, exec_lo
	s_or_b32 s16, s16, s73
	s_or_b32 exec_lo, exec_lo, s72
	s_and_saveexec_b32 s72, s16
	s_cbranch_execnz .LBB6_2126
	s_branch .LBB6_2127
.LBB6_3052:                             ;   in Loop: Header=BB6_356 Depth=4
	s_or_saveexec_b32 s72, s72
	v_mov_b32_e32 v86, 0x7f800001
	s_xor_b32 exec_lo, exec_lo, s72
	s_cbranch_execz .LBB6_2131
.LBB6_3053:                             ;   in Loop: Header=BB6_356 Depth=4
	v_cmp_ne_u16_sdwa s73, v8, v2 src0_sel:BYTE_1 src1_sel:DWORD
	v_mov_b32_e32 v86, 0
	s_andn2_b32 s16, s16, exec_lo
	s_and_b32 s73, s73, exec_lo
	s_or_b32 s16, s16, s73
	s_or_b32 exec_lo, exec_lo, s72
	s_and_saveexec_b32 s72, s16
	s_cbranch_execnz .LBB6_2132
	s_branch .LBB6_2133
.LBB6_3054:                             ;   in Loop: Header=BB6_356 Depth=4
	s_or_saveexec_b32 s72, s72
	v_mov_b32_e32 v98, 0x7f800001
	s_xor_b32 exec_lo, exec_lo, s72
	s_cbranch_execz .LBB6_2139
.LBB6_3055:                             ;   in Loop: Header=BB6_356 Depth=4
	v_cmp_ne_u16_sdwa s73, v12, v2 src0_sel:BYTE_1 src1_sel:DWORD
	v_mov_b32_e32 v98, 0
	s_andn2_b32 s16, s16, exec_lo
	s_and_b32 s73, s73, exec_lo
	s_or_b32 s16, s16, s73
	s_or_b32 exec_lo, exec_lo, s72
	s_and_saveexec_b32 s72, s16
	s_cbranch_execnz .LBB6_2140
	s_branch .LBB6_2141
.LBB6_3056:                             ;   in Loop: Header=BB6_356 Depth=4
	s_or_saveexec_b32 s72, s72
	v_mov_b32_e32 v86, 0x7f800001
	s_xor_b32 exec_lo, exec_lo, s72
	s_cbranch_execz .LBB6_2145
.LBB6_3057:                             ;   in Loop: Header=BB6_356 Depth=4
	v_cmp_ne_u16_sdwa s73, v8, v2 src0_sel:BYTE_1 src1_sel:DWORD
	v_mov_b32_e32 v86, 0
	s_andn2_b32 s16, s16, exec_lo
	s_and_b32 s73, s73, exec_lo
	s_or_b32 s16, s16, s73
	s_or_b32 exec_lo, exec_lo, s72
	s_and_saveexec_b32 s72, s16
	s_cbranch_execnz .LBB6_2146
	s_branch .LBB6_2147
.LBB6_3058:                             ;   in Loop: Header=BB6_356 Depth=4
	s_or_saveexec_b32 s16, s16
	v_mov_b32_e32 v99, 0x7f800001
	s_xor_b32 exec_lo, exec_lo, s16
	s_cbranch_execz .LBB6_2161
.LBB6_3059:                             ;   in Loop: Header=BB6_356 Depth=4
	v_cmp_ne_u16_e32 vcc_lo, 0, v98
	v_mov_b32_e32 v99, 0
	s_andn2_b32 s72, s72, exec_lo
	s_and_b32 s73, vcc_lo, exec_lo
	s_or_b32 s72, s72, s73
	s_or_b32 exec_lo, exec_lo, s16
	s_and_saveexec_b32 s16, s72
	s_cbranch_execnz .LBB6_2162
	s_branch .LBB6_2163
.LBB6_3060:                             ;   in Loop: Header=BB6_356 Depth=4
	s_or_saveexec_b32 s16, s16
	v_mov_b32_e32 v86, 0x7f800001
	s_xor_b32 exec_lo, exec_lo, s16
	s_cbranch_execz .LBB6_2167
.LBB6_3061:                             ;   in Loop: Header=BB6_356 Depth=4
	v_cmp_ne_u16_e32 vcc_lo, 0, v87
	v_mov_b32_e32 v86, 0
	s_andn2_b32 s72, s72, exec_lo
	s_and_b32 s73, vcc_lo, exec_lo
	s_or_b32 s72, s72, s73
	s_or_b32 exec_lo, exec_lo, s16
	s_and_saveexec_b32 s16, s72
	s_cbranch_execnz .LBB6_2168
	s_branch .LBB6_2169
.LBB6_3062:                             ;   in Loop: Header=BB6_356 Depth=4
	s_or_saveexec_b32 s16, s16
	v_mov_b32_e32 v99, 0x7f800001
	s_xor_b32 exec_lo, exec_lo, s16
	s_cbranch_execz .LBB6_2175
.LBB6_3063:                             ;   in Loop: Header=BB6_356 Depth=4
	v_cmp_ne_u16_e32 vcc_lo, 0, v98
	v_mov_b32_e32 v99, 0
	s_andn2_b32 s72, s72, exec_lo
	s_and_b32 s73, vcc_lo, exec_lo
	s_or_b32 s72, s72, s73
	s_or_b32 exec_lo, exec_lo, s16
	s_and_saveexec_b32 s16, s72
	s_cbranch_execnz .LBB6_2176
	s_branch .LBB6_2177
.LBB6_3064:                             ;   in Loop: Header=BB6_356 Depth=4
	s_or_saveexec_b32 s16, s16
	v_mov_b32_e32 v86, 0x7f800001
	s_xor_b32 exec_lo, exec_lo, s16
	s_cbranch_execz .LBB6_2181
.LBB6_3065:                             ;   in Loop: Header=BB6_356 Depth=4
	v_cmp_ne_u16_e32 vcc_lo, 0, v87
	v_mov_b32_e32 v86, 0
	s_andn2_b32 s72, s72, exec_lo
	s_and_b32 s73, vcc_lo, exec_lo
	s_or_b32 s72, s72, s73
	s_or_b32 exec_lo, exec_lo, s16
	s_and_saveexec_b32 s16, s72
	s_cbranch_execnz .LBB6_2182
	s_branch .LBB6_2183
.LBB6_3066:                             ;   in Loop: Header=BB6_356 Depth=4
	s_or_saveexec_b32 s72, s72
	v_mov_b32_e32 v98, 0x7f800001
	s_xor_b32 exec_lo, exec_lo, s72
	s_cbranch_execz .LBB6_2197
.LBB6_3067:                             ;   in Loop: Header=BB6_356 Depth=4
	v_cmp_ne_u16_sdwa s73, v12, v2 src0_sel:BYTE_3 src1_sel:DWORD
	v_mov_b32_e32 v98, 0
	s_andn2_b32 s16, s16, exec_lo
	s_and_b32 s73, s73, exec_lo
	s_or_b32 s16, s16, s73
	s_or_b32 exec_lo, exec_lo, s72
	s_and_saveexec_b32 s72, s16
	s_cbranch_execnz .LBB6_2198
	s_branch .LBB6_2199
.LBB6_3068:                             ;   in Loop: Header=BB6_356 Depth=4
	s_or_saveexec_b32 s72, s72
	v_mov_b32_e32 v86, 0x7f800001
	s_xor_b32 exec_lo, exec_lo, s72
	s_cbranch_execz .LBB6_2203
.LBB6_3069:                             ;   in Loop: Header=BB6_356 Depth=4
	v_cmp_ne_u16_sdwa s73, v8, v2 src0_sel:BYTE_3 src1_sel:DWORD
	v_mov_b32_e32 v86, 0
	s_andn2_b32 s16, s16, exec_lo
	s_and_b32 s73, s73, exec_lo
	s_or_b32 s16, s16, s73
	s_or_b32 exec_lo, exec_lo, s72
	s_and_saveexec_b32 s72, s16
	s_cbranch_execnz .LBB6_2204
	s_branch .LBB6_2205
.LBB6_3070:                             ;   in Loop: Header=BB6_356 Depth=4
	s_or_saveexec_b32 s72, s72
	v_mov_b32_e32 v98, 0x7f800001
	s_xor_b32 exec_lo, exec_lo, s72
	s_cbranch_execz .LBB6_2211
.LBB6_3071:                             ;   in Loop: Header=BB6_356 Depth=4
	v_cmp_ne_u16_sdwa s73, v12, v2 src0_sel:BYTE_3 src1_sel:DWORD
	v_mov_b32_e32 v98, 0
	s_andn2_b32 s16, s16, exec_lo
	s_and_b32 s73, s73, exec_lo
	s_or_b32 s16, s16, s73
	s_or_b32 exec_lo, exec_lo, s72
	s_and_saveexec_b32 s72, s16
	s_cbranch_execnz .LBB6_2212
	s_branch .LBB6_2213
.LBB6_3072:                             ;   in Loop: Header=BB6_356 Depth=4
	s_or_saveexec_b32 s72, s72
	v_mov_b32_e32 v12, 0x7f800001
	s_xor_b32 exec_lo, exec_lo, s72
	s_cbranch_execz .LBB6_2217
.LBB6_3073:                             ;   in Loop: Header=BB6_356 Depth=4
	v_cmp_ne_u16_sdwa s73, v8, v2 src0_sel:BYTE_3 src1_sel:DWORD
	v_mov_b32_e32 v12, 0
	s_andn2_b32 s16, s16, exec_lo
	s_and_b32 s73, s73, exec_lo
	s_or_b32 s16, s16, s73
	s_or_b32 exec_lo, exec_lo, s72
	s_and_saveexec_b32 s72, s16
	s_cbranch_execnz .LBB6_2218
	s_branch .LBB6_2219
.LBB6_3074:                             ;   in Loop: Header=BB6_356 Depth=4
	s_or_saveexec_b32 s16, s16
	v_mov_b32_e32 v12, 0x7f800001
	s_xor_b32 exec_lo, exec_lo, s16
	s_cbranch_execz .LBB6_2233
.LBB6_3075:                             ;   in Loop: Header=BB6_356 Depth=4
	v_cmp_ne_u16_sdwa s73, v13, v2 src0_sel:BYTE_0 src1_sel:DWORD
	v_mov_b32_e32 v12, 0
	s_andn2_b32 s72, s72, exec_lo
	s_and_b32 s73, s73, exec_lo
	s_or_b32 s72, s72, s73
	s_or_b32 exec_lo, exec_lo, s16
	s_and_saveexec_b32 s16, s72
	s_cbranch_execnz .LBB6_2234
	s_branch .LBB6_2235
.LBB6_3076:                             ;   in Loop: Header=BB6_356 Depth=4
	s_or_saveexec_b32 s16, s16
	v_mov_b32_e32 v86, 0x7f800001
	s_xor_b32 exec_lo, exec_lo, s16
	s_cbranch_execz .LBB6_2239
.LBB6_3077:                             ;   in Loop: Header=BB6_356 Depth=4
	v_cmp_ne_u16_sdwa s73, v9, v2 src0_sel:BYTE_0 src1_sel:DWORD
	v_mov_b32_e32 v86, 0
	s_andn2_b32 s72, s72, exec_lo
	s_and_b32 s73, s73, exec_lo
	s_or_b32 s72, s72, s73
	s_or_b32 exec_lo, exec_lo, s16
	s_and_saveexec_b32 s16, s72
	s_cbranch_execnz .LBB6_2240
	s_branch .LBB6_2241
.LBB6_3078:                             ;   in Loop: Header=BB6_356 Depth=4
	s_or_saveexec_b32 s16, s16
	v_mov_b32_e32 v12, 0x7f800001
	s_xor_b32 exec_lo, exec_lo, s16
	s_cbranch_execz .LBB6_2247
.LBB6_3079:                             ;   in Loop: Header=BB6_356 Depth=4
	v_cmp_ne_u16_sdwa s73, v13, v2 src0_sel:BYTE_0 src1_sel:DWORD
	v_mov_b32_e32 v12, 0
	s_andn2_b32 s72, s72, exec_lo
	s_and_b32 s73, s73, exec_lo
	s_or_b32 s72, s72, s73
	s_or_b32 exec_lo, exec_lo, s16
	s_and_saveexec_b32 s16, s72
	s_cbranch_execnz .LBB6_2248
	s_branch .LBB6_2249
.LBB6_3080:                             ;   in Loop: Header=BB6_356 Depth=4
	s_or_saveexec_b32 s16, s16
	v_mov_b32_e32 v86, 0x7f800001
	s_xor_b32 exec_lo, exec_lo, s16
	s_cbranch_execz .LBB6_2253
.LBB6_3081:                             ;   in Loop: Header=BB6_356 Depth=4
	v_cmp_ne_u16_sdwa s73, v9, v2 src0_sel:BYTE_0 src1_sel:DWORD
	v_mov_b32_e32 v86, 0
	s_andn2_b32 s72, s72, exec_lo
	s_and_b32 s73, s73, exec_lo
	s_or_b32 s72, s72, s73
	s_or_b32 exec_lo, exec_lo, s16
	s_and_saveexec_b32 s16, s72
	s_cbranch_execnz .LBB6_2254
	s_branch .LBB6_2255
.LBB6_3082:                             ;   in Loop: Header=BB6_356 Depth=4
	s_or_saveexec_b32 s72, s72
	v_mov_b32_e32 v98, 0x7f800001
	s_xor_b32 exec_lo, exec_lo, s72
	s_cbranch_execz .LBB6_2269
.LBB6_3083:                             ;   in Loop: Header=BB6_356 Depth=4
	v_cmp_ne_u16_sdwa s73, v13, v2 src0_sel:BYTE_1 src1_sel:DWORD
	v_mov_b32_e32 v98, 0
	s_andn2_b32 s16, s16, exec_lo
	s_and_b32 s73, s73, exec_lo
	s_or_b32 s16, s16, s73
	s_or_b32 exec_lo, exec_lo, s72
	s_and_saveexec_b32 s72, s16
	s_cbranch_execnz .LBB6_2270
	s_branch .LBB6_2271
.LBB6_3084:                             ;   in Loop: Header=BB6_356 Depth=4
	s_or_saveexec_b32 s72, s72
	v_mov_b32_e32 v86, 0x7f800001
	s_xor_b32 exec_lo, exec_lo, s72
	s_cbranch_execz .LBB6_2275
.LBB6_3085:                             ;   in Loop: Header=BB6_356 Depth=4
	v_cmp_ne_u16_sdwa s73, v9, v2 src0_sel:BYTE_1 src1_sel:DWORD
	v_mov_b32_e32 v86, 0
	s_andn2_b32 s16, s16, exec_lo
	s_and_b32 s73, s73, exec_lo
	s_or_b32 s16, s16, s73
	s_or_b32 exec_lo, exec_lo, s72
	s_and_saveexec_b32 s72, s16
	s_cbranch_execnz .LBB6_2276
	s_branch .LBB6_2277
.LBB6_3086:                             ;   in Loop: Header=BB6_356 Depth=4
	s_or_saveexec_b32 s72, s72
	v_mov_b32_e32 v98, 0x7f800001
	s_xor_b32 exec_lo, exec_lo, s72
	s_cbranch_execz .LBB6_2283
.LBB6_3087:                             ;   in Loop: Header=BB6_356 Depth=4
	v_cmp_ne_u16_sdwa s73, v13, v2 src0_sel:BYTE_1 src1_sel:DWORD
	v_mov_b32_e32 v98, 0
	s_andn2_b32 s16, s16, exec_lo
	s_and_b32 s73, s73, exec_lo
	s_or_b32 s16, s16, s73
	s_or_b32 exec_lo, exec_lo, s72
	s_and_saveexec_b32 s72, s16
	s_cbranch_execnz .LBB6_2284
	s_branch .LBB6_2285
.LBB6_3088:                             ;   in Loop: Header=BB6_356 Depth=4
	s_or_saveexec_b32 s72, s72
	v_mov_b32_e32 v86, 0x7f800001
	s_xor_b32 exec_lo, exec_lo, s72
	s_cbranch_execz .LBB6_2289
.LBB6_3089:                             ;   in Loop: Header=BB6_356 Depth=4
	v_cmp_ne_u16_sdwa s73, v9, v2 src0_sel:BYTE_1 src1_sel:DWORD
	v_mov_b32_e32 v86, 0
	s_andn2_b32 s16, s16, exec_lo
	s_and_b32 s73, s73, exec_lo
	s_or_b32 s16, s16, s73
	s_or_b32 exec_lo, exec_lo, s72
	s_and_saveexec_b32 s72, s16
	s_cbranch_execnz .LBB6_2290
	s_branch .LBB6_2291
.LBB6_3090:                             ;   in Loop: Header=BB6_356 Depth=4
	s_or_saveexec_b32 s16, s16
	v_mov_b32_e32 v99, 0x7f800001
	s_xor_b32 exec_lo, exec_lo, s16
	s_cbranch_execz .LBB6_2305
.LBB6_3091:                             ;   in Loop: Header=BB6_356 Depth=4
	v_cmp_ne_u16_e32 vcc_lo, 0, v98
	v_mov_b32_e32 v99, 0
	s_andn2_b32 s72, s72, exec_lo
	s_and_b32 s73, vcc_lo, exec_lo
	s_or_b32 s72, s72, s73
	s_or_b32 exec_lo, exec_lo, s16
	s_and_saveexec_b32 s16, s72
	s_cbranch_execnz .LBB6_2306
	s_branch .LBB6_2307
.LBB6_3092:                             ;   in Loop: Header=BB6_356 Depth=4
	s_or_saveexec_b32 s16, s16
	v_mov_b32_e32 v86, 0x7f800001
	s_xor_b32 exec_lo, exec_lo, s16
	s_cbranch_execz .LBB6_2311
.LBB6_3093:                             ;   in Loop: Header=BB6_356 Depth=4
	v_cmp_ne_u16_e32 vcc_lo, 0, v87
	v_mov_b32_e32 v86, 0
	s_andn2_b32 s72, s72, exec_lo
	s_and_b32 s73, vcc_lo, exec_lo
	s_or_b32 s72, s72, s73
	s_or_b32 exec_lo, exec_lo, s16
	s_and_saveexec_b32 s16, s72
	s_cbranch_execnz .LBB6_2312
	s_branch .LBB6_2313
.LBB6_3094:                             ;   in Loop: Header=BB6_356 Depth=4
	s_or_saveexec_b32 s16, s16
	v_mov_b32_e32 v99, 0x7f800001
	s_xor_b32 exec_lo, exec_lo, s16
	s_cbranch_execz .LBB6_2319
.LBB6_3095:                             ;   in Loop: Header=BB6_356 Depth=4
	v_cmp_ne_u16_e32 vcc_lo, 0, v98
	v_mov_b32_e32 v99, 0
	s_andn2_b32 s72, s72, exec_lo
	s_and_b32 s73, vcc_lo, exec_lo
	s_or_b32 s72, s72, s73
	s_or_b32 exec_lo, exec_lo, s16
	s_and_saveexec_b32 s16, s72
	s_cbranch_execnz .LBB6_2320
	s_branch .LBB6_2321
.LBB6_3096:                             ;   in Loop: Header=BB6_356 Depth=4
	s_or_saveexec_b32 s16, s16
	v_mov_b32_e32 v86, 0x7f800001
	s_xor_b32 exec_lo, exec_lo, s16
	s_cbranch_execz .LBB6_2325
.LBB6_3097:                             ;   in Loop: Header=BB6_356 Depth=4
	v_cmp_ne_u16_e32 vcc_lo, 0, v87
	v_mov_b32_e32 v86, 0
	s_andn2_b32 s72, s72, exec_lo
	s_and_b32 s73, vcc_lo, exec_lo
	s_or_b32 s72, s72, s73
	s_or_b32 exec_lo, exec_lo, s16
	s_and_saveexec_b32 s16, s72
	s_cbranch_execnz .LBB6_2326
	s_branch .LBB6_2327
.LBB6_3098:                             ;   in Loop: Header=BB6_356 Depth=4
	s_or_saveexec_b32 s72, s72
	v_mov_b32_e32 v99, 0x7f800001
	s_xor_b32 exec_lo, exec_lo, s72
	s_cbranch_execz .LBB6_2341
.LBB6_3099:                             ;   in Loop: Header=BB6_356 Depth=4
	v_cmp_ne_u16_sdwa s73, v13, v2 src0_sel:BYTE_3 src1_sel:DWORD
	v_mov_b32_e32 v99, 0
	s_andn2_b32 s16, s16, exec_lo
	s_and_b32 s73, s73, exec_lo
	s_or_b32 s16, s16, s73
	s_or_b32 exec_lo, exec_lo, s72
	s_and_saveexec_b32 s72, s16
	s_cbranch_execnz .LBB6_2342
	s_branch .LBB6_2343
.LBB6_3100:                             ;   in Loop: Header=BB6_356 Depth=4
	s_or_saveexec_b32 s72, s72
	v_mov_b32_e32 v86, 0x7f800001
	s_xor_b32 exec_lo, exec_lo, s72
	s_cbranch_execz .LBB6_2347
.LBB6_3101:                             ;   in Loop: Header=BB6_356 Depth=4
	v_cmp_ne_u16_sdwa s73, v9, v2 src0_sel:BYTE_3 src1_sel:DWORD
	v_mov_b32_e32 v86, 0
	s_andn2_b32 s16, s16, exec_lo
	s_and_b32 s73, s73, exec_lo
	s_or_b32 s16, s16, s73
	s_or_b32 exec_lo, exec_lo, s72
	s_and_saveexec_b32 s72, s16
	s_cbranch_execnz .LBB6_2348
	s_branch .LBB6_2349
.LBB6_3102:                             ;   in Loop: Header=BB6_356 Depth=4
	s_or_saveexec_b32 s72, s72
	v_mov_b32_e32 v99, 0x7f800001
	s_xor_b32 exec_lo, exec_lo, s72
	s_cbranch_execz .LBB6_2355
.LBB6_3103:                             ;   in Loop: Header=BB6_356 Depth=4
	v_cmp_ne_u16_sdwa s73, v13, v2 src0_sel:BYTE_3 src1_sel:DWORD
	v_mov_b32_e32 v99, 0
	s_andn2_b32 s16, s16, exec_lo
	s_and_b32 s73, s73, exec_lo
	s_or_b32 s16, s16, s73
	s_or_b32 exec_lo, exec_lo, s72
	s_and_saveexec_b32 s72, s16
	s_cbranch_execnz .LBB6_2356
	s_branch .LBB6_2357
.LBB6_3104:                             ;   in Loop: Header=BB6_356 Depth=4
	s_or_saveexec_b32 s72, s72
	v_mov_b32_e32 v13, 0x7f800001
	s_xor_b32 exec_lo, exec_lo, s72
	s_cbranch_execz .LBB6_2361
.LBB6_3105:                             ;   in Loop: Header=BB6_356 Depth=4
	v_cmp_ne_u16_sdwa s73, v9, v2 src0_sel:BYTE_3 src1_sel:DWORD
	v_mov_b32_e32 v13, 0
	s_andn2_b32 s16, s16, exec_lo
	s_and_b32 s73, s73, exec_lo
	s_or_b32 s16, s16, s73
	s_or_b32 exec_lo, exec_lo, s72
	s_and_saveexec_b32 s72, s16
	s_cbranch_execnz .LBB6_2362
	s_branch .LBB6_2363
.LBB6_3106:                             ;   in Loop: Header=BB6_356 Depth=4
	s_or_saveexec_b32 s16, s16
	v_mov_b32_e32 v13, 0x7f800001
	s_xor_b32 exec_lo, exec_lo, s16
	s_cbranch_execz .LBB6_2377
.LBB6_3107:                             ;   in Loop: Header=BB6_356 Depth=4
	v_cmp_ne_u16_sdwa s73, v14, v2 src0_sel:BYTE_0 src1_sel:DWORD
	v_mov_b32_e32 v13, 0
	s_andn2_b32 s72, s72, exec_lo
	s_and_b32 s73, s73, exec_lo
	s_or_b32 s72, s72, s73
	s_or_b32 exec_lo, exec_lo, s16
	s_and_saveexec_b32 s16, s72
	s_cbranch_execnz .LBB6_2378
	s_branch .LBB6_2379
.LBB6_3108:                             ;   in Loop: Header=BB6_356 Depth=4
	s_or_saveexec_b32 s16, s16
	v_mov_b32_e32 v86, 0x7f800001
	s_xor_b32 exec_lo, exec_lo, s16
	s_cbranch_execz .LBB6_2383
.LBB6_3109:                             ;   in Loop: Header=BB6_356 Depth=4
	v_cmp_ne_u16_sdwa s73, v10, v2 src0_sel:BYTE_0 src1_sel:DWORD
	v_mov_b32_e32 v86, 0
	s_andn2_b32 s72, s72, exec_lo
	s_and_b32 s73, s73, exec_lo
	s_or_b32 s72, s72, s73
	s_or_b32 exec_lo, exec_lo, s16
	s_and_saveexec_b32 s16, s72
	s_cbranch_execnz .LBB6_2384
	s_branch .LBB6_2385
.LBB6_3110:                             ;   in Loop: Header=BB6_356 Depth=4
	s_or_saveexec_b32 s16, s16
	v_mov_b32_e32 v13, 0x7f800001
	s_xor_b32 exec_lo, exec_lo, s16
	s_cbranch_execz .LBB6_2391
.LBB6_3111:                             ;   in Loop: Header=BB6_356 Depth=4
	v_cmp_ne_u16_sdwa s73, v14, v2 src0_sel:BYTE_0 src1_sel:DWORD
	v_mov_b32_e32 v13, 0
	s_andn2_b32 s72, s72, exec_lo
	s_and_b32 s73, s73, exec_lo
	s_or_b32 s72, s72, s73
	s_or_b32 exec_lo, exec_lo, s16
	s_and_saveexec_b32 s16, s72
	s_cbranch_execnz .LBB6_2392
	s_branch .LBB6_2393
.LBB6_3112:                             ;   in Loop: Header=BB6_356 Depth=4
	s_or_saveexec_b32 s16, s16
	v_mov_b32_e32 v86, 0x7f800001
	s_xor_b32 exec_lo, exec_lo, s16
	s_cbranch_execz .LBB6_2397
.LBB6_3113:                             ;   in Loop: Header=BB6_356 Depth=4
	v_cmp_ne_u16_sdwa s73, v10, v2 src0_sel:BYTE_0 src1_sel:DWORD
	v_mov_b32_e32 v86, 0
	s_andn2_b32 s72, s72, exec_lo
	s_and_b32 s73, s73, exec_lo
	s_or_b32 s72, s72, s73
	s_or_b32 exec_lo, exec_lo, s16
	s_and_saveexec_b32 s16, s72
	s_cbranch_execnz .LBB6_2398
	s_branch .LBB6_2399
.LBB6_3114:                             ;   in Loop: Header=BB6_356 Depth=4
	s_or_saveexec_b32 s72, s72
	v_mov_b32_e32 v99, 0x7f800001
	s_xor_b32 exec_lo, exec_lo, s72
	s_cbranch_execz .LBB6_2413
.LBB6_3115:                             ;   in Loop: Header=BB6_356 Depth=4
	v_cmp_ne_u16_sdwa s73, v14, v2 src0_sel:BYTE_1 src1_sel:DWORD
	v_mov_b32_e32 v99, 0
	s_andn2_b32 s16, s16, exec_lo
	s_and_b32 s73, s73, exec_lo
	s_or_b32 s16, s16, s73
	s_or_b32 exec_lo, exec_lo, s72
	s_and_saveexec_b32 s72, s16
	s_cbranch_execnz .LBB6_2414
	s_branch .LBB6_2415
.LBB6_3116:                             ;   in Loop: Header=BB6_356 Depth=4
	s_or_saveexec_b32 s72, s72
	v_mov_b32_e32 v86, 0x7f800001
	s_xor_b32 exec_lo, exec_lo, s72
	s_cbranch_execz .LBB6_2419
.LBB6_3117:                             ;   in Loop: Header=BB6_356 Depth=4
	v_cmp_ne_u16_sdwa s73, v10, v2 src0_sel:BYTE_1 src1_sel:DWORD
	v_mov_b32_e32 v86, 0
	s_andn2_b32 s16, s16, exec_lo
	s_and_b32 s73, s73, exec_lo
	s_or_b32 s16, s16, s73
	s_or_b32 exec_lo, exec_lo, s72
	s_and_saveexec_b32 s72, s16
	s_cbranch_execnz .LBB6_2420
	s_branch .LBB6_2421
.LBB6_3118:                             ;   in Loop: Header=BB6_356 Depth=4
	s_or_saveexec_b32 s72, s72
	v_mov_b32_e32 v99, 0x7f800001
	s_xor_b32 exec_lo, exec_lo, s72
	s_cbranch_execz .LBB6_2427
.LBB6_3119:                             ;   in Loop: Header=BB6_356 Depth=4
	v_cmp_ne_u16_sdwa s73, v14, v2 src0_sel:BYTE_1 src1_sel:DWORD
	v_mov_b32_e32 v99, 0
	s_andn2_b32 s16, s16, exec_lo
	s_and_b32 s73, s73, exec_lo
	s_or_b32 s16, s16, s73
	s_or_b32 exec_lo, exec_lo, s72
	s_and_saveexec_b32 s72, s16
	s_cbranch_execnz .LBB6_2428
	s_branch .LBB6_2429
.LBB6_3120:                             ;   in Loop: Header=BB6_356 Depth=4
	s_or_saveexec_b32 s72, s72
	v_mov_b32_e32 v86, 0x7f800001
	s_xor_b32 exec_lo, exec_lo, s72
	s_cbranch_execz .LBB6_2433
.LBB6_3121:                             ;   in Loop: Header=BB6_356 Depth=4
	v_cmp_ne_u16_sdwa s73, v10, v2 src0_sel:BYTE_1 src1_sel:DWORD
	v_mov_b32_e32 v86, 0
	s_andn2_b32 s16, s16, exec_lo
	s_and_b32 s73, s73, exec_lo
	s_or_b32 s16, s16, s73
	s_or_b32 exec_lo, exec_lo, s72
	s_and_saveexec_b32 s72, s16
	s_cbranch_execnz .LBB6_2434
	s_branch .LBB6_2435
.LBB6_3122:                             ;   in Loop: Header=BB6_356 Depth=4
	s_or_saveexec_b32 s16, s16
	v_mov_b32_e32 v60, 0x7f800001
	s_xor_b32 exec_lo, exec_lo, s16
	s_cbranch_execz .LBB6_2449
.LBB6_3123:                             ;   in Loop: Header=BB6_356 Depth=4
	v_cmp_ne_u16_e32 vcc_lo, 0, v46
	v_mov_b32_e32 v60, 0
	s_andn2_b32 s72, s72, exec_lo
	s_and_b32 s73, vcc_lo, exec_lo
	s_or_b32 s72, s72, s73
	s_or_b32 exec_lo, exec_lo, s16
	s_and_saveexec_b32 s16, s72
	s_cbranch_execnz .LBB6_2450
	s_branch .LBB6_2451
.LBB6_3124:                             ;   in Loop: Header=BB6_356 Depth=4
	s_or_saveexec_b32 s16, s16
	v_mov_b32_e32 v86, 0x7f800001
	s_xor_b32 exec_lo, exec_lo, s16
	s_cbranch_execz .LBB6_2455
.LBB6_3125:                             ;   in Loop: Header=BB6_356 Depth=4
	v_cmp_ne_u16_e32 vcc_lo, 0, v87
	v_mov_b32_e32 v86, 0
	s_andn2_b32 s72, s72, exec_lo
	s_and_b32 s73, vcc_lo, exec_lo
	s_or_b32 s72, s72, s73
	s_or_b32 exec_lo, exec_lo, s16
	s_and_saveexec_b32 s16, s72
	s_cbranch_execnz .LBB6_2456
	s_branch .LBB6_2457
.LBB6_3126:                             ;   in Loop: Header=BB6_356 Depth=4
	s_or_saveexec_b32 s16, s16
	v_mov_b32_e32 v60, 0x7f800001
	s_xor_b32 exec_lo, exec_lo, s16
	s_cbranch_execz .LBB6_2463
.LBB6_3127:                             ;   in Loop: Header=BB6_356 Depth=4
	v_cmp_ne_u16_e32 vcc_lo, 0, v46
	v_mov_b32_e32 v60, 0
	s_andn2_b32 s72, s72, exec_lo
	s_and_b32 s73, vcc_lo, exec_lo
	s_or_b32 s72, s72, s73
	s_or_b32 exec_lo, exec_lo, s16
	s_and_saveexec_b32 s16, s72
	s_cbranch_execnz .LBB6_2464
	s_branch .LBB6_2465
.LBB6_3128:                             ;   in Loop: Header=BB6_356 Depth=4
	s_or_saveexec_b32 s16, s16
	v_mov_b32_e32 v86, 0x7f800001
	s_xor_b32 exec_lo, exec_lo, s16
	s_cbranch_execz .LBB6_2469
.LBB6_3129:                             ;   in Loop: Header=BB6_356 Depth=4
	v_cmp_ne_u16_e32 vcc_lo, 0, v87
	v_mov_b32_e32 v86, 0
	s_andn2_b32 s72, s72, exec_lo
	s_and_b32 s73, vcc_lo, exec_lo
	s_or_b32 s72, s72, s73
	s_or_b32 exec_lo, exec_lo, s16
	s_and_saveexec_b32 s16, s72
	s_cbranch_execnz .LBB6_2470
	s_branch .LBB6_2471
.LBB6_3130:                             ;   in Loop: Header=BB6_356 Depth=4
	s_or_saveexec_b32 s72, s72
	v_mov_b32_e32 v46, 0x7f800001
	s_xor_b32 exec_lo, exec_lo, s72
	s_cbranch_execz .LBB6_2485
.LBB6_3131:                             ;   in Loop: Header=BB6_356 Depth=4
	v_cmp_ne_u16_sdwa s73, v14, v2 src0_sel:BYTE_3 src1_sel:DWORD
	v_mov_b32_e32 v46, 0
	s_andn2_b32 s16, s16, exec_lo
	s_and_b32 s73, s73, exec_lo
	s_or_b32 s16, s16, s73
	s_or_b32 exec_lo, exec_lo, s72
	s_and_saveexec_b32 s72, s16
	s_cbranch_execnz .LBB6_2486
	s_branch .LBB6_2487
.LBB6_3132:                             ;   in Loop: Header=BB6_356 Depth=4
	s_or_saveexec_b32 s72, s72
	v_mov_b32_e32 v86, 0x7f800001
	s_xor_b32 exec_lo, exec_lo, s72
	s_cbranch_execz .LBB6_2491
.LBB6_3133:                             ;   in Loop: Header=BB6_356 Depth=4
	v_cmp_ne_u16_sdwa s73, v10, v2 src0_sel:BYTE_3 src1_sel:DWORD
	v_mov_b32_e32 v86, 0
	s_andn2_b32 s16, s16, exec_lo
	s_and_b32 s73, s73, exec_lo
	s_or_b32 s16, s16, s73
	s_or_b32 exec_lo, exec_lo, s72
	s_and_saveexec_b32 s72, s16
	s_cbranch_execnz .LBB6_2492
	s_branch .LBB6_2493
.LBB6_3134:                             ;   in Loop: Header=BB6_356 Depth=4
	s_or_saveexec_b32 s72, s72
	v_mov_b32_e32 v46, 0x7f800001
	s_xor_b32 exec_lo, exec_lo, s72
	s_cbranch_execz .LBB6_2499
.LBB6_3135:                             ;   in Loop: Header=BB6_356 Depth=4
	v_cmp_ne_u16_sdwa s73, v14, v2 src0_sel:BYTE_3 src1_sel:DWORD
	v_mov_b32_e32 v46, 0
	s_andn2_b32 s16, s16, exec_lo
	s_and_b32 s73, s73, exec_lo
	s_or_b32 s16, s16, s73
	s_or_b32 exec_lo, exec_lo, s72
	s_and_saveexec_b32 s72, s16
	s_cbranch_execnz .LBB6_2500
	s_branch .LBB6_2501
.LBB6_3136:                             ;   in Loop: Header=BB6_356 Depth=4
	s_or_saveexec_b32 s72, s72
	v_mov_b32_e32 v14, 0x7f800001
	s_xor_b32 exec_lo, exec_lo, s72
	s_cbranch_execz .LBB6_2505
.LBB6_3137:                             ;   in Loop: Header=BB6_356 Depth=4
	v_cmp_ne_u16_sdwa s73, v10, v2 src0_sel:BYTE_3 src1_sel:DWORD
	v_mov_b32_e32 v14, 0
	s_andn2_b32 s16, s16, exec_lo
	s_and_b32 s73, s73, exec_lo
	s_or_b32 s16, s16, s73
	s_or_b32 exec_lo, exec_lo, s72
	s_and_saveexec_b32 s72, s16
	s_cbranch_execnz .LBB6_2506
	s_branch .LBB6_2507
.LBB6_3138:                             ;   in Loop: Header=BB6_356 Depth=4
	s_or_saveexec_b32 s16, s16
	v_mov_b32_e32 v14, 0x7f800001
	s_xor_b32 exec_lo, exec_lo, s16
	s_cbranch_execz .LBB6_2521
.LBB6_3139:                             ;   in Loop: Header=BB6_356 Depth=4
	v_cmp_ne_u16_sdwa s73, v15, v2 src0_sel:BYTE_0 src1_sel:DWORD
	v_mov_b32_e32 v14, 0
	s_andn2_b32 s72, s72, exec_lo
	s_and_b32 s73, s73, exec_lo
	s_or_b32 s72, s72, s73
	s_or_b32 exec_lo, exec_lo, s16
	s_and_saveexec_b32 s16, s72
	s_cbranch_execnz .LBB6_2522
	s_branch .LBB6_2523
.LBB6_3140:                             ;   in Loop: Header=BB6_356 Depth=4
	s_or_saveexec_b32 s16, s16
	v_mov_b32_e32 v86, 0x7f800001
	s_xor_b32 exec_lo, exec_lo, s16
	s_cbranch_execz .LBB6_2527
.LBB6_3141:                             ;   in Loop: Header=BB6_356 Depth=4
	v_cmp_ne_u16_sdwa s73, v11, v2 src0_sel:BYTE_0 src1_sel:DWORD
	v_mov_b32_e32 v86, 0
	s_andn2_b32 s72, s72, exec_lo
	s_and_b32 s73, s73, exec_lo
	s_or_b32 s72, s72, s73
	s_or_b32 exec_lo, exec_lo, s16
	s_and_saveexec_b32 s16, s72
	s_cbranch_execnz .LBB6_2528
	s_branch .LBB6_2529
.LBB6_3142:                             ;   in Loop: Header=BB6_356 Depth=4
	s_or_saveexec_b32 s16, s16
	v_mov_b32_e32 v14, 0x7f800001
	s_xor_b32 exec_lo, exec_lo, s16
	s_cbranch_execz .LBB6_2535
.LBB6_3143:                             ;   in Loop: Header=BB6_356 Depth=4
	v_cmp_ne_u16_sdwa s73, v15, v2 src0_sel:BYTE_0 src1_sel:DWORD
	v_mov_b32_e32 v14, 0
	s_andn2_b32 s72, s72, exec_lo
	s_and_b32 s73, s73, exec_lo
	s_or_b32 s72, s72, s73
	s_or_b32 exec_lo, exec_lo, s16
	s_and_saveexec_b32 s16, s72
	s_cbranch_execnz .LBB6_2536
	s_branch .LBB6_2537
.LBB6_3144:                             ;   in Loop: Header=BB6_356 Depth=4
	s_or_saveexec_b32 s16, s16
	v_mov_b32_e32 v86, 0x7f800001
	s_xor_b32 exec_lo, exec_lo, s16
	s_cbranch_execz .LBB6_2541
.LBB6_3145:                             ;   in Loop: Header=BB6_356 Depth=4
	v_cmp_ne_u16_sdwa s73, v11, v2 src0_sel:BYTE_0 src1_sel:DWORD
	v_mov_b32_e32 v86, 0
	s_andn2_b32 s72, s72, exec_lo
	s_and_b32 s73, s73, exec_lo
	s_or_b32 s72, s72, s73
	s_or_b32 exec_lo, exec_lo, s16
	s_and_saveexec_b32 s16, s72
	s_cbranch_execnz .LBB6_2542
	s_branch .LBB6_2543
.LBB6_3146:                             ;   in Loop: Header=BB6_356 Depth=4
	s_or_saveexec_b32 s72, s72
	v_mov_b32_e32 v46, 0x7f800001
	s_xor_b32 exec_lo, exec_lo, s72
	s_cbranch_execz .LBB6_2557
.LBB6_3147:                             ;   in Loop: Header=BB6_356 Depth=4
	v_cmp_ne_u16_sdwa s73, v15, v2 src0_sel:BYTE_1 src1_sel:DWORD
	v_mov_b32_e32 v46, 0
	s_andn2_b32 s16, s16, exec_lo
	s_and_b32 s73, s73, exec_lo
	s_or_b32 s16, s16, s73
	s_or_b32 exec_lo, exec_lo, s72
	s_and_saveexec_b32 s72, s16
	s_cbranch_execnz .LBB6_2558
	s_branch .LBB6_2559
.LBB6_3148:                             ;   in Loop: Header=BB6_356 Depth=4
	s_or_saveexec_b32 s72, s72
	v_mov_b32_e32 v86, 0x7f800001
	s_xor_b32 exec_lo, exec_lo, s72
	s_cbranch_execz .LBB6_2563
.LBB6_3149:                             ;   in Loop: Header=BB6_356 Depth=4
	v_cmp_ne_u16_sdwa s73, v11, v2 src0_sel:BYTE_1 src1_sel:DWORD
	v_mov_b32_e32 v86, 0
	s_andn2_b32 s16, s16, exec_lo
	s_and_b32 s73, s73, exec_lo
	s_or_b32 s16, s16, s73
	s_or_b32 exec_lo, exec_lo, s72
	s_and_saveexec_b32 s72, s16
	s_cbranch_execnz .LBB6_2564
	s_branch .LBB6_2565
.LBB6_3150:                             ;   in Loop: Header=BB6_356 Depth=4
	s_or_saveexec_b32 s72, s72
	v_mov_b32_e32 v46, 0x7f800001
	s_xor_b32 exec_lo, exec_lo, s72
	s_cbranch_execz .LBB6_2571
.LBB6_3151:                             ;   in Loop: Header=BB6_356 Depth=4
	v_cmp_ne_u16_sdwa s73, v15, v2 src0_sel:BYTE_1 src1_sel:DWORD
	v_mov_b32_e32 v46, 0
	s_andn2_b32 s16, s16, exec_lo
	s_and_b32 s73, s73, exec_lo
	s_or_b32 s16, s16, s73
	s_or_b32 exec_lo, exec_lo, s72
	s_and_saveexec_b32 s72, s16
	s_cbranch_execnz .LBB6_2572
	s_branch .LBB6_2573
.LBB6_3152:                             ;   in Loop: Header=BB6_356 Depth=4
	s_or_saveexec_b32 s72, s72
	v_mov_b32_e32 v86, 0x7f800001
	s_xor_b32 exec_lo, exec_lo, s72
	s_cbranch_execz .LBB6_2577
.LBB6_3153:                             ;   in Loop: Header=BB6_356 Depth=4
	v_cmp_ne_u16_sdwa s73, v11, v2 src0_sel:BYTE_1 src1_sel:DWORD
	v_mov_b32_e32 v86, 0
	s_andn2_b32 s16, s16, exec_lo
	s_and_b32 s73, s73, exec_lo
	s_or_b32 s16, s16, s73
	s_or_b32 exec_lo, exec_lo, s72
	s_and_saveexec_b32 s72, s16
	s_cbranch_execnz .LBB6_2578
	s_branch .LBB6_2579
.LBB6_3154:                             ;   in Loop: Header=BB6_356 Depth=4
	s_or_saveexec_b32 s16, s16
	v_mov_b32_e32 v60, 0x7f800001
	s_xor_b32 exec_lo, exec_lo, s16
	s_cbranch_execz .LBB6_2593
.LBB6_3155:                             ;   in Loop: Header=BB6_356 Depth=4
	v_cmp_ne_u16_e32 vcc_lo, 0, v46
	v_mov_b32_e32 v60, 0
	s_andn2_b32 s72, s72, exec_lo
	s_and_b32 s73, vcc_lo, exec_lo
	s_or_b32 s72, s72, s73
	s_or_b32 exec_lo, exec_lo, s16
	s_and_saveexec_b32 s16, s72
	s_cbranch_execnz .LBB6_2594
	s_branch .LBB6_2595
.LBB6_3156:                             ;   in Loop: Header=BB6_356 Depth=4
	s_or_saveexec_b32 s16, s16
	v_mov_b32_e32 v86, 0x7f800001
	s_xor_b32 exec_lo, exec_lo, s16
	s_cbranch_execz .LBB6_2599
.LBB6_3157:                             ;   in Loop: Header=BB6_356 Depth=4
	v_cmp_ne_u16_e32 vcc_lo, 0, v87
	v_mov_b32_e32 v86, 0
	s_andn2_b32 s72, s72, exec_lo
	s_and_b32 s73, vcc_lo, exec_lo
	s_or_b32 s72, s72, s73
	s_or_b32 exec_lo, exec_lo, s16
	s_and_saveexec_b32 s16, s72
	s_cbranch_execnz .LBB6_2600
	s_branch .LBB6_2601
.LBB6_3158:                             ;   in Loop: Header=BB6_356 Depth=4
	s_or_saveexec_b32 s16, s16
	v_mov_b32_e32 v60, 0x7f800001
	s_xor_b32 exec_lo, exec_lo, s16
	s_cbranch_execz .LBB6_2607
.LBB6_3159:                             ;   in Loop: Header=BB6_356 Depth=4
	v_cmp_ne_u16_e32 vcc_lo, 0, v46
	v_mov_b32_e32 v60, 0
	s_andn2_b32 s72, s72, exec_lo
	s_and_b32 s73, vcc_lo, exec_lo
	s_or_b32 s72, s72, s73
	s_or_b32 exec_lo, exec_lo, s16
	s_and_saveexec_b32 s16, s72
	s_cbranch_execnz .LBB6_2608
	s_branch .LBB6_2609
.LBB6_3160:                             ;   in Loop: Header=BB6_356 Depth=4
	s_or_saveexec_b32 s16, s16
	v_mov_b32_e32 v86, 0x7f800001
	s_xor_b32 exec_lo, exec_lo, s16
	s_cbranch_execz .LBB6_2613
.LBB6_3161:                             ;   in Loop: Header=BB6_356 Depth=4
	v_cmp_ne_u16_e32 vcc_lo, 0, v87
	v_mov_b32_e32 v86, 0
	s_andn2_b32 s72, s72, exec_lo
	s_and_b32 s73, vcc_lo, exec_lo
	s_or_b32 s72, s72, s73
	s_or_b32 exec_lo, exec_lo, s16
	s_and_saveexec_b32 s16, s72
	s_cbranch_execnz .LBB6_2614
	s_branch .LBB6_2615
.LBB6_3162:                             ;   in Loop: Header=BB6_356 Depth=4
	s_or_saveexec_b32 s72, s72
	v_mov_b32_e32 v60, 0x7f800001
	s_xor_b32 exec_lo, exec_lo, s72
	s_cbranch_execz .LBB6_2629
.LBB6_3163:                             ;   in Loop: Header=BB6_356 Depth=4
	v_cmp_ne_u16_sdwa s73, v15, v2 src0_sel:BYTE_3 src1_sel:DWORD
	v_mov_b32_e32 v60, 0
	s_andn2_b32 s16, s16, exec_lo
	s_and_b32 s73, s73, exec_lo
	s_or_b32 s16, s16, s73
	s_or_b32 exec_lo, exec_lo, s72
	s_and_saveexec_b32 s72, s16
	s_cbranch_execnz .LBB6_2630
	s_branch .LBB6_2631
.LBB6_3164:                             ;   in Loop: Header=BB6_356 Depth=4
	s_or_saveexec_b32 s72, s72
	v_mov_b32_e32 v86, 0x7f800001
	s_xor_b32 exec_lo, exec_lo, s72
	s_cbranch_execz .LBB6_2635
.LBB6_3165:                             ;   in Loop: Header=BB6_356 Depth=4
	v_cmp_ne_u16_sdwa s73, v11, v2 src0_sel:BYTE_3 src1_sel:DWORD
	v_mov_b32_e32 v86, 0
	s_andn2_b32 s16, s16, exec_lo
	s_and_b32 s73, s73, exec_lo
	s_or_b32 s16, s16, s73
	s_or_b32 exec_lo, exec_lo, s72
	s_and_saveexec_b32 s72, s16
	s_cbranch_execnz .LBB6_2636
	s_branch .LBB6_2637
.LBB6_3166:                             ;   in Loop: Header=BB6_356 Depth=4
	s_or_saveexec_b32 s72, s72
	v_mov_b32_e32 v60, 0x7f800001
	s_xor_b32 exec_lo, exec_lo, s72
	s_cbranch_execz .LBB6_2643
.LBB6_3167:                             ;   in Loop: Header=BB6_356 Depth=4
	v_cmp_ne_u16_sdwa s73, v15, v2 src0_sel:BYTE_3 src1_sel:DWORD
	v_mov_b32_e32 v60, 0
	s_andn2_b32 s16, s16, exec_lo
	s_and_b32 s73, s73, exec_lo
	s_or_b32 s16, s16, s73
	s_or_b32 exec_lo, exec_lo, s72
	s_and_saveexec_b32 s72, s16
	s_cbranch_execnz .LBB6_2644
	s_branch .LBB6_2645
.LBB6_3168:                             ;   in Loop: Header=BB6_356 Depth=4
	s_or_saveexec_b32 s72, s72
	v_mov_b32_e32 v15, 0x7f800001
	s_xor_b32 exec_lo, exec_lo, s72
	s_cbranch_execz .LBB6_2649
.LBB6_3169:                             ;   in Loop: Header=BB6_356 Depth=4
	v_cmp_ne_u16_sdwa s73, v11, v2 src0_sel:BYTE_3 src1_sel:DWORD
	v_mov_b32_e32 v15, 0
	s_andn2_b32 s16, s16, exec_lo
	s_and_b32 s73, s73, exec_lo
	s_or_b32 s16, s16, s73
	s_or_b32 exec_lo, exec_lo, s72
	s_and_saveexec_b32 s72, s16
	s_cbranch_execnz .LBB6_2650
	s_branch .LBB6_2651
.LBB6_3170:                             ;   in Loop: Header=BB6_272 Depth=3
	s_or_b32 exec_lo, exec_lo, s62
.LBB6_3171:                             ;   in Loop: Header=BB6_272 Depth=3
	s_or_b32 exec_lo, exec_lo, s17
	v_lshlrev_b32_e32 v1, 11, v107
	v_mov_b32_e32 v4, 0
	s_mov_b32 s16, 0
	s_mov_b32 s62, exec_lo
                                        ; implicit-def: $vgpr5
                                        ; implicit-def: $vgpr14
	v_cmpx_ne_u32_e64 v3, v1
	s_cbranch_execz .LBB6_3881
; %bb.3172:                             ;   in Loop: Header=BB6_272 Depth=3
	v_lshlrev_b32_e32 v4, 5, v101
	v_and_b32_e32 v5, 31, v0
	v_sub_nc_u32_e32 v9, v3, v1
	s_mov_b32 s63, exec_lo
	v_sub_nc_u32_e32 v4, v5, v4
	v_ashrrev_i32_e32 v8, 31, v9
	v_ashrrev_i32_e32 v5, 31, v4
	v_lshrrev_b32_e32 v8, 23, v8
	v_lshrrev_b32_e32 v5, 27, v5
	v_add_nc_u32_e32 v8, v9, v8
	v_add_nc_u32_e32 v5, v4, v5
	v_ashrrev_i32_e32 v12, 9, v8
	v_and_b32_e32 v10, 0xffffffe0, v5
	v_sub_nc_u32_e32 v22, v4, v10
	v_and_b32_e32 v4, 0xfffffe00, v8
	v_ashrrev_i32_e32 v10, 5, v5
	v_lshlrev_b32_e32 v11, 4, v22
	v_sub_nc_u32_e32 v5, v9, v4
	v_lshl_add_u32 v8, v10, 9, v11
	v_cmp_lt_i32_e64 s16, 15, v5
	v_sub_nc_u32_e32 v24, v9, v8
	v_add_co_ci_u32_e64 v11, null, 0, v12, s16
	v_sub_nc_u32_e32 v23, v11, v10
	v_cmpx_lt_i32_e32 15, v24
	s_cbranch_execz .LBB6_3880
; %bb.3173:                             ;   in Loop: Header=BB6_272 Depth=3
	s_trap 2
	ds_read_b64 v[9:10], v0
	v_add_nc_u32_e32 v8, v8, v1
	s_bitcmp1_b32 s61, 0
	s_mov_b32 s72, 0
	s_cselect_b32 s73, -1, 0
	v_ashrrev_i32_e32 v11, 31, v8
	v_add_co_u32 v16, vcc_lo, v8, v112
	v_add_co_ci_u32_e64 v17, null, v11, v113, vcc_lo
	s_waitcnt lgkmcnt(0)
	v_add_co_u32 v18, vcc_lo, v9, v8
	v_add_co_ci_u32_e64 v19, null, v10, v11, vcc_lo
	v_add_co_u32 v20, vcc_lo, v8, v114
	v_add_co_ci_u32_e64 v21, null, v11, v115, vcc_lo
	s_branch .LBB6_3177
.LBB6_3174:                             ;   in Loop: Header=BB6_3177 Depth=4
	s_or_b32 exec_lo, exec_lo, s17
	v_lshrrev_b32_e32 v10, 20, v10
	v_min_i32_e32 v11, 15, v9
	v_cmp_gt_i32_e32 vcc_lo, 16, v9
	v_and_b32_sdwa v8, v8, v62 dst_sel:DWORD dst_unused:UNUSED_PAD src0_sel:BYTE_3 src1_sel:DWORD
	v_lshlrev_b32_e32 v11, 3, v11
	v_cndmask_b32_e32 v10, 7, v10, vcc_lo
	v_and_b32_e32 v11, 0xf8, v11
	v_and_b32_e32 v15, 7, v10
	v_or_b32_e32 v9, v9, v10
	v_or3_b32 v8, v8, v11, v15
	v_cmp_ne_u32_e32 vcc_lo, 0, v9
	v_lshlrev_b32_e32 v8, 8, v8
	v_cndmask_b32_e32 v9, 0, v8, vcc_lo
.LBB6_3175:                             ;   in Loop: Header=BB6_3177 Depth=4
	s_or_b32 exec_lo, exec_lo, s75
.LBB6_3176:                             ;   in Loop: Header=BB6_3177 Depth=4
	s_or_b32 exec_lo, exec_lo, s74
	v_or_b32_sdwa v8, v13, v30 dst_sel:WORD_1 dst_unused:UNUSED_PAD src0_sel:DWORD src1_sel:DWORD
	v_or_b32_sdwa v10, v12, v27 dst_sel:WORD_1 dst_unused:UNUSED_PAD src0_sel:DWORD src1_sel:DWORD
	;; [unrolled: 1-line block ×4, first 2 shown]
	v_sub_nc_u32_e32 v24, v24, v76
	v_or3_b32 v9, v29, v28, v8
	v_or3_b32 v8, v26, v25, v10
	;; [unrolled: 1-line block ×4, first 2 shown]
	v_add_co_u32 v16, vcc_lo, v16, v76
	v_add_co_ci_u32_e64 v17, null, 0, v17, vcc_lo
	v_add_co_u32 v18, vcc_lo, v18, v76
	global_store_dwordx4 v[20:21], v[8:11], off glc slc
	v_add_co_ci_u32_e64 v19, null, 0, v19, vcc_lo
	v_cmp_gt_i32_e32 vcc_lo, 16, v24
	v_add_co_u32 v20, s17, v20, v76
	v_add_co_ci_u32_e64 v21, null, 0, v21, s17
	v_sub_nc_u32_e32 v23, v23, v47
	s_or_b32 s72, vcc_lo, s72
	s_andn2_b32 exec_lo, exec_lo, s72
	s_cbranch_execz .LBB6_3879
.LBB6_3177:                             ;   Parent Loop BB6_47 Depth=1
                                        ;     Parent Loop BB6_269 Depth=2
                                        ;       Parent Loop BB6_272 Depth=3
                                        ; =>      This Inner Loop Header: Depth=4
	global_load_dwordx4 v[8:11], v[18:19], off slc
	global_load_dwordx4 v[12:15], v[16:17], off slc
	s_mov_b32 s17, -1
	s_waitcnt vmcnt(1)
	v_and_b32_e32 v25, 7, v8
	v_bfe_u32 v28, v8, 3, 4
	v_lshlrev_b32_e32 v29, 24, v8
	s_waitcnt vmcnt(0)
	v_cmp_gt_i16_sdwa s74, v12, v61 src0_sel:BYTE_0 src1_sel:DWORD
	v_ffbh_u32_e32 v26, v25
	v_cmp_eq_u32_e32 vcc_lo, 0, v28
	v_min_u32_e32 v26, 32, v26
	v_subrev_nc_u32_e32 v27, 28, v26
	v_sub_nc_u32_e32 v26, 29, v26
	v_lshlrev_b32_e32 v27, v27, v8
	v_cndmask_b32_e32 v26, v28, v26, vcc_lo
	v_and_b32_e32 v27, 7, v27
	v_lshl_add_u32 v26, v26, 23, 0x3b800000
	v_cndmask_b32_e32 v25, v25, v27, vcc_lo
	v_and_b32_e32 v27, 0x80000000, v29
	s_and_b32 vcc_lo, exec_lo, s73
	v_lshlrev_b32_e32 v25, 20, v25
	v_or3_b32 v25, v27, v26, v25
                                        ; implicit-def: $vgpr26
	s_cbranch_vccz .LBB6_3191
; %bb.3178:                             ;   in Loop: Header=BB6_3177 Depth=4
	s_mov_b32 s17, 0
	s_and_saveexec_b32 s75, s74
	s_xor_b32 s74, exec_lo, s75
	s_cbranch_execz .LBB6_3751
; %bb.3179:                             ;   in Loop: Header=BB6_3177 Depth=4
	v_cmp_eq_u16_sdwa s76, v12, v62 src0_sel:BYTE_0 src1_sel:DWORD
	s_mov_b32 s17, -1
	s_and_saveexec_b32 s75, s76
; %bb.3180:                             ;   in Loop: Header=BB6_3177 Depth=4
	s_xor_b32 s17, exec_lo, -1
; %bb.3181:                             ;   in Loop: Header=BB6_3177 Depth=4
	s_or_b32 exec_lo, exec_lo, s75
	s_and_b32 s17, s17, exec_lo
	s_or_saveexec_b32 s74, s74
	v_mov_b32_e32 v26, 0x7f800001
	s_xor_b32 exec_lo, exec_lo, s74
	s_cbranch_execnz .LBB6_3752
.LBB6_3182:                             ;   in Loop: Header=BB6_3177 Depth=4
	s_or_b32 exec_lo, exec_lo, s74
	s_and_saveexec_b32 s74, s17
	s_cbranch_execz .LBB6_3184
.LBB6_3183:                             ;   in Loop: Header=BB6_3177 Depth=4
	v_and_b32_e32 v26, 7, v12
	v_bfe_u32 v29, v12, 3, 4
	v_lshlrev_b32_e32 v30, 24, v12
	v_ffbh_u32_e32 v27, v26
	v_cmp_eq_u32_e32 vcc_lo, 0, v29
	v_min_u32_e32 v27, 32, v27
	v_subrev_nc_u32_e32 v28, 28, v27
	v_sub_nc_u32_e32 v27, 29, v27
	v_lshlrev_b32_e32 v28, v28, v12
	v_cndmask_b32_e32 v27, v29, v27, vcc_lo
	v_and_b32_e32 v28, 7, v28
	v_lshl_add_u32 v27, v27, 23, 0x3b800000
	v_cndmask_b32_e32 v26, v26, v28, vcc_lo
	v_and_b32_e32 v28, 0x80000000, v30
	v_lshlrev_b32_e32 v26, 20, v26
	v_or3_b32 v26, v28, v27, v26
.LBB6_3184:                             ;   in Loop: Header=BB6_3177 Depth=4
	s_or_b32 exec_lo, exec_lo, s74
	v_cmp_gt_i16_sdwa s74, v8, v61 src0_sel:BYTE_0 src1_sel:DWORD
	s_mov_b32 s17, 0
	s_and_saveexec_b32 s75, s74
	s_xor_b32 s74, exec_lo, s75
	s_cbranch_execz .LBB6_3753
; %bb.3185:                             ;   in Loop: Header=BB6_3177 Depth=4
	v_cmp_eq_u16_sdwa s76, v8, v62 src0_sel:BYTE_0 src1_sel:DWORD
	s_mov_b32 s17, -1
	s_and_saveexec_b32 s75, s76
; %bb.3186:                             ;   in Loop: Header=BB6_3177 Depth=4
	s_xor_b32 s17, exec_lo, -1
; %bb.3187:                             ;   in Loop: Header=BB6_3177 Depth=4
	s_or_b32 exec_lo, exec_lo, s75
	s_and_b32 s17, s17, exec_lo
	s_or_saveexec_b32 s74, s74
	v_mov_b32_e32 v27, 0x7f800001
	s_xor_b32 exec_lo, exec_lo, s74
	s_cbranch_execnz .LBB6_3754
.LBB6_3188:                             ;   in Loop: Header=BB6_3177 Depth=4
	s_or_b32 exec_lo, exec_lo, s74
	s_and_saveexec_b32 s74, s17
.LBB6_3189:                             ;   in Loop: Header=BB6_3177 Depth=4
	v_mov_b32_e32 v27, v25
.LBB6_3190:                             ;   in Loop: Header=BB6_3177 Depth=4
	s_or_b32 exec_lo, exec_lo, s74
	v_max_f32_e32 v27, v27, v27
	v_max_f32_e32 v26, v26, v26
	s_mov_b32 s17, 0
	v_max_f32_e32 v26, v26, v27
.LBB6_3191:                             ;   in Loop: Header=BB6_3177 Depth=4
	s_and_b32 vcc_lo, exec_lo, s17
	s_cbranch_vccz .LBB6_3205
; %bb.3192:                             ;   in Loop: Header=BB6_3177 Depth=4
	v_cmp_gt_i16_sdwa s74, v12, v61 src0_sel:BYTE_0 src1_sel:DWORD
	s_mov_b32 s17, 0
	s_and_saveexec_b32 s75, s74
	s_xor_b32 s74, exec_lo, s75
	s_cbranch_execz .LBB6_3755
; %bb.3193:                             ;   in Loop: Header=BB6_3177 Depth=4
	v_cmp_eq_u16_sdwa s76, v12, v62 src0_sel:BYTE_0 src1_sel:DWORD
	s_mov_b32 s17, -1
	s_and_saveexec_b32 s75, s76
; %bb.3194:                             ;   in Loop: Header=BB6_3177 Depth=4
	s_xor_b32 s17, exec_lo, -1
; %bb.3195:                             ;   in Loop: Header=BB6_3177 Depth=4
	s_or_b32 exec_lo, exec_lo, s75
	s_and_b32 s17, s17, exec_lo
	s_or_saveexec_b32 s74, s74
	v_mov_b32_e32 v26, 0x7f800001
	s_xor_b32 exec_lo, exec_lo, s74
	s_cbranch_execnz .LBB6_3756
.LBB6_3196:                             ;   in Loop: Header=BB6_3177 Depth=4
	s_or_b32 exec_lo, exec_lo, s74
	s_and_saveexec_b32 s74, s17
	s_cbranch_execz .LBB6_3198
.LBB6_3197:                             ;   in Loop: Header=BB6_3177 Depth=4
	v_and_b32_e32 v26, 7, v12
	v_bfe_u32 v29, v12, 3, 4
	v_lshlrev_b32_e32 v30, 24, v12
	v_ffbh_u32_e32 v27, v26
	v_cmp_eq_u32_e32 vcc_lo, 0, v29
	v_min_u32_e32 v27, 32, v27
	v_subrev_nc_u32_e32 v28, 28, v27
	v_sub_nc_u32_e32 v27, 29, v27
	v_lshlrev_b32_e32 v28, v28, v12
	v_cndmask_b32_e32 v27, v29, v27, vcc_lo
	v_and_b32_e32 v28, 7, v28
	v_lshl_add_u32 v27, v27, 23, 0x3b800000
	v_cndmask_b32_e32 v26, v26, v28, vcc_lo
	v_and_b32_e32 v28, 0x80000000, v30
	v_lshlrev_b32_e32 v26, 20, v26
	v_or3_b32 v26, v28, v27, v26
.LBB6_3198:                             ;   in Loop: Header=BB6_3177 Depth=4
	s_or_b32 exec_lo, exec_lo, s74
	v_cmp_gt_i16_sdwa s74, v8, v61 src0_sel:BYTE_0 src1_sel:DWORD
	s_mov_b32 s17, 0
	s_and_saveexec_b32 s75, s74
	s_xor_b32 s74, exec_lo, s75
	s_cbranch_execz .LBB6_3757
; %bb.3199:                             ;   in Loop: Header=BB6_3177 Depth=4
	v_cmp_eq_u16_sdwa s76, v8, v62 src0_sel:BYTE_0 src1_sel:DWORD
	s_mov_b32 s17, -1
	s_and_saveexec_b32 s75, s76
; %bb.3200:                             ;   in Loop: Header=BB6_3177 Depth=4
	s_xor_b32 s17, exec_lo, -1
; %bb.3201:                             ;   in Loop: Header=BB6_3177 Depth=4
	s_or_b32 exec_lo, exec_lo, s75
	s_and_b32 s17, s17, exec_lo
	s_or_saveexec_b32 s74, s74
	v_mov_b32_e32 v27, 0x7f800001
	s_xor_b32 exec_lo, exec_lo, s74
	s_cbranch_execnz .LBB6_3758
.LBB6_3202:                             ;   in Loop: Header=BB6_3177 Depth=4
	s_or_b32 exec_lo, exec_lo, s74
	s_and_saveexec_b32 s74, s17
.LBB6_3203:                             ;   in Loop: Header=BB6_3177 Depth=4
	v_mov_b32_e32 v27, v25
.LBB6_3204:                             ;   in Loop: Header=BB6_3177 Depth=4
	s_or_b32 exec_lo, exec_lo, s74
	v_max_f32_e32 v25, v27, v27
	v_max_f32_e32 v26, v26, v26
	v_min_f32_e32 v26, v26, v25
.LBB6_3205:                             ;   in Loop: Header=BB6_3177 Depth=4
	v_and_b32_e32 v25, 0x7f800000, v26
	v_cmp_ne_u32_e32 vcc_lo, 0x7f800000, v25
	v_mov_b32_e32 v25, 0x80
	s_and_saveexec_b32 s74, vcc_lo
	s_cbranch_execz .LBB6_3213
; %bb.3206:                             ;   in Loop: Header=BB6_3177 Depth=4
	v_mov_b32_e32 v25, 0
	s_mov_b32 s75, exec_lo
	v_cmpx_ne_u32_e32 0, v26
	s_cbranch_execz .LBB6_3212
; %bb.3207:                             ;   in Loop: Header=BB6_3177 Depth=4
	v_bfe_u32 v25, v26, 23, 8
	v_and_b32_e32 v27, 0x7fffff, v26
	v_sub_nc_u32_e32 v28, 0x78, v25
	v_cmp_gt_u32_e32 vcc_lo, 0x79, v25
	v_or_b32_e32 v29, 0x800000, v27
	v_cndmask_b32_e32 v28, 0, v28, vcc_lo
	v_cmp_eq_u32_e32 vcc_lo, 0, v25
	v_add_nc_u32_e32 v25, 0xffffff89, v25
	v_cndmask_b32_e64 v28, v28, 0x77, vcc_lo
	v_cndmask_b32_e32 v27, v29, v27, vcc_lo
	v_cndmask_b32_e64 v25, v25, 0xffffff8a, vcc_lo
	v_lshl_add_u32 v29, 0x100000, v28, -1
	v_lshrrev_b32_e32 v30, v28, v27
	v_lshlrev_b32_e64 v32, v28, 0x80000
	v_add_nc_u32_e32 v28, v28, v25
	v_and_b32_e32 v27, v29, v27
	v_bfe_u32 v31, v30, 20, 1
	v_cmp_eq_u32_e64 s17, v27, v32
	v_add_nc_u32_e32 v29, -1, v31
	v_cndmask_b32_e64 v27, 0, v29, s17
	v_lshrrev_b32_e32 v29, 23, v30
	s_mov_b32 s17, exec_lo
	v_add_nc_u32_e32 v27, v27, v30
	v_xor_b32_e32 v29, 1, v29
	v_and_b32_e32 v25, 0xfffff, v27
	v_add_nc_u32_e32 v27, v25, v30
                                        ; implicit-def: $vgpr25
	v_cmpx_ne_u32_e64 v28, v29
	s_xor_b32 s17, exec_lo, s17
; %bb.3208:                             ;   in Loop: Header=BB6_3177 Depth=4
	v_cmp_lt_u32_e32 vcc_lo, 0xffffff, v27
	v_sub_nc_u32_e32 v25, v28, v29
	v_cndmask_b32_e64 v28, 0, 1, vcc_lo
	v_add_co_ci_u32_e64 v25, null, 0, v25, vcc_lo
	v_lshrrev_b32_e32 v27, v28, v27
; %bb.3209:                             ;   in Loop: Header=BB6_3177 Depth=4
	s_andn2_saveexec_b32 s17, s17
; %bb.3210:                             ;   in Loop: Header=BB6_3177 Depth=4
	v_bfe_u32 v25, v27, 23, 1
; %bb.3211:                             ;   in Loop: Header=BB6_3177 Depth=4
	s_or_b32 exec_lo, exec_lo, s17
	v_lshrrev_b32_e32 v27, 20, v27
	v_min_i32_e32 v28, 15, v25
	v_cmp_gt_i32_e32 vcc_lo, 16, v25
	v_and_b32_sdwa v26, v26, v62 dst_sel:DWORD dst_unused:UNUSED_PAD src0_sel:BYTE_3 src1_sel:DWORD
	v_lshlrev_b32_e32 v28, 3, v28
	v_cndmask_b32_e32 v27, 7, v27, vcc_lo
	v_and_b32_e32 v28, 0xf8, v28
	v_and_b32_e32 v29, 7, v27
	v_or_b32_e32 v25, v25, v27
	v_or3_b32 v26, v28, v26, v29
	v_cmp_ne_u32_e32 vcc_lo, 0, v25
	v_cndmask_b32_e32 v25, 0, v26, vcc_lo
.LBB6_3212:                             ;   in Loop: Header=BB6_3177 Depth=4
	s_or_b32 exec_lo, exec_lo, s75
.LBB6_3213:                             ;   in Loop: Header=BB6_3177 Depth=4
	s_or_b32 exec_lo, exec_lo, s74
	v_and_b32_sdwa v26, v63, v8 dst_sel:DWORD dst_unused:UNUSED_PAD src0_sel:DWORD src1_sel:BYTE_1
	v_cmp_gt_i16_sdwa s74, v12, v61 src0_sel:BYTE_1 src1_sel:DWORD
	s_mov_b32 s17, -1
	v_and_b32_e32 v27, 7, v26
	v_bfe_u32 v30, v26, 3, 4
	v_ffbh_u32_e32 v28, v27
	v_cmp_eq_u32_e32 vcc_lo, 0, v30
	v_min_u32_e32 v28, 32, v28
	v_subrev_nc_u32_e32 v29, 28, v28
	v_sub_nc_u32_e32 v28, 29, v28
	v_lshlrev_b32_e32 v26, v29, v26
	v_lshlrev_b32_sdwa v29, v73, v8 dst_sel:DWORD dst_unused:UNUSED_PAD src0_sel:DWORD src1_sel:BYTE_1
	v_cndmask_b32_e32 v28, v30, v28, vcc_lo
	v_and_b32_e32 v26, 7, v26
	v_lshl_add_u32 v28, v28, 23, 0x3b800000
	v_cndmask_b32_e32 v26, v27, v26, vcc_lo
	v_and_b32_e32 v27, 0x80000000, v29
	s_and_b32 vcc_lo, exec_lo, s73
	v_lshlrev_b32_e32 v26, 20, v26
	v_or3_b32 v26, v27, v28, v26
                                        ; implicit-def: $vgpr27
	s_cbranch_vccz .LBB6_3227
; %bb.3214:                             ;   in Loop: Header=BB6_3177 Depth=4
	s_mov_b32 s17, 0
	s_and_saveexec_b32 s75, s74
	s_xor_b32 s74, exec_lo, s75
	s_cbranch_execz .LBB6_3759
; %bb.3215:                             ;   in Loop: Header=BB6_3177 Depth=4
	v_cmp_eq_u16_sdwa s76, v12, v62 src0_sel:BYTE_1 src1_sel:DWORD
	s_mov_b32 s17, -1
	s_and_saveexec_b32 s75, s76
; %bb.3216:                             ;   in Loop: Header=BB6_3177 Depth=4
	s_xor_b32 s17, exec_lo, -1
; %bb.3217:                             ;   in Loop: Header=BB6_3177 Depth=4
	s_or_b32 exec_lo, exec_lo, s75
	s_and_b32 s17, s17, exec_lo
	s_or_saveexec_b32 s74, s74
	v_mov_b32_e32 v27, 0x7f800001
	s_xor_b32 exec_lo, exec_lo, s74
	s_cbranch_execnz .LBB6_3760
.LBB6_3218:                             ;   in Loop: Header=BB6_3177 Depth=4
	s_or_b32 exec_lo, exec_lo, s74
	s_and_saveexec_b32 s74, s17
	s_cbranch_execz .LBB6_3220
.LBB6_3219:                             ;   in Loop: Header=BB6_3177 Depth=4
	v_and_b32_sdwa v27, v63, v12 dst_sel:DWORD dst_unused:UNUSED_PAD src0_sel:DWORD src1_sel:BYTE_1
	v_and_b32_e32 v28, 7, v27
	v_bfe_u32 v31, v27, 3, 4
	v_ffbh_u32_e32 v29, v28
	v_cmp_eq_u32_e32 vcc_lo, 0, v31
	v_min_u32_e32 v29, 32, v29
	v_subrev_nc_u32_e32 v30, 28, v29
	v_sub_nc_u32_e32 v29, 29, v29
	v_lshlrev_b32_e32 v27, v30, v27
	v_lshlrev_b32_e32 v30, 16, v12
	v_cndmask_b32_e32 v29, v31, v29, vcc_lo
	v_and_b32_e32 v27, 7, v27
	v_lshl_add_u32 v29, v29, 23, 0x3b800000
	v_cndmask_b32_e32 v27, v28, v27, vcc_lo
	v_and_b32_e32 v28, 0x80000000, v30
	v_lshlrev_b32_e32 v27, 20, v27
	v_or3_b32 v27, v28, v29, v27
.LBB6_3220:                             ;   in Loop: Header=BB6_3177 Depth=4
	s_or_b32 exec_lo, exec_lo, s74
	v_cmp_gt_i16_sdwa s74, v8, v61 src0_sel:BYTE_1 src1_sel:DWORD
	s_mov_b32 s17, 0
	s_and_saveexec_b32 s75, s74
	s_xor_b32 s74, exec_lo, s75
	s_cbranch_execz .LBB6_3761
; %bb.3221:                             ;   in Loop: Header=BB6_3177 Depth=4
	v_cmp_eq_u16_sdwa s76, v8, v62 src0_sel:BYTE_1 src1_sel:DWORD
	s_mov_b32 s17, -1
	s_and_saveexec_b32 s75, s76
; %bb.3222:                             ;   in Loop: Header=BB6_3177 Depth=4
	s_xor_b32 s17, exec_lo, -1
; %bb.3223:                             ;   in Loop: Header=BB6_3177 Depth=4
	s_or_b32 exec_lo, exec_lo, s75
	s_and_b32 s17, s17, exec_lo
	s_or_saveexec_b32 s74, s74
	v_mov_b32_e32 v28, 0x7f800001
	s_xor_b32 exec_lo, exec_lo, s74
	s_cbranch_execnz .LBB6_3762
.LBB6_3224:                             ;   in Loop: Header=BB6_3177 Depth=4
	s_or_b32 exec_lo, exec_lo, s74
	s_and_saveexec_b32 s74, s17
.LBB6_3225:                             ;   in Loop: Header=BB6_3177 Depth=4
	v_mov_b32_e32 v28, v26
.LBB6_3226:                             ;   in Loop: Header=BB6_3177 Depth=4
	s_or_b32 exec_lo, exec_lo, s74
	v_max_f32_e32 v28, v28, v28
	v_max_f32_e32 v27, v27, v27
	s_mov_b32 s17, 0
	v_max_f32_e32 v27, v27, v28
.LBB6_3227:                             ;   in Loop: Header=BB6_3177 Depth=4
	s_and_b32 vcc_lo, exec_lo, s17
	s_cbranch_vccz .LBB6_3241
; %bb.3228:                             ;   in Loop: Header=BB6_3177 Depth=4
	v_cmp_gt_i16_sdwa s74, v12, v61 src0_sel:BYTE_1 src1_sel:DWORD
	s_mov_b32 s17, 0
	s_and_saveexec_b32 s75, s74
	s_xor_b32 s74, exec_lo, s75
	s_cbranch_execz .LBB6_3763
; %bb.3229:                             ;   in Loop: Header=BB6_3177 Depth=4
	v_cmp_eq_u16_sdwa s76, v12, v62 src0_sel:BYTE_1 src1_sel:DWORD
	s_mov_b32 s17, -1
	s_and_saveexec_b32 s75, s76
; %bb.3230:                             ;   in Loop: Header=BB6_3177 Depth=4
	s_xor_b32 s17, exec_lo, -1
; %bb.3231:                             ;   in Loop: Header=BB6_3177 Depth=4
	s_or_b32 exec_lo, exec_lo, s75
	s_and_b32 s17, s17, exec_lo
	s_or_saveexec_b32 s74, s74
	v_mov_b32_e32 v27, 0x7f800001
	s_xor_b32 exec_lo, exec_lo, s74
	s_cbranch_execnz .LBB6_3764
.LBB6_3232:                             ;   in Loop: Header=BB6_3177 Depth=4
	s_or_b32 exec_lo, exec_lo, s74
	s_and_saveexec_b32 s74, s17
	s_cbranch_execz .LBB6_3234
.LBB6_3233:                             ;   in Loop: Header=BB6_3177 Depth=4
	v_and_b32_sdwa v27, v63, v12 dst_sel:DWORD dst_unused:UNUSED_PAD src0_sel:DWORD src1_sel:BYTE_1
	v_and_b32_e32 v28, 7, v27
	v_bfe_u32 v31, v27, 3, 4
	v_ffbh_u32_e32 v29, v28
	v_cmp_eq_u32_e32 vcc_lo, 0, v31
	v_min_u32_e32 v29, 32, v29
	v_subrev_nc_u32_e32 v30, 28, v29
	v_sub_nc_u32_e32 v29, 29, v29
	v_lshlrev_b32_e32 v27, v30, v27
	v_lshlrev_b32_e32 v30, 16, v12
	v_cndmask_b32_e32 v29, v31, v29, vcc_lo
	v_and_b32_e32 v27, 7, v27
	v_lshl_add_u32 v29, v29, 23, 0x3b800000
	v_cndmask_b32_e32 v27, v28, v27, vcc_lo
	v_and_b32_e32 v28, 0x80000000, v30
	v_lshlrev_b32_e32 v27, 20, v27
	v_or3_b32 v27, v28, v29, v27
.LBB6_3234:                             ;   in Loop: Header=BB6_3177 Depth=4
	s_or_b32 exec_lo, exec_lo, s74
	v_cmp_gt_i16_sdwa s74, v8, v61 src0_sel:BYTE_1 src1_sel:DWORD
	s_mov_b32 s17, 0
	s_and_saveexec_b32 s75, s74
	s_xor_b32 s74, exec_lo, s75
	s_cbranch_execz .LBB6_3765
; %bb.3235:                             ;   in Loop: Header=BB6_3177 Depth=4
	v_cmp_eq_u16_sdwa s76, v8, v62 src0_sel:BYTE_1 src1_sel:DWORD
	s_mov_b32 s17, -1
	s_and_saveexec_b32 s75, s76
; %bb.3236:                             ;   in Loop: Header=BB6_3177 Depth=4
	s_xor_b32 s17, exec_lo, -1
; %bb.3237:                             ;   in Loop: Header=BB6_3177 Depth=4
	s_or_b32 exec_lo, exec_lo, s75
	s_and_b32 s17, s17, exec_lo
	s_or_saveexec_b32 s74, s74
	v_mov_b32_e32 v28, 0x7f800001
	s_xor_b32 exec_lo, exec_lo, s74
	s_cbranch_execnz .LBB6_3766
.LBB6_3238:                             ;   in Loop: Header=BB6_3177 Depth=4
	s_or_b32 exec_lo, exec_lo, s74
	s_and_saveexec_b32 s74, s17
.LBB6_3239:                             ;   in Loop: Header=BB6_3177 Depth=4
	v_mov_b32_e32 v28, v26
.LBB6_3240:                             ;   in Loop: Header=BB6_3177 Depth=4
	s_or_b32 exec_lo, exec_lo, s74
	v_max_f32_e32 v26, v28, v28
	v_max_f32_e32 v27, v27, v27
	v_min_f32_e32 v27, v27, v26
.LBB6_3241:                             ;   in Loop: Header=BB6_3177 Depth=4
	v_and_b32_e32 v26, 0x7f800000, v27
	v_cmp_ne_u32_e32 vcc_lo, 0x7f800000, v26
	v_mov_b32_e32 v26, 0x8000
	s_and_saveexec_b32 s74, vcc_lo
	s_cbranch_execz .LBB6_3249
; %bb.3242:                             ;   in Loop: Header=BB6_3177 Depth=4
	v_mov_b32_e32 v26, 0
	s_mov_b32 s75, exec_lo
	v_cmpx_ne_u32_e32 0, v27
	s_cbranch_execz .LBB6_3248
; %bb.3243:                             ;   in Loop: Header=BB6_3177 Depth=4
	v_bfe_u32 v26, v27, 23, 8
	v_and_b32_e32 v28, 0x7fffff, v27
	v_sub_nc_u32_e32 v29, 0x78, v26
	v_cmp_gt_u32_e32 vcc_lo, 0x79, v26
	v_or_b32_e32 v30, 0x800000, v28
	v_cndmask_b32_e32 v29, 0, v29, vcc_lo
	v_cmp_eq_u32_e32 vcc_lo, 0, v26
	v_add_nc_u32_e32 v26, 0xffffff89, v26
	v_cndmask_b32_e64 v29, v29, 0x77, vcc_lo
	v_cndmask_b32_e32 v28, v30, v28, vcc_lo
	v_cndmask_b32_e64 v26, v26, 0xffffff8a, vcc_lo
	v_lshl_add_u32 v30, 0x100000, v29, -1
	v_lshrrev_b32_e32 v31, v29, v28
	v_lshlrev_b32_e64 v33, v29, 0x80000
	v_add_nc_u32_e32 v29, v29, v26
	v_and_b32_e32 v28, v30, v28
	v_bfe_u32 v32, v31, 20, 1
	v_cmp_eq_u32_e64 s17, v28, v33
	v_add_nc_u32_e32 v30, -1, v32
	v_cndmask_b32_e64 v28, 0, v30, s17
	v_lshrrev_b32_e32 v30, 23, v31
	s_mov_b32 s17, exec_lo
	v_add_nc_u32_e32 v28, v28, v31
	v_xor_b32_e32 v30, 1, v30
	v_and_b32_e32 v26, 0xfffff, v28
	v_add_nc_u32_e32 v28, v26, v31
                                        ; implicit-def: $vgpr26
	v_cmpx_ne_u32_e64 v29, v30
	s_xor_b32 s17, exec_lo, s17
; %bb.3244:                             ;   in Loop: Header=BB6_3177 Depth=4
	v_cmp_lt_u32_e32 vcc_lo, 0xffffff, v28
	v_sub_nc_u32_e32 v26, v29, v30
	v_cndmask_b32_e64 v29, 0, 1, vcc_lo
	v_add_co_ci_u32_e64 v26, null, 0, v26, vcc_lo
	v_lshrrev_b32_e32 v28, v29, v28
; %bb.3245:                             ;   in Loop: Header=BB6_3177 Depth=4
	s_andn2_saveexec_b32 s17, s17
; %bb.3246:                             ;   in Loop: Header=BB6_3177 Depth=4
	v_bfe_u32 v26, v28, 23, 1
; %bb.3247:                             ;   in Loop: Header=BB6_3177 Depth=4
	s_or_b32 exec_lo, exec_lo, s17
	v_lshrrev_b32_e32 v28, 20, v28
	v_min_i32_e32 v29, 15, v26
	v_cmp_gt_i32_e32 vcc_lo, 16, v26
	v_and_b32_sdwa v27, v27, v62 dst_sel:DWORD dst_unused:UNUSED_PAD src0_sel:BYTE_3 src1_sel:DWORD
	v_lshlrev_b32_e32 v29, 3, v29
	v_cndmask_b32_e32 v28, 7, v28, vcc_lo
	v_and_b32_e32 v29, 0xf8, v29
	v_and_b32_e32 v30, 7, v28
	v_or_b32_e32 v26, v26, v28
	v_or3_b32 v27, v27, v29, v30
	v_cmp_ne_u32_e32 vcc_lo, 0, v26
	v_lshlrev_b32_e32 v27, 8, v27
	v_cndmask_b32_e32 v26, 0, v27, vcc_lo
.LBB6_3248:                             ;   in Loop: Header=BB6_3177 Depth=4
	s_or_b32 exec_lo, exec_lo, s75
.LBB6_3249:                             ;   in Loop: Header=BB6_3177 Depth=4
	s_or_b32 exec_lo, exec_lo, s74
	v_bfe_u32 v27, v8, 16, 3
	v_bfe_u32 v30, v8, 19, 4
	v_lshlrev_b32_e32 v31, 8, v8
	s_mov_b32 s74, -1
	v_ffbh_u32_e32 v28, v27
	v_cmp_eq_u32_e32 vcc_lo, 0, v30
	v_min_u32_e32 v28, 32, v28
	v_subrev_nc_u32_e32 v29, 28, v28
	v_sub_nc_u32_e32 v28, 29, v28
	v_lshlrev_b32_sdwa v29, v29, v8 dst_sel:DWORD dst_unused:UNUSED_PAD src0_sel:DWORD src1_sel:WORD_1
	v_cndmask_b32_e32 v28, v30, v28, vcc_lo
	v_and_b32_e32 v29, 7, v29
	v_lshl_add_u32 v30, v28, 23, 0x3b800000
	v_and_b32_sdwa v28, v12, v72 dst_sel:DWORD dst_unused:UNUSED_PAD src0_sel:WORD_1 src1_sel:DWORD
	v_cndmask_b32_e32 v27, v27, v29, vcc_lo
	v_and_b32_e32 v29, 0x80000000, v31
	v_cmp_lt_i16_e64 s17, 0x7f, v28
	s_and_b32 vcc_lo, exec_lo, s73
	v_lshlrev_b32_e32 v27, 20, v27
	v_or3_b32 v27, v29, v30, v27
                                        ; implicit-def: $vgpr29
	s_cbranch_vccz .LBB6_3263
; %bb.3250:                             ;   in Loop: Header=BB6_3177 Depth=4
	s_mov_b32 s74, 0
	s_and_saveexec_b32 s75, s17
	s_xor_b32 s17, exec_lo, s75
	s_cbranch_execz .LBB6_3767
; %bb.3251:                             ;   in Loop: Header=BB6_3177 Depth=4
	s_mov_b32 s74, -1
	s_mov_b32 s75, exec_lo
	v_cmpx_eq_u16_e32 0x80, v28
; %bb.3252:                             ;   in Loop: Header=BB6_3177 Depth=4
	s_xor_b32 s74, exec_lo, -1
; %bb.3253:                             ;   in Loop: Header=BB6_3177 Depth=4
	s_or_b32 exec_lo, exec_lo, s75
	s_and_b32 s74, s74, exec_lo
	s_or_saveexec_b32 s17, s17
	v_mov_b32_e32 v29, 0x7f800001
	s_xor_b32 exec_lo, exec_lo, s17
	s_cbranch_execnz .LBB6_3768
.LBB6_3254:                             ;   in Loop: Header=BB6_3177 Depth=4
	s_or_b32 exec_lo, exec_lo, s17
	s_and_saveexec_b32 s17, s74
	s_cbranch_execz .LBB6_3256
.LBB6_3255:                             ;   in Loop: Header=BB6_3177 Depth=4
	v_bfe_u32 v29, v12, 16, 3
	v_bfe_u32 v32, v12, 19, 4
	v_lshlrev_b32_sdwa v33, v73, v12 dst_sel:DWORD dst_unused:UNUSED_PAD src0_sel:DWORD src1_sel:WORD_1
	v_ffbh_u32_e32 v30, v29
	v_cmp_eq_u32_e32 vcc_lo, 0, v32
	v_min_u32_e32 v30, 32, v30
	v_subrev_nc_u32_e32 v31, 28, v30
	v_sub_nc_u32_e32 v30, 29, v30
	v_lshlrev_b32_sdwa v31, v31, v12 dst_sel:DWORD dst_unused:UNUSED_PAD src0_sel:DWORD src1_sel:WORD_1
	v_cndmask_b32_e32 v30, v32, v30, vcc_lo
	v_and_b32_e32 v31, 7, v31
	v_lshl_add_u32 v30, v30, 23, 0x3b800000
	v_cndmask_b32_e32 v29, v29, v31, vcc_lo
	v_and_b32_e32 v31, 0x80000000, v33
	v_lshlrev_b32_e32 v29, 20, v29
	v_or3_b32 v29, v31, v30, v29
.LBB6_3256:                             ;   in Loop: Header=BB6_3177 Depth=4
	s_or_b32 exec_lo, exec_lo, s17
	v_and_b32_sdwa v31, v8, v72 dst_sel:DWORD dst_unused:UNUSED_PAD src0_sel:WORD_1 src1_sel:DWORD
	s_mov_b32 s17, 0
	s_mov_b32 s74, exec_lo
	v_cmpx_lt_i16_e32 0x7f, v31
	s_xor_b32 s74, exec_lo, s74
	s_cbranch_execz .LBB6_3769
; %bb.3257:                             ;   in Loop: Header=BB6_3177 Depth=4
	s_mov_b32 s17, -1
	s_mov_b32 s75, exec_lo
	v_cmpx_eq_u16_e32 0x80, v31
; %bb.3258:                             ;   in Loop: Header=BB6_3177 Depth=4
	s_xor_b32 s17, exec_lo, -1
; %bb.3259:                             ;   in Loop: Header=BB6_3177 Depth=4
	s_or_b32 exec_lo, exec_lo, s75
	s_and_b32 s17, s17, exec_lo
                                        ; implicit-def: $vgpr31
	s_or_saveexec_b32 s74, s74
	v_mov_b32_e32 v30, 0x7f800001
	s_xor_b32 exec_lo, exec_lo, s74
	s_cbranch_execnz .LBB6_3770
.LBB6_3260:                             ;   in Loop: Header=BB6_3177 Depth=4
	s_or_b32 exec_lo, exec_lo, s74
	s_and_saveexec_b32 s74, s17
.LBB6_3261:                             ;   in Loop: Header=BB6_3177 Depth=4
	v_mov_b32_e32 v30, v27
.LBB6_3262:                             ;   in Loop: Header=BB6_3177 Depth=4
	s_or_b32 exec_lo, exec_lo, s74
	v_max_f32_e32 v30, v30, v30
	v_max_f32_e32 v29, v29, v29
	s_mov_b32 s74, 0
	v_max_f32_e32 v29, v29, v30
.LBB6_3263:                             ;   in Loop: Header=BB6_3177 Depth=4
	s_and_b32 vcc_lo, exec_lo, s74
	s_cbranch_vccz .LBB6_3277
; %bb.3264:                             ;   in Loop: Header=BB6_3177 Depth=4
	s_mov_b32 s17, 0
	s_mov_b32 s74, exec_lo
	v_cmpx_lt_i16_e32 0x7f, v28
	s_xor_b32 s74, exec_lo, s74
	s_cbranch_execz .LBB6_3771
; %bb.3265:                             ;   in Loop: Header=BB6_3177 Depth=4
	s_mov_b32 s17, -1
	s_mov_b32 s75, exec_lo
	v_cmpx_eq_u16_e32 0x80, v28
; %bb.3266:                             ;   in Loop: Header=BB6_3177 Depth=4
	s_xor_b32 s17, exec_lo, -1
; %bb.3267:                             ;   in Loop: Header=BB6_3177 Depth=4
	s_or_b32 exec_lo, exec_lo, s75
	s_and_b32 s17, s17, exec_lo
                                        ; implicit-def: $vgpr28
	s_or_saveexec_b32 s74, s74
	v_mov_b32_e32 v29, 0x7f800001
	s_xor_b32 exec_lo, exec_lo, s74
	s_cbranch_execnz .LBB6_3772
.LBB6_3268:                             ;   in Loop: Header=BB6_3177 Depth=4
	s_or_b32 exec_lo, exec_lo, s74
	s_and_saveexec_b32 s74, s17
	s_cbranch_execz .LBB6_3270
.LBB6_3269:                             ;   in Loop: Header=BB6_3177 Depth=4
	v_bfe_u32 v28, v12, 16, 3
	v_bfe_u32 v31, v12, 19, 4
	v_lshlrev_b32_sdwa v32, v73, v12 dst_sel:DWORD dst_unused:UNUSED_PAD src0_sel:DWORD src1_sel:WORD_1
	v_ffbh_u32_e32 v29, v28
	v_cmp_eq_u32_e32 vcc_lo, 0, v31
	v_min_u32_e32 v29, 32, v29
	v_subrev_nc_u32_e32 v30, 28, v29
	v_sub_nc_u32_e32 v29, 29, v29
	v_lshlrev_b32_sdwa v30, v30, v12 dst_sel:DWORD dst_unused:UNUSED_PAD src0_sel:DWORD src1_sel:WORD_1
	v_cndmask_b32_e32 v29, v31, v29, vcc_lo
	v_and_b32_e32 v30, 7, v30
	v_lshl_add_u32 v29, v29, 23, 0x3b800000
	v_cndmask_b32_e32 v28, v28, v30, vcc_lo
	v_and_b32_e32 v30, 0x80000000, v32
	v_lshlrev_b32_e32 v28, 20, v28
	v_or3_b32 v29, v30, v29, v28
.LBB6_3270:                             ;   in Loop: Header=BB6_3177 Depth=4
	s_or_b32 exec_lo, exec_lo, s74
	v_and_b32_sdwa v30, v8, v72 dst_sel:DWORD dst_unused:UNUSED_PAD src0_sel:WORD_1 src1_sel:DWORD
	s_mov_b32 s17, 0
	s_mov_b32 s74, exec_lo
	v_cmpx_lt_i16_e32 0x7f, v30
	s_xor_b32 s74, exec_lo, s74
	s_cbranch_execz .LBB6_3773
; %bb.3271:                             ;   in Loop: Header=BB6_3177 Depth=4
	s_mov_b32 s17, -1
	s_mov_b32 s75, exec_lo
	v_cmpx_eq_u16_e32 0x80, v30
; %bb.3272:                             ;   in Loop: Header=BB6_3177 Depth=4
	s_xor_b32 s17, exec_lo, -1
; %bb.3273:                             ;   in Loop: Header=BB6_3177 Depth=4
	s_or_b32 exec_lo, exec_lo, s75
	s_and_b32 s17, s17, exec_lo
                                        ; implicit-def: $vgpr30
	s_or_saveexec_b32 s74, s74
	v_mov_b32_e32 v28, 0x7f800001
	s_xor_b32 exec_lo, exec_lo, s74
	s_cbranch_execnz .LBB6_3774
.LBB6_3274:                             ;   in Loop: Header=BB6_3177 Depth=4
	s_or_b32 exec_lo, exec_lo, s74
	s_and_saveexec_b32 s74, s17
.LBB6_3275:                             ;   in Loop: Header=BB6_3177 Depth=4
	v_mov_b32_e32 v28, v27
.LBB6_3276:                             ;   in Loop: Header=BB6_3177 Depth=4
	s_or_b32 exec_lo, exec_lo, s74
	v_max_f32_e32 v27, v28, v28
	v_max_f32_e32 v28, v29, v29
	v_min_f32_e32 v29, v28, v27
.LBB6_3277:                             ;   in Loop: Header=BB6_3177 Depth=4
	v_and_b32_e32 v27, 0x7f800000, v29
	v_cmp_ne_u32_e32 vcc_lo, 0x7f800000, v27
	v_mov_b32_e32 v27, 0x80
	s_and_saveexec_b32 s74, vcc_lo
	s_cbranch_execz .LBB6_3285
; %bb.3278:                             ;   in Loop: Header=BB6_3177 Depth=4
	v_mov_b32_e32 v27, 0
	s_mov_b32 s75, exec_lo
	v_cmpx_ne_u32_e32 0, v29
	s_cbranch_execz .LBB6_3284
; %bb.3279:                             ;   in Loop: Header=BB6_3177 Depth=4
	v_bfe_u32 v27, v29, 23, 8
	v_and_b32_e32 v28, 0x7fffff, v29
	v_sub_nc_u32_e32 v30, 0x78, v27
	v_cmp_gt_u32_e32 vcc_lo, 0x79, v27
	v_or_b32_e32 v31, 0x800000, v28
	v_cndmask_b32_e32 v30, 0, v30, vcc_lo
	v_cmp_eq_u32_e32 vcc_lo, 0, v27
	v_add_nc_u32_e32 v27, 0xffffff89, v27
	v_cndmask_b32_e64 v30, v30, 0x77, vcc_lo
	v_cndmask_b32_e32 v28, v31, v28, vcc_lo
	v_cndmask_b32_e64 v27, v27, 0xffffff8a, vcc_lo
	v_lshl_add_u32 v31, 0x100000, v30, -1
	v_lshrrev_b32_e32 v32, v30, v28
	v_lshlrev_b32_e64 v34, v30, 0x80000
	v_add_nc_u32_e32 v30, v30, v27
	v_and_b32_e32 v28, v31, v28
	v_bfe_u32 v33, v32, 20, 1
	v_cmp_eq_u32_e64 s17, v28, v34
	v_add_nc_u32_e32 v31, -1, v33
	v_cndmask_b32_e64 v28, 0, v31, s17
	v_lshrrev_b32_e32 v31, 23, v32
	s_mov_b32 s17, exec_lo
	v_add_nc_u32_e32 v28, v28, v32
	v_xor_b32_e32 v31, 1, v31
	v_and_b32_e32 v27, 0xfffff, v28
	v_add_nc_u32_e32 v28, v27, v32
                                        ; implicit-def: $vgpr27
	v_cmpx_ne_u32_e64 v30, v31
	s_xor_b32 s17, exec_lo, s17
; %bb.3280:                             ;   in Loop: Header=BB6_3177 Depth=4
	v_cmp_lt_u32_e32 vcc_lo, 0xffffff, v28
	v_sub_nc_u32_e32 v27, v30, v31
	v_cndmask_b32_e64 v30, 0, 1, vcc_lo
	v_add_co_ci_u32_e64 v27, null, 0, v27, vcc_lo
	v_lshrrev_b32_e32 v28, v30, v28
; %bb.3281:                             ;   in Loop: Header=BB6_3177 Depth=4
	s_andn2_saveexec_b32 s17, s17
; %bb.3282:                             ;   in Loop: Header=BB6_3177 Depth=4
	v_bfe_u32 v27, v28, 23, 1
; %bb.3283:                             ;   in Loop: Header=BB6_3177 Depth=4
	s_or_b32 exec_lo, exec_lo, s17
	v_lshrrev_b32_e32 v28, 20, v28
	v_min_i32_e32 v30, 15, v27
	v_cmp_gt_i32_e32 vcc_lo, 16, v27
	v_and_b32_sdwa v29, v29, v62 dst_sel:DWORD dst_unused:UNUSED_PAD src0_sel:BYTE_3 src1_sel:DWORD
	v_lshlrev_b32_e32 v30, 3, v30
	v_cndmask_b32_e32 v28, 7, v28, vcc_lo
	v_and_b32_e32 v30, 0xf8, v30
	v_and_b32_e32 v31, 7, v28
	v_or_b32_e32 v27, v27, v28
	v_or3_b32 v28, v30, v29, v31
	v_cmp_ne_u32_e32 vcc_lo, 0, v27
	v_cndmask_b32_e32 v27, 0, v28, vcc_lo
.LBB6_3284:                             ;   in Loop: Header=BB6_3177 Depth=4
	s_or_b32 exec_lo, exec_lo, s75
.LBB6_3285:                             ;   in Loop: Header=BB6_3177 Depth=4
	s_or_b32 exec_lo, exec_lo, s74
	v_bfe_u32 v28, v8, 24, 3
	v_bfe_u32 v31, v8, 27, 4
	v_cmp_gt_i16_sdwa s74, v12, v61 src0_sel:BYTE_3 src1_sel:DWORD
	s_mov_b32 s17, -1
	v_ffbh_u32_e32 v29, v28
	v_cmp_eq_u32_e32 vcc_lo, 0, v31
	v_min_u32_e32 v29, 32, v29
	v_subrev_nc_u32_e32 v30, 28, v29
	v_sub_nc_u32_e32 v29, 29, v29
	v_lshlrev_b32_sdwa v30, v30, v8 dst_sel:DWORD dst_unused:UNUSED_PAD src0_sel:DWORD src1_sel:BYTE_3
	v_cndmask_b32_e32 v29, v31, v29, vcc_lo
	v_and_b32_e32 v30, 7, v30
	v_lshl_add_u32 v29, v29, 23, 0x3b800000
	v_cndmask_b32_e32 v28, v28, v30, vcc_lo
	v_and_b32_e32 v30, 0x80000000, v8
	s_and_b32 vcc_lo, exec_lo, s73
	v_lshlrev_b32_e32 v28, 20, v28
	v_or3_b32 v28, v30, v29, v28
                                        ; implicit-def: $vgpr29
	s_cbranch_vccz .LBB6_3299
; %bb.3286:                             ;   in Loop: Header=BB6_3177 Depth=4
	s_mov_b32 s17, 0
	s_and_saveexec_b32 s75, s74
	s_xor_b32 s74, exec_lo, s75
	s_cbranch_execz .LBB6_3775
; %bb.3287:                             ;   in Loop: Header=BB6_3177 Depth=4
	v_cmp_eq_u16_sdwa s76, v12, v62 src0_sel:BYTE_3 src1_sel:DWORD
	s_mov_b32 s17, -1
	s_and_saveexec_b32 s75, s76
; %bb.3288:                             ;   in Loop: Header=BB6_3177 Depth=4
	s_xor_b32 s17, exec_lo, -1
; %bb.3289:                             ;   in Loop: Header=BB6_3177 Depth=4
	s_or_b32 exec_lo, exec_lo, s75
	s_and_b32 s17, s17, exec_lo
	s_or_saveexec_b32 s74, s74
	v_mov_b32_e32 v29, 0x7f800001
	s_xor_b32 exec_lo, exec_lo, s74
	s_cbranch_execnz .LBB6_3776
.LBB6_3290:                             ;   in Loop: Header=BB6_3177 Depth=4
	s_or_b32 exec_lo, exec_lo, s74
	s_and_saveexec_b32 s74, s17
	s_cbranch_execz .LBB6_3292
.LBB6_3291:                             ;   in Loop: Header=BB6_3177 Depth=4
	v_bfe_u32 v29, v12, 24, 3
	v_bfe_u32 v32, v12, 27, 4
	v_ffbh_u32_e32 v30, v29
	v_cmp_eq_u32_e32 vcc_lo, 0, v32
	v_min_u32_e32 v30, 32, v30
	v_subrev_nc_u32_e32 v31, 28, v30
	v_sub_nc_u32_e32 v30, 29, v30
	v_lshlrev_b32_sdwa v31, v31, v12 dst_sel:DWORD dst_unused:UNUSED_PAD src0_sel:DWORD src1_sel:BYTE_3
	v_cndmask_b32_e32 v30, v32, v30, vcc_lo
	v_and_b32_e32 v31, 7, v31
	v_lshl_add_u32 v30, v30, 23, 0x3b800000
	v_cndmask_b32_e32 v29, v29, v31, vcc_lo
	v_and_b32_e32 v31, 0x80000000, v12
	v_lshlrev_b32_e32 v29, 20, v29
	v_or3_b32 v29, v31, v30, v29
.LBB6_3292:                             ;   in Loop: Header=BB6_3177 Depth=4
	s_or_b32 exec_lo, exec_lo, s74
	v_cmp_gt_i16_sdwa s74, v8, v61 src0_sel:BYTE_3 src1_sel:DWORD
	s_mov_b32 s17, 0
	s_and_saveexec_b32 s75, s74
	s_xor_b32 s74, exec_lo, s75
	s_cbranch_execz .LBB6_3777
; %bb.3293:                             ;   in Loop: Header=BB6_3177 Depth=4
	v_cmp_eq_u16_sdwa s76, v8, v62 src0_sel:BYTE_3 src1_sel:DWORD
	s_mov_b32 s17, -1
	s_and_saveexec_b32 s75, s76
; %bb.3294:                             ;   in Loop: Header=BB6_3177 Depth=4
	s_xor_b32 s17, exec_lo, -1
; %bb.3295:                             ;   in Loop: Header=BB6_3177 Depth=4
	s_or_b32 exec_lo, exec_lo, s75
	s_and_b32 s17, s17, exec_lo
	s_or_saveexec_b32 s74, s74
	v_mov_b32_e32 v30, 0x7f800001
	s_xor_b32 exec_lo, exec_lo, s74
	s_cbranch_execnz .LBB6_3778
.LBB6_3296:                             ;   in Loop: Header=BB6_3177 Depth=4
	s_or_b32 exec_lo, exec_lo, s74
	s_and_saveexec_b32 s74, s17
.LBB6_3297:                             ;   in Loop: Header=BB6_3177 Depth=4
	v_mov_b32_e32 v30, v28
.LBB6_3298:                             ;   in Loop: Header=BB6_3177 Depth=4
	s_or_b32 exec_lo, exec_lo, s74
	v_max_f32_e32 v30, v30, v30
	v_max_f32_e32 v29, v29, v29
	s_mov_b32 s17, 0
	v_max_f32_e32 v29, v29, v30
.LBB6_3299:                             ;   in Loop: Header=BB6_3177 Depth=4
	s_and_b32 vcc_lo, exec_lo, s17
	s_cbranch_vccz .LBB6_3313
; %bb.3300:                             ;   in Loop: Header=BB6_3177 Depth=4
	v_cmp_gt_i16_sdwa s74, v12, v61 src0_sel:BYTE_3 src1_sel:DWORD
	s_mov_b32 s17, 0
	s_and_saveexec_b32 s75, s74
	s_xor_b32 s74, exec_lo, s75
	s_cbranch_execz .LBB6_3779
; %bb.3301:                             ;   in Loop: Header=BB6_3177 Depth=4
	v_cmp_eq_u16_sdwa s76, v12, v62 src0_sel:BYTE_3 src1_sel:DWORD
	s_mov_b32 s17, -1
	s_and_saveexec_b32 s75, s76
; %bb.3302:                             ;   in Loop: Header=BB6_3177 Depth=4
	s_xor_b32 s17, exec_lo, -1
; %bb.3303:                             ;   in Loop: Header=BB6_3177 Depth=4
	s_or_b32 exec_lo, exec_lo, s75
	s_and_b32 s17, s17, exec_lo
	s_or_saveexec_b32 s74, s74
	v_mov_b32_e32 v29, 0x7f800001
	s_xor_b32 exec_lo, exec_lo, s74
	s_cbranch_execnz .LBB6_3780
.LBB6_3304:                             ;   in Loop: Header=BB6_3177 Depth=4
	s_or_b32 exec_lo, exec_lo, s74
	s_and_saveexec_b32 s74, s17
	s_cbranch_execz .LBB6_3306
.LBB6_3305:                             ;   in Loop: Header=BB6_3177 Depth=4
	v_bfe_u32 v29, v12, 24, 3
	v_bfe_u32 v32, v12, 27, 4
	v_ffbh_u32_e32 v30, v29
	v_cmp_eq_u32_e32 vcc_lo, 0, v32
	v_min_u32_e32 v30, 32, v30
	v_subrev_nc_u32_e32 v31, 28, v30
	v_sub_nc_u32_e32 v30, 29, v30
	v_lshlrev_b32_sdwa v31, v31, v12 dst_sel:DWORD dst_unused:UNUSED_PAD src0_sel:DWORD src1_sel:BYTE_3
	v_cndmask_b32_e32 v30, v32, v30, vcc_lo
	v_and_b32_e32 v12, 0x80000000, v12
	v_and_b32_e32 v31, 7, v31
	v_lshl_add_u32 v30, v30, 23, 0x3b800000
	v_cndmask_b32_e32 v29, v29, v31, vcc_lo
	v_lshlrev_b32_e32 v29, 20, v29
	v_or3_b32 v29, v12, v30, v29
.LBB6_3306:                             ;   in Loop: Header=BB6_3177 Depth=4
	s_or_b32 exec_lo, exec_lo, s74
	v_cmp_gt_i16_sdwa s74, v8, v61 src0_sel:BYTE_3 src1_sel:DWORD
	s_mov_b32 s17, 0
	s_and_saveexec_b32 s75, s74
	s_xor_b32 s74, exec_lo, s75
	s_cbranch_execz .LBB6_3781
; %bb.3307:                             ;   in Loop: Header=BB6_3177 Depth=4
	v_cmp_eq_u16_sdwa s76, v8, v62 src0_sel:BYTE_3 src1_sel:DWORD
	s_mov_b32 s17, -1
	s_and_saveexec_b32 s75, s76
; %bb.3308:                             ;   in Loop: Header=BB6_3177 Depth=4
	s_xor_b32 s17, exec_lo, -1
; %bb.3309:                             ;   in Loop: Header=BB6_3177 Depth=4
	s_or_b32 exec_lo, exec_lo, s75
	s_and_b32 s17, s17, exec_lo
	s_or_saveexec_b32 s74, s74
	v_mov_b32_e32 v12, 0x7f800001
	s_xor_b32 exec_lo, exec_lo, s74
	s_cbranch_execnz .LBB6_3782
.LBB6_3310:                             ;   in Loop: Header=BB6_3177 Depth=4
	s_or_b32 exec_lo, exec_lo, s74
	s_and_saveexec_b32 s74, s17
.LBB6_3311:                             ;   in Loop: Header=BB6_3177 Depth=4
	v_mov_b32_e32 v12, v28
.LBB6_3312:                             ;   in Loop: Header=BB6_3177 Depth=4
	s_or_b32 exec_lo, exec_lo, s74
	v_max_f32_e32 v8, v12, v12
	v_max_f32_e32 v12, v29, v29
	v_min_f32_e32 v29, v12, v8
.LBB6_3313:                             ;   in Loop: Header=BB6_3177 Depth=4
	v_and_b32_e32 v8, 0x7f800000, v29
	v_mov_b32_e32 v12, 0x8000
	s_mov_b32 s74, exec_lo
	v_cmpx_ne_u32_e32 0x7f800000, v8
	s_cbranch_execz .LBB6_3321
; %bb.3314:                             ;   in Loop: Header=BB6_3177 Depth=4
	v_mov_b32_e32 v12, 0
	s_mov_b32 s75, exec_lo
	v_cmpx_ne_u32_e32 0, v29
	s_cbranch_execz .LBB6_3320
; %bb.3315:                             ;   in Loop: Header=BB6_3177 Depth=4
	v_bfe_u32 v8, v29, 23, 8
	v_and_b32_e32 v12, 0x7fffff, v29
	v_sub_nc_u32_e32 v28, 0x78, v8
	v_cmp_gt_u32_e32 vcc_lo, 0x79, v8
	v_or_b32_e32 v30, 0x800000, v12
	v_cndmask_b32_e32 v28, 0, v28, vcc_lo
	v_cmp_eq_u32_e32 vcc_lo, 0, v8
	v_add_nc_u32_e32 v8, 0xffffff89, v8
	v_cndmask_b32_e64 v28, v28, 0x77, vcc_lo
	v_cndmask_b32_e32 v12, v30, v12, vcc_lo
	v_cndmask_b32_e64 v8, v8, 0xffffff8a, vcc_lo
	v_lshl_add_u32 v30, 0x100000, v28, -1
	v_lshrrev_b32_e32 v31, v28, v12
	v_lshlrev_b32_e64 v33, v28, 0x80000
	v_add_nc_u32_e32 v28, v28, v8
	v_and_b32_e32 v12, v30, v12
	v_bfe_u32 v32, v31, 20, 1
	v_cmp_eq_u32_e64 s17, v12, v33
	v_add_nc_u32_e32 v30, -1, v32
	v_cndmask_b32_e64 v12, 0, v30, s17
	v_lshrrev_b32_e32 v30, 23, v31
	s_mov_b32 s17, exec_lo
	v_add_nc_u32_e32 v12, v12, v31
	v_xor_b32_e32 v30, 1, v30
	v_and_b32_e32 v8, 0xfffff, v12
	v_add_nc_u32_e32 v12, v8, v31
                                        ; implicit-def: $vgpr8
	v_cmpx_ne_u32_e64 v28, v30
	s_xor_b32 s17, exec_lo, s17
; %bb.3316:                             ;   in Loop: Header=BB6_3177 Depth=4
	v_cmp_lt_u32_e32 vcc_lo, 0xffffff, v12
	v_sub_nc_u32_e32 v8, v28, v30
	v_cndmask_b32_e64 v28, 0, 1, vcc_lo
	v_add_co_ci_u32_e64 v8, null, 0, v8, vcc_lo
	v_lshrrev_b32_e32 v12, v28, v12
; %bb.3317:                             ;   in Loop: Header=BB6_3177 Depth=4
	s_andn2_saveexec_b32 s17, s17
; %bb.3318:                             ;   in Loop: Header=BB6_3177 Depth=4
	v_bfe_u32 v8, v12, 23, 1
; %bb.3319:                             ;   in Loop: Header=BB6_3177 Depth=4
	s_or_b32 exec_lo, exec_lo, s17
	v_lshrrev_b32_e32 v12, 20, v12
	v_min_i32_e32 v28, 15, v8
	v_cmp_gt_i32_e32 vcc_lo, 16, v8
	v_and_b32_sdwa v29, v29, v62 dst_sel:DWORD dst_unused:UNUSED_PAD src0_sel:BYTE_3 src1_sel:DWORD
	v_lshlrev_b32_e32 v28, 3, v28
	v_cndmask_b32_e32 v12, 7, v12, vcc_lo
	v_and_b32_e32 v28, 0xf8, v28
	v_and_b32_e32 v30, 7, v12
	v_or_b32_e32 v8, v8, v12
	v_or3_b32 v28, v29, v28, v30
	v_cmp_ne_u32_e32 vcc_lo, 0, v8
	v_lshlrev_b32_e32 v12, 8, v28
	v_cndmask_b32_e32 v12, 0, v12, vcc_lo
.LBB6_3320:                             ;   in Loop: Header=BB6_3177 Depth=4
	s_or_b32 exec_lo, exec_lo, s75
.LBB6_3321:                             ;   in Loop: Header=BB6_3177 Depth=4
	s_or_b32 exec_lo, exec_lo, s74
	v_and_b32_e32 v8, 7, v9
	v_bfe_u32 v30, v9, 3, 4
	v_lshlrev_b32_e32 v31, 24, v9
	v_cmp_gt_i16_sdwa s74, v13, v61 src0_sel:BYTE_0 src1_sel:DWORD
	s_mov_b32 s17, -1
	v_ffbh_u32_e32 v28, v8
	v_cmp_eq_u32_e32 vcc_lo, 0, v30
	v_min_u32_e32 v28, 32, v28
	v_subrev_nc_u32_e32 v29, 28, v28
	v_sub_nc_u32_e32 v28, 29, v28
	v_lshlrev_b32_e32 v29, v29, v9
	v_cndmask_b32_e32 v28, v30, v28, vcc_lo
	v_and_b32_e32 v29, 7, v29
	v_lshl_add_u32 v28, v28, 23, 0x3b800000
	v_cndmask_b32_e32 v8, v8, v29, vcc_lo
	v_and_b32_e32 v29, 0x80000000, v31
	s_and_b32 vcc_lo, exec_lo, s73
	v_lshlrev_b32_e32 v8, 20, v8
	v_or3_b32 v8, v29, v28, v8
                                        ; implicit-def: $vgpr29
	s_cbranch_vccz .LBB6_3335
; %bb.3322:                             ;   in Loop: Header=BB6_3177 Depth=4
	s_mov_b32 s17, 0
	s_and_saveexec_b32 s75, s74
	s_xor_b32 s74, exec_lo, s75
	s_cbranch_execz .LBB6_3783
; %bb.3323:                             ;   in Loop: Header=BB6_3177 Depth=4
	v_cmp_eq_u16_sdwa s76, v13, v62 src0_sel:BYTE_0 src1_sel:DWORD
	s_mov_b32 s17, -1
	s_and_saveexec_b32 s75, s76
; %bb.3324:                             ;   in Loop: Header=BB6_3177 Depth=4
	s_xor_b32 s17, exec_lo, -1
; %bb.3325:                             ;   in Loop: Header=BB6_3177 Depth=4
	s_or_b32 exec_lo, exec_lo, s75
	s_and_b32 s17, s17, exec_lo
	s_or_saveexec_b32 s74, s74
	v_mov_b32_e32 v28, 0x7f800001
	s_xor_b32 exec_lo, exec_lo, s74
	s_cbranch_execnz .LBB6_3784
.LBB6_3326:                             ;   in Loop: Header=BB6_3177 Depth=4
	s_or_b32 exec_lo, exec_lo, s74
	s_and_saveexec_b32 s74, s17
	s_cbranch_execz .LBB6_3328
.LBB6_3327:                             ;   in Loop: Header=BB6_3177 Depth=4
	v_and_b32_e32 v28, 7, v13
	v_bfe_u32 v31, v13, 3, 4
	v_lshlrev_b32_e32 v32, 24, v13
	v_ffbh_u32_e32 v29, v28
	v_cmp_eq_u32_e32 vcc_lo, 0, v31
	v_min_u32_e32 v29, 32, v29
	v_subrev_nc_u32_e32 v30, 28, v29
	v_sub_nc_u32_e32 v29, 29, v29
	v_lshlrev_b32_e32 v30, v30, v13
	v_cndmask_b32_e32 v29, v31, v29, vcc_lo
	v_and_b32_e32 v30, 7, v30
	v_lshl_add_u32 v29, v29, 23, 0x3b800000
	v_cndmask_b32_e32 v28, v28, v30, vcc_lo
	v_and_b32_e32 v30, 0x80000000, v32
	v_lshlrev_b32_e32 v28, 20, v28
	v_or3_b32 v28, v30, v29, v28
.LBB6_3328:                             ;   in Loop: Header=BB6_3177 Depth=4
	s_or_b32 exec_lo, exec_lo, s74
	v_cmp_gt_i16_sdwa s74, v9, v61 src0_sel:BYTE_0 src1_sel:DWORD
	s_mov_b32 s17, 0
	s_and_saveexec_b32 s75, s74
	s_xor_b32 s74, exec_lo, s75
	s_cbranch_execz .LBB6_3785
; %bb.3329:                             ;   in Loop: Header=BB6_3177 Depth=4
	v_cmp_eq_u16_sdwa s76, v9, v62 src0_sel:BYTE_0 src1_sel:DWORD
	s_mov_b32 s17, -1
	s_and_saveexec_b32 s75, s76
; %bb.3330:                             ;   in Loop: Header=BB6_3177 Depth=4
	s_xor_b32 s17, exec_lo, -1
; %bb.3331:                             ;   in Loop: Header=BB6_3177 Depth=4
	s_or_b32 exec_lo, exec_lo, s75
	s_and_b32 s17, s17, exec_lo
	s_or_saveexec_b32 s74, s74
	v_mov_b32_e32 v29, 0x7f800001
	s_xor_b32 exec_lo, exec_lo, s74
	s_cbranch_execnz .LBB6_3786
.LBB6_3332:                             ;   in Loop: Header=BB6_3177 Depth=4
	s_or_b32 exec_lo, exec_lo, s74
	s_and_saveexec_b32 s74, s17
.LBB6_3333:                             ;   in Loop: Header=BB6_3177 Depth=4
	v_mov_b32_e32 v29, v8
.LBB6_3334:                             ;   in Loop: Header=BB6_3177 Depth=4
	s_or_b32 exec_lo, exec_lo, s74
	v_max_f32_e32 v29, v29, v29
	v_max_f32_e32 v28, v28, v28
	s_mov_b32 s17, 0
	v_max_f32_e32 v29, v28, v29
.LBB6_3335:                             ;   in Loop: Header=BB6_3177 Depth=4
	s_and_b32 vcc_lo, exec_lo, s17
	s_cbranch_vccz .LBB6_3349
; %bb.3336:                             ;   in Loop: Header=BB6_3177 Depth=4
	v_cmp_gt_i16_sdwa s74, v13, v61 src0_sel:BYTE_0 src1_sel:DWORD
	s_mov_b32 s17, 0
	s_and_saveexec_b32 s75, s74
	s_xor_b32 s74, exec_lo, s75
	s_cbranch_execz .LBB6_3787
; %bb.3337:                             ;   in Loop: Header=BB6_3177 Depth=4
	v_cmp_eq_u16_sdwa s76, v13, v62 src0_sel:BYTE_0 src1_sel:DWORD
	s_mov_b32 s17, -1
	s_and_saveexec_b32 s75, s76
; %bb.3338:                             ;   in Loop: Header=BB6_3177 Depth=4
	s_xor_b32 s17, exec_lo, -1
; %bb.3339:                             ;   in Loop: Header=BB6_3177 Depth=4
	s_or_b32 exec_lo, exec_lo, s75
	s_and_b32 s17, s17, exec_lo
	s_or_saveexec_b32 s74, s74
	v_mov_b32_e32 v28, 0x7f800001
	s_xor_b32 exec_lo, exec_lo, s74
	s_cbranch_execnz .LBB6_3788
.LBB6_3340:                             ;   in Loop: Header=BB6_3177 Depth=4
	s_or_b32 exec_lo, exec_lo, s74
	s_and_saveexec_b32 s74, s17
	s_cbranch_execz .LBB6_3342
.LBB6_3341:                             ;   in Loop: Header=BB6_3177 Depth=4
	v_and_b32_e32 v28, 7, v13
	v_bfe_u32 v31, v13, 3, 4
	v_lshlrev_b32_e32 v32, 24, v13
	v_ffbh_u32_e32 v29, v28
	v_cmp_eq_u32_e32 vcc_lo, 0, v31
	v_min_u32_e32 v29, 32, v29
	v_subrev_nc_u32_e32 v30, 28, v29
	v_sub_nc_u32_e32 v29, 29, v29
	v_lshlrev_b32_e32 v30, v30, v13
	v_cndmask_b32_e32 v29, v31, v29, vcc_lo
	v_and_b32_e32 v30, 7, v30
	v_lshl_add_u32 v29, v29, 23, 0x3b800000
	v_cndmask_b32_e32 v28, v28, v30, vcc_lo
	v_and_b32_e32 v30, 0x80000000, v32
	v_lshlrev_b32_e32 v28, 20, v28
	v_or3_b32 v28, v30, v29, v28
.LBB6_3342:                             ;   in Loop: Header=BB6_3177 Depth=4
	s_or_b32 exec_lo, exec_lo, s74
	v_cmp_gt_i16_sdwa s74, v9, v61 src0_sel:BYTE_0 src1_sel:DWORD
	s_mov_b32 s17, 0
	s_and_saveexec_b32 s75, s74
	s_xor_b32 s74, exec_lo, s75
	s_cbranch_execz .LBB6_3789
; %bb.3343:                             ;   in Loop: Header=BB6_3177 Depth=4
	v_cmp_eq_u16_sdwa s76, v9, v62 src0_sel:BYTE_0 src1_sel:DWORD
	s_mov_b32 s17, -1
	s_and_saveexec_b32 s75, s76
; %bb.3344:                             ;   in Loop: Header=BB6_3177 Depth=4
	s_xor_b32 s17, exec_lo, -1
; %bb.3345:                             ;   in Loop: Header=BB6_3177 Depth=4
	s_or_b32 exec_lo, exec_lo, s75
	s_and_b32 s17, s17, exec_lo
	s_or_saveexec_b32 s74, s74
	v_mov_b32_e32 v29, 0x7f800001
	s_xor_b32 exec_lo, exec_lo, s74
	s_cbranch_execnz .LBB6_3790
.LBB6_3346:                             ;   in Loop: Header=BB6_3177 Depth=4
	s_or_b32 exec_lo, exec_lo, s74
	s_and_saveexec_b32 s74, s17
.LBB6_3347:                             ;   in Loop: Header=BB6_3177 Depth=4
	v_mov_b32_e32 v29, v8
.LBB6_3348:                             ;   in Loop: Header=BB6_3177 Depth=4
	s_or_b32 exec_lo, exec_lo, s74
	v_max_f32_e32 v8, v29, v29
	v_max_f32_e32 v28, v28, v28
	v_min_f32_e32 v29, v28, v8
.LBB6_3349:                             ;   in Loop: Header=BB6_3177 Depth=4
	v_and_b32_e32 v8, 0x7f800000, v29
	v_mov_b32_e32 v28, 0x80
	s_mov_b32 s74, exec_lo
	v_cmpx_ne_u32_e32 0x7f800000, v8
	s_cbranch_execz .LBB6_3357
; %bb.3350:                             ;   in Loop: Header=BB6_3177 Depth=4
	v_mov_b32_e32 v28, 0
	s_mov_b32 s75, exec_lo
	v_cmpx_ne_u32_e32 0, v29
	s_cbranch_execz .LBB6_3356
; %bb.3351:                             ;   in Loop: Header=BB6_3177 Depth=4
	v_bfe_u32 v8, v29, 23, 8
	v_and_b32_e32 v28, 0x7fffff, v29
	v_sub_nc_u32_e32 v30, 0x78, v8
	v_cmp_gt_u32_e32 vcc_lo, 0x79, v8
	v_or_b32_e32 v31, 0x800000, v28
	v_cndmask_b32_e32 v30, 0, v30, vcc_lo
	v_cmp_eq_u32_e32 vcc_lo, 0, v8
	v_add_nc_u32_e32 v8, 0xffffff89, v8
	v_cndmask_b32_e64 v30, v30, 0x77, vcc_lo
	v_cndmask_b32_e32 v28, v31, v28, vcc_lo
	v_cndmask_b32_e64 v8, v8, 0xffffff8a, vcc_lo
	v_lshl_add_u32 v31, 0x100000, v30, -1
	v_lshrrev_b32_e32 v32, v30, v28
	v_lshlrev_b32_e64 v34, v30, 0x80000
	v_add_nc_u32_e32 v30, v30, v8
	v_and_b32_e32 v28, v31, v28
	v_bfe_u32 v33, v32, 20, 1
	v_cmp_eq_u32_e64 s17, v28, v34
	v_add_nc_u32_e32 v31, -1, v33
	v_cndmask_b32_e64 v28, 0, v31, s17
	v_lshrrev_b32_e32 v31, 23, v32
	s_mov_b32 s17, exec_lo
	v_add_nc_u32_e32 v28, v28, v32
	v_xor_b32_e32 v31, 1, v31
	v_and_b32_e32 v8, 0xfffff, v28
	v_add_nc_u32_e32 v28, v8, v32
                                        ; implicit-def: $vgpr8
	v_cmpx_ne_u32_e64 v30, v31
	s_xor_b32 s17, exec_lo, s17
; %bb.3352:                             ;   in Loop: Header=BB6_3177 Depth=4
	v_cmp_lt_u32_e32 vcc_lo, 0xffffff, v28
	v_sub_nc_u32_e32 v8, v30, v31
	v_cndmask_b32_e64 v30, 0, 1, vcc_lo
	v_add_co_ci_u32_e64 v8, null, 0, v8, vcc_lo
	v_lshrrev_b32_e32 v28, v30, v28
; %bb.3353:                             ;   in Loop: Header=BB6_3177 Depth=4
	s_andn2_saveexec_b32 s17, s17
; %bb.3354:                             ;   in Loop: Header=BB6_3177 Depth=4
	v_bfe_u32 v8, v28, 23, 1
; %bb.3355:                             ;   in Loop: Header=BB6_3177 Depth=4
	s_or_b32 exec_lo, exec_lo, s17
	v_lshrrev_b32_e32 v28, 20, v28
	v_min_i32_e32 v30, 15, v8
	v_cmp_gt_i32_e32 vcc_lo, 16, v8
	v_and_b32_sdwa v29, v29, v62 dst_sel:DWORD dst_unused:UNUSED_PAD src0_sel:BYTE_3 src1_sel:DWORD
	v_lshlrev_b32_e32 v30, 3, v30
	v_cndmask_b32_e32 v28, 7, v28, vcc_lo
	v_and_b32_e32 v30, 0xf8, v30
	v_and_b32_e32 v31, 7, v28
	v_or_b32_e32 v8, v8, v28
	v_or3_b32 v28, v30, v29, v31
	v_cmp_ne_u32_e32 vcc_lo, 0, v8
	v_cndmask_b32_e32 v28, 0, v28, vcc_lo
.LBB6_3356:                             ;   in Loop: Header=BB6_3177 Depth=4
	s_or_b32 exec_lo, exec_lo, s75
.LBB6_3357:                             ;   in Loop: Header=BB6_3177 Depth=4
	s_or_b32 exec_lo, exec_lo, s74
	v_and_b32_sdwa v8, v63, v9 dst_sel:DWORD dst_unused:UNUSED_PAD src0_sel:DWORD src1_sel:BYTE_1
	v_cmp_gt_i16_sdwa s74, v13, v61 src0_sel:BYTE_1 src1_sel:DWORD
	s_mov_b32 s17, -1
	v_and_b32_e32 v29, 7, v8
	v_bfe_u32 v32, v8, 3, 4
	v_ffbh_u32_e32 v30, v29
	v_cmp_eq_u32_e32 vcc_lo, 0, v32
	v_min_u32_e32 v30, 32, v30
	v_subrev_nc_u32_e32 v31, 28, v30
	v_sub_nc_u32_e32 v30, 29, v30
	v_lshlrev_b32_e32 v8, v31, v8
	v_lshlrev_b32_sdwa v31, v73, v9 dst_sel:DWORD dst_unused:UNUSED_PAD src0_sel:DWORD src1_sel:BYTE_1
	v_cndmask_b32_e32 v30, v32, v30, vcc_lo
	v_and_b32_e32 v8, 7, v8
	v_lshl_add_u32 v30, v30, 23, 0x3b800000
	v_cndmask_b32_e32 v8, v29, v8, vcc_lo
	v_and_b32_e32 v29, 0x80000000, v31
	s_and_b32 vcc_lo, exec_lo, s73
	v_lshlrev_b32_e32 v8, 20, v8
	v_or3_b32 v8, v29, v30, v8
                                        ; implicit-def: $vgpr30
	s_cbranch_vccz .LBB6_3371
; %bb.3358:                             ;   in Loop: Header=BB6_3177 Depth=4
	s_mov_b32 s17, 0
	s_and_saveexec_b32 s75, s74
	s_xor_b32 s74, exec_lo, s75
	s_cbranch_execz .LBB6_3791
; %bb.3359:                             ;   in Loop: Header=BB6_3177 Depth=4
	v_cmp_eq_u16_sdwa s76, v13, v62 src0_sel:BYTE_1 src1_sel:DWORD
	s_mov_b32 s17, -1
	s_and_saveexec_b32 s75, s76
; %bb.3360:                             ;   in Loop: Header=BB6_3177 Depth=4
	s_xor_b32 s17, exec_lo, -1
; %bb.3361:                             ;   in Loop: Header=BB6_3177 Depth=4
	s_or_b32 exec_lo, exec_lo, s75
	s_and_b32 s17, s17, exec_lo
	s_or_saveexec_b32 s74, s74
	v_mov_b32_e32 v29, 0x7f800001
	s_xor_b32 exec_lo, exec_lo, s74
	s_cbranch_execnz .LBB6_3792
.LBB6_3362:                             ;   in Loop: Header=BB6_3177 Depth=4
	s_or_b32 exec_lo, exec_lo, s74
	s_and_saveexec_b32 s74, s17
	s_cbranch_execz .LBB6_3364
.LBB6_3363:                             ;   in Loop: Header=BB6_3177 Depth=4
	v_and_b32_sdwa v29, v63, v13 dst_sel:DWORD dst_unused:UNUSED_PAD src0_sel:DWORD src1_sel:BYTE_1
	v_and_b32_e32 v30, 7, v29
	v_bfe_u32 v33, v29, 3, 4
	v_ffbh_u32_e32 v31, v30
	v_cmp_eq_u32_e32 vcc_lo, 0, v33
	v_min_u32_e32 v31, 32, v31
	v_subrev_nc_u32_e32 v32, 28, v31
	v_sub_nc_u32_e32 v31, 29, v31
	v_lshlrev_b32_e32 v29, v32, v29
	v_lshlrev_b32_e32 v32, 16, v13
	v_cndmask_b32_e32 v31, v33, v31, vcc_lo
	v_and_b32_e32 v29, 7, v29
	v_lshl_add_u32 v31, v31, 23, 0x3b800000
	v_cndmask_b32_e32 v29, v30, v29, vcc_lo
	v_and_b32_e32 v30, 0x80000000, v32
	v_lshlrev_b32_e32 v29, 20, v29
	v_or3_b32 v29, v30, v31, v29
.LBB6_3364:                             ;   in Loop: Header=BB6_3177 Depth=4
	s_or_b32 exec_lo, exec_lo, s74
	v_cmp_gt_i16_sdwa s74, v9, v61 src0_sel:BYTE_1 src1_sel:DWORD
	s_mov_b32 s17, 0
	s_and_saveexec_b32 s75, s74
	s_xor_b32 s74, exec_lo, s75
	s_cbranch_execz .LBB6_3793
; %bb.3365:                             ;   in Loop: Header=BB6_3177 Depth=4
	v_cmp_eq_u16_sdwa s76, v9, v62 src0_sel:BYTE_1 src1_sel:DWORD
	s_mov_b32 s17, -1
	s_and_saveexec_b32 s75, s76
; %bb.3366:                             ;   in Loop: Header=BB6_3177 Depth=4
	s_xor_b32 s17, exec_lo, -1
; %bb.3367:                             ;   in Loop: Header=BB6_3177 Depth=4
	s_or_b32 exec_lo, exec_lo, s75
	s_and_b32 s17, s17, exec_lo
	s_or_saveexec_b32 s74, s74
	v_mov_b32_e32 v30, 0x7f800001
	s_xor_b32 exec_lo, exec_lo, s74
	s_cbranch_execnz .LBB6_3794
.LBB6_3368:                             ;   in Loop: Header=BB6_3177 Depth=4
	s_or_b32 exec_lo, exec_lo, s74
	s_and_saveexec_b32 s74, s17
.LBB6_3369:                             ;   in Loop: Header=BB6_3177 Depth=4
	v_mov_b32_e32 v30, v8
.LBB6_3370:                             ;   in Loop: Header=BB6_3177 Depth=4
	s_or_b32 exec_lo, exec_lo, s74
	v_max_f32_e32 v30, v30, v30
	v_max_f32_e32 v29, v29, v29
	s_mov_b32 s17, 0
	v_max_f32_e32 v30, v29, v30
.LBB6_3371:                             ;   in Loop: Header=BB6_3177 Depth=4
	s_and_b32 vcc_lo, exec_lo, s17
	s_cbranch_vccz .LBB6_3385
; %bb.3372:                             ;   in Loop: Header=BB6_3177 Depth=4
	v_cmp_gt_i16_sdwa s74, v13, v61 src0_sel:BYTE_1 src1_sel:DWORD
	s_mov_b32 s17, 0
	s_and_saveexec_b32 s75, s74
	s_xor_b32 s74, exec_lo, s75
	s_cbranch_execz .LBB6_3795
; %bb.3373:                             ;   in Loop: Header=BB6_3177 Depth=4
	v_cmp_eq_u16_sdwa s76, v13, v62 src0_sel:BYTE_1 src1_sel:DWORD
	s_mov_b32 s17, -1
	s_and_saveexec_b32 s75, s76
; %bb.3374:                             ;   in Loop: Header=BB6_3177 Depth=4
	s_xor_b32 s17, exec_lo, -1
; %bb.3375:                             ;   in Loop: Header=BB6_3177 Depth=4
	s_or_b32 exec_lo, exec_lo, s75
	s_and_b32 s17, s17, exec_lo
	s_or_saveexec_b32 s74, s74
	v_mov_b32_e32 v29, 0x7f800001
	s_xor_b32 exec_lo, exec_lo, s74
	s_cbranch_execnz .LBB6_3796
.LBB6_3376:                             ;   in Loop: Header=BB6_3177 Depth=4
	s_or_b32 exec_lo, exec_lo, s74
	s_and_saveexec_b32 s74, s17
	s_cbranch_execz .LBB6_3378
.LBB6_3377:                             ;   in Loop: Header=BB6_3177 Depth=4
	v_and_b32_sdwa v29, v63, v13 dst_sel:DWORD dst_unused:UNUSED_PAD src0_sel:DWORD src1_sel:BYTE_1
	v_and_b32_e32 v30, 7, v29
	v_bfe_u32 v33, v29, 3, 4
	v_ffbh_u32_e32 v31, v30
	v_cmp_eq_u32_e32 vcc_lo, 0, v33
	v_min_u32_e32 v31, 32, v31
	v_subrev_nc_u32_e32 v32, 28, v31
	v_sub_nc_u32_e32 v31, 29, v31
	v_lshlrev_b32_e32 v29, v32, v29
	v_lshlrev_b32_e32 v32, 16, v13
	v_cndmask_b32_e32 v31, v33, v31, vcc_lo
	v_and_b32_e32 v29, 7, v29
	v_lshl_add_u32 v31, v31, 23, 0x3b800000
	v_cndmask_b32_e32 v29, v30, v29, vcc_lo
	v_and_b32_e32 v30, 0x80000000, v32
	v_lshlrev_b32_e32 v29, 20, v29
	v_or3_b32 v29, v30, v31, v29
.LBB6_3378:                             ;   in Loop: Header=BB6_3177 Depth=4
	s_or_b32 exec_lo, exec_lo, s74
	v_cmp_gt_i16_sdwa s74, v9, v61 src0_sel:BYTE_1 src1_sel:DWORD
	s_mov_b32 s17, 0
	s_and_saveexec_b32 s75, s74
	s_xor_b32 s74, exec_lo, s75
	s_cbranch_execz .LBB6_3797
; %bb.3379:                             ;   in Loop: Header=BB6_3177 Depth=4
	v_cmp_eq_u16_sdwa s76, v9, v62 src0_sel:BYTE_1 src1_sel:DWORD
	s_mov_b32 s17, -1
	s_and_saveexec_b32 s75, s76
; %bb.3380:                             ;   in Loop: Header=BB6_3177 Depth=4
	s_xor_b32 s17, exec_lo, -1
; %bb.3381:                             ;   in Loop: Header=BB6_3177 Depth=4
	s_or_b32 exec_lo, exec_lo, s75
	s_and_b32 s17, s17, exec_lo
	s_or_saveexec_b32 s74, s74
	v_mov_b32_e32 v30, 0x7f800001
	s_xor_b32 exec_lo, exec_lo, s74
	s_cbranch_execnz .LBB6_3798
.LBB6_3382:                             ;   in Loop: Header=BB6_3177 Depth=4
	s_or_b32 exec_lo, exec_lo, s74
	s_and_saveexec_b32 s74, s17
.LBB6_3383:                             ;   in Loop: Header=BB6_3177 Depth=4
	v_mov_b32_e32 v30, v8
.LBB6_3384:                             ;   in Loop: Header=BB6_3177 Depth=4
	s_or_b32 exec_lo, exec_lo, s74
	v_max_f32_e32 v8, v30, v30
	v_max_f32_e32 v29, v29, v29
	v_min_f32_e32 v30, v29, v8
.LBB6_3385:                             ;   in Loop: Header=BB6_3177 Depth=4
	v_and_b32_e32 v8, 0x7f800000, v30
	v_mov_b32_e32 v29, 0x8000
	s_mov_b32 s74, exec_lo
	v_cmpx_ne_u32_e32 0x7f800000, v8
	s_cbranch_execz .LBB6_3393
; %bb.3386:                             ;   in Loop: Header=BB6_3177 Depth=4
	v_mov_b32_e32 v29, 0
	s_mov_b32 s75, exec_lo
	v_cmpx_ne_u32_e32 0, v30
	s_cbranch_execz .LBB6_3392
; %bb.3387:                             ;   in Loop: Header=BB6_3177 Depth=4
	v_bfe_u32 v8, v30, 23, 8
	v_and_b32_e32 v29, 0x7fffff, v30
	v_sub_nc_u32_e32 v31, 0x78, v8
	v_cmp_gt_u32_e32 vcc_lo, 0x79, v8
	v_or_b32_e32 v32, 0x800000, v29
	v_cndmask_b32_e32 v31, 0, v31, vcc_lo
	v_cmp_eq_u32_e32 vcc_lo, 0, v8
	v_add_nc_u32_e32 v8, 0xffffff89, v8
	v_cndmask_b32_e64 v31, v31, 0x77, vcc_lo
	v_cndmask_b32_e32 v29, v32, v29, vcc_lo
	v_cndmask_b32_e64 v8, v8, 0xffffff8a, vcc_lo
	v_lshl_add_u32 v32, 0x100000, v31, -1
	v_lshrrev_b32_e32 v33, v31, v29
	v_lshlrev_b32_e64 v35, v31, 0x80000
	v_add_nc_u32_e32 v31, v31, v8
	v_and_b32_e32 v29, v32, v29
	v_bfe_u32 v34, v33, 20, 1
	v_cmp_eq_u32_e64 s17, v29, v35
	v_add_nc_u32_e32 v32, -1, v34
	v_cndmask_b32_e64 v29, 0, v32, s17
	v_lshrrev_b32_e32 v32, 23, v33
	s_mov_b32 s17, exec_lo
	v_add_nc_u32_e32 v29, v29, v33
	v_xor_b32_e32 v32, 1, v32
	v_and_b32_e32 v8, 0xfffff, v29
	v_add_nc_u32_e32 v29, v8, v33
                                        ; implicit-def: $vgpr8
	v_cmpx_ne_u32_e64 v31, v32
	s_xor_b32 s17, exec_lo, s17
; %bb.3388:                             ;   in Loop: Header=BB6_3177 Depth=4
	v_cmp_lt_u32_e32 vcc_lo, 0xffffff, v29
	v_sub_nc_u32_e32 v8, v31, v32
	v_cndmask_b32_e64 v31, 0, 1, vcc_lo
	v_add_co_ci_u32_e64 v8, null, 0, v8, vcc_lo
	v_lshrrev_b32_e32 v29, v31, v29
; %bb.3389:                             ;   in Loop: Header=BB6_3177 Depth=4
	s_andn2_saveexec_b32 s17, s17
; %bb.3390:                             ;   in Loop: Header=BB6_3177 Depth=4
	v_bfe_u32 v8, v29, 23, 1
; %bb.3391:                             ;   in Loop: Header=BB6_3177 Depth=4
	s_or_b32 exec_lo, exec_lo, s17
	v_lshrrev_b32_e32 v29, 20, v29
	v_min_i32_e32 v31, 15, v8
	v_cmp_gt_i32_e32 vcc_lo, 16, v8
	v_and_b32_sdwa v30, v30, v62 dst_sel:DWORD dst_unused:UNUSED_PAD src0_sel:BYTE_3 src1_sel:DWORD
	v_lshlrev_b32_e32 v31, 3, v31
	v_cndmask_b32_e32 v29, 7, v29, vcc_lo
	v_and_b32_e32 v31, 0xf8, v31
	v_and_b32_e32 v32, 7, v29
	v_or_b32_e32 v8, v8, v29
	v_or3_b32 v30, v30, v31, v32
	v_cmp_ne_u32_e32 vcc_lo, 0, v8
	v_lshlrev_b32_e32 v29, 8, v30
	v_cndmask_b32_e32 v29, 0, v29, vcc_lo
.LBB6_3392:                             ;   in Loop: Header=BB6_3177 Depth=4
	s_or_b32 exec_lo, exec_lo, s75
.LBB6_3393:                             ;   in Loop: Header=BB6_3177 Depth=4
	s_or_b32 exec_lo, exec_lo, s74
	v_bfe_u32 v8, v9, 16, 3
	v_bfe_u32 v32, v9, 19, 4
	v_lshlrev_b32_e32 v33, 8, v9
	s_mov_b32 s74, -1
	v_ffbh_u32_e32 v30, v8
	v_cmp_eq_u32_e32 vcc_lo, 0, v32
	v_min_u32_e32 v30, 32, v30
	v_subrev_nc_u32_e32 v31, 28, v30
	v_sub_nc_u32_e32 v30, 29, v30
	v_lshlrev_b32_sdwa v31, v31, v9 dst_sel:DWORD dst_unused:UNUSED_PAD src0_sel:DWORD src1_sel:WORD_1
	v_cndmask_b32_e32 v30, v32, v30, vcc_lo
	v_and_b32_e32 v31, 7, v31
	v_lshl_add_u32 v32, v30, 23, 0x3b800000
	v_and_b32_sdwa v30, v13, v72 dst_sel:DWORD dst_unused:UNUSED_PAD src0_sel:WORD_1 src1_sel:DWORD
	v_cndmask_b32_e32 v8, v8, v31, vcc_lo
	v_and_b32_e32 v31, 0x80000000, v33
	v_cmp_lt_i16_e64 s17, 0x7f, v30
	s_and_b32 vcc_lo, exec_lo, s73
	v_lshlrev_b32_e32 v8, 20, v8
	v_or3_b32 v8, v31, v32, v8
                                        ; implicit-def: $vgpr31
	s_cbranch_vccz .LBB6_3407
; %bb.3394:                             ;   in Loop: Header=BB6_3177 Depth=4
	s_mov_b32 s74, 0
	s_and_saveexec_b32 s75, s17
	s_xor_b32 s17, exec_lo, s75
	s_cbranch_execz .LBB6_3799
; %bb.3395:                             ;   in Loop: Header=BB6_3177 Depth=4
	s_mov_b32 s74, -1
	s_mov_b32 s75, exec_lo
	v_cmpx_eq_u16_e32 0x80, v30
; %bb.3396:                             ;   in Loop: Header=BB6_3177 Depth=4
	s_xor_b32 s74, exec_lo, -1
; %bb.3397:                             ;   in Loop: Header=BB6_3177 Depth=4
	s_or_b32 exec_lo, exec_lo, s75
	s_and_b32 s74, s74, exec_lo
	s_or_saveexec_b32 s17, s17
	v_mov_b32_e32 v31, 0x7f800001
	s_xor_b32 exec_lo, exec_lo, s17
	s_cbranch_execnz .LBB6_3800
.LBB6_3398:                             ;   in Loop: Header=BB6_3177 Depth=4
	s_or_b32 exec_lo, exec_lo, s17
	s_and_saveexec_b32 s17, s74
	s_cbranch_execz .LBB6_3400
.LBB6_3399:                             ;   in Loop: Header=BB6_3177 Depth=4
	v_bfe_u32 v31, v13, 16, 3
	v_bfe_u32 v34, v13, 19, 4
	v_lshlrev_b32_sdwa v35, v73, v13 dst_sel:DWORD dst_unused:UNUSED_PAD src0_sel:DWORD src1_sel:WORD_1
	v_ffbh_u32_e32 v32, v31
	v_cmp_eq_u32_e32 vcc_lo, 0, v34
	v_min_u32_e32 v32, 32, v32
	v_subrev_nc_u32_e32 v33, 28, v32
	v_sub_nc_u32_e32 v32, 29, v32
	v_lshlrev_b32_sdwa v33, v33, v13 dst_sel:DWORD dst_unused:UNUSED_PAD src0_sel:DWORD src1_sel:WORD_1
	v_cndmask_b32_e32 v32, v34, v32, vcc_lo
	v_and_b32_e32 v33, 7, v33
	v_lshl_add_u32 v32, v32, 23, 0x3b800000
	v_cndmask_b32_e32 v31, v31, v33, vcc_lo
	v_and_b32_e32 v33, 0x80000000, v35
	v_lshlrev_b32_e32 v31, 20, v31
	v_or3_b32 v31, v33, v32, v31
.LBB6_3400:                             ;   in Loop: Header=BB6_3177 Depth=4
	s_or_b32 exec_lo, exec_lo, s17
	v_and_b32_sdwa v33, v9, v72 dst_sel:DWORD dst_unused:UNUSED_PAD src0_sel:WORD_1 src1_sel:DWORD
	s_mov_b32 s17, 0
	s_mov_b32 s74, exec_lo
	v_cmpx_lt_i16_e32 0x7f, v33
	s_xor_b32 s74, exec_lo, s74
	s_cbranch_execz .LBB6_3801
; %bb.3401:                             ;   in Loop: Header=BB6_3177 Depth=4
	s_mov_b32 s17, -1
	s_mov_b32 s75, exec_lo
	v_cmpx_eq_u16_e32 0x80, v33
; %bb.3402:                             ;   in Loop: Header=BB6_3177 Depth=4
	s_xor_b32 s17, exec_lo, -1
; %bb.3403:                             ;   in Loop: Header=BB6_3177 Depth=4
	s_or_b32 exec_lo, exec_lo, s75
	s_and_b32 s17, s17, exec_lo
                                        ; implicit-def: $vgpr33
	s_or_saveexec_b32 s74, s74
	v_mov_b32_e32 v32, 0x7f800001
	s_xor_b32 exec_lo, exec_lo, s74
	s_cbranch_execnz .LBB6_3802
.LBB6_3404:                             ;   in Loop: Header=BB6_3177 Depth=4
	s_or_b32 exec_lo, exec_lo, s74
	s_and_saveexec_b32 s74, s17
.LBB6_3405:                             ;   in Loop: Header=BB6_3177 Depth=4
	v_mov_b32_e32 v32, v8
.LBB6_3406:                             ;   in Loop: Header=BB6_3177 Depth=4
	s_or_b32 exec_lo, exec_lo, s74
	v_max_f32_e32 v32, v32, v32
	v_max_f32_e32 v31, v31, v31
	s_mov_b32 s74, 0
	v_max_f32_e32 v31, v31, v32
.LBB6_3407:                             ;   in Loop: Header=BB6_3177 Depth=4
	s_and_b32 vcc_lo, exec_lo, s74
	s_cbranch_vccz .LBB6_3421
; %bb.3408:                             ;   in Loop: Header=BB6_3177 Depth=4
	s_mov_b32 s17, 0
	s_mov_b32 s74, exec_lo
	v_cmpx_lt_i16_e32 0x7f, v30
	s_xor_b32 s74, exec_lo, s74
	s_cbranch_execz .LBB6_3803
; %bb.3409:                             ;   in Loop: Header=BB6_3177 Depth=4
	s_mov_b32 s17, -1
	s_mov_b32 s75, exec_lo
	v_cmpx_eq_u16_e32 0x80, v30
; %bb.3410:                             ;   in Loop: Header=BB6_3177 Depth=4
	s_xor_b32 s17, exec_lo, -1
; %bb.3411:                             ;   in Loop: Header=BB6_3177 Depth=4
	s_or_b32 exec_lo, exec_lo, s75
	s_and_b32 s17, s17, exec_lo
                                        ; implicit-def: $vgpr30
	s_or_saveexec_b32 s74, s74
	v_mov_b32_e32 v31, 0x7f800001
	s_xor_b32 exec_lo, exec_lo, s74
	s_cbranch_execnz .LBB6_3804
.LBB6_3412:                             ;   in Loop: Header=BB6_3177 Depth=4
	s_or_b32 exec_lo, exec_lo, s74
	s_and_saveexec_b32 s74, s17
	s_cbranch_execz .LBB6_3414
.LBB6_3413:                             ;   in Loop: Header=BB6_3177 Depth=4
	v_bfe_u32 v30, v13, 16, 3
	v_bfe_u32 v33, v13, 19, 4
	v_lshlrev_b32_sdwa v34, v73, v13 dst_sel:DWORD dst_unused:UNUSED_PAD src0_sel:DWORD src1_sel:WORD_1
	v_ffbh_u32_e32 v31, v30
	v_cmp_eq_u32_e32 vcc_lo, 0, v33
	v_min_u32_e32 v31, 32, v31
	v_subrev_nc_u32_e32 v32, 28, v31
	v_sub_nc_u32_e32 v31, 29, v31
	v_lshlrev_b32_sdwa v32, v32, v13 dst_sel:DWORD dst_unused:UNUSED_PAD src0_sel:DWORD src1_sel:WORD_1
	v_cndmask_b32_e32 v31, v33, v31, vcc_lo
	v_and_b32_e32 v32, 7, v32
	v_lshl_add_u32 v31, v31, 23, 0x3b800000
	v_cndmask_b32_e32 v30, v30, v32, vcc_lo
	v_and_b32_e32 v32, 0x80000000, v34
	v_lshlrev_b32_e32 v30, 20, v30
	v_or3_b32 v31, v32, v31, v30
.LBB6_3414:                             ;   in Loop: Header=BB6_3177 Depth=4
	s_or_b32 exec_lo, exec_lo, s74
	v_and_b32_sdwa v32, v9, v72 dst_sel:DWORD dst_unused:UNUSED_PAD src0_sel:WORD_1 src1_sel:DWORD
	s_mov_b32 s17, 0
	s_mov_b32 s74, exec_lo
	v_cmpx_lt_i16_e32 0x7f, v32
	s_xor_b32 s74, exec_lo, s74
	s_cbranch_execz .LBB6_3805
; %bb.3415:                             ;   in Loop: Header=BB6_3177 Depth=4
	s_mov_b32 s17, -1
	s_mov_b32 s75, exec_lo
	v_cmpx_eq_u16_e32 0x80, v32
; %bb.3416:                             ;   in Loop: Header=BB6_3177 Depth=4
	s_xor_b32 s17, exec_lo, -1
; %bb.3417:                             ;   in Loop: Header=BB6_3177 Depth=4
	s_or_b32 exec_lo, exec_lo, s75
	s_and_b32 s17, s17, exec_lo
                                        ; implicit-def: $vgpr32
	s_or_saveexec_b32 s74, s74
	v_mov_b32_e32 v30, 0x7f800001
	s_xor_b32 exec_lo, exec_lo, s74
	s_cbranch_execnz .LBB6_3806
.LBB6_3418:                             ;   in Loop: Header=BB6_3177 Depth=4
	s_or_b32 exec_lo, exec_lo, s74
	s_and_saveexec_b32 s74, s17
.LBB6_3419:                             ;   in Loop: Header=BB6_3177 Depth=4
	v_mov_b32_e32 v30, v8
.LBB6_3420:                             ;   in Loop: Header=BB6_3177 Depth=4
	s_or_b32 exec_lo, exec_lo, s74
	v_max_f32_e32 v8, v30, v30
	v_max_f32_e32 v30, v31, v31
	v_min_f32_e32 v31, v30, v8
.LBB6_3421:                             ;   in Loop: Header=BB6_3177 Depth=4
	v_and_b32_e32 v8, 0x7f800000, v31
	v_mov_b32_e32 v30, 0x80
	s_mov_b32 s74, exec_lo
	v_cmpx_ne_u32_e32 0x7f800000, v8
	s_cbranch_execz .LBB6_3429
; %bb.3422:                             ;   in Loop: Header=BB6_3177 Depth=4
	v_mov_b32_e32 v30, 0
	s_mov_b32 s75, exec_lo
	v_cmpx_ne_u32_e32 0, v31
	s_cbranch_execz .LBB6_3428
; %bb.3423:                             ;   in Loop: Header=BB6_3177 Depth=4
	v_bfe_u32 v8, v31, 23, 8
	v_and_b32_e32 v30, 0x7fffff, v31
	v_sub_nc_u32_e32 v32, 0x78, v8
	v_cmp_gt_u32_e32 vcc_lo, 0x79, v8
	v_or_b32_e32 v33, 0x800000, v30
	v_cndmask_b32_e32 v32, 0, v32, vcc_lo
	v_cmp_eq_u32_e32 vcc_lo, 0, v8
	v_add_nc_u32_e32 v8, 0xffffff89, v8
	v_cndmask_b32_e64 v32, v32, 0x77, vcc_lo
	v_cndmask_b32_e32 v30, v33, v30, vcc_lo
	v_cndmask_b32_e64 v8, v8, 0xffffff8a, vcc_lo
	v_lshl_add_u32 v33, 0x100000, v32, -1
	v_lshrrev_b32_e32 v34, v32, v30
	v_lshlrev_b32_e64 v36, v32, 0x80000
	v_add_nc_u32_e32 v32, v32, v8
	v_and_b32_e32 v30, v33, v30
	v_bfe_u32 v35, v34, 20, 1
	v_cmp_eq_u32_e64 s17, v30, v36
	v_add_nc_u32_e32 v33, -1, v35
	v_cndmask_b32_e64 v30, 0, v33, s17
	v_lshrrev_b32_e32 v33, 23, v34
	s_mov_b32 s17, exec_lo
	v_add_nc_u32_e32 v30, v30, v34
	v_xor_b32_e32 v33, 1, v33
	v_and_b32_e32 v8, 0xfffff, v30
	v_add_nc_u32_e32 v30, v8, v34
                                        ; implicit-def: $vgpr8
	v_cmpx_ne_u32_e64 v32, v33
	s_xor_b32 s17, exec_lo, s17
; %bb.3424:                             ;   in Loop: Header=BB6_3177 Depth=4
	v_cmp_lt_u32_e32 vcc_lo, 0xffffff, v30
	v_sub_nc_u32_e32 v8, v32, v33
	v_cndmask_b32_e64 v32, 0, 1, vcc_lo
	v_add_co_ci_u32_e64 v8, null, 0, v8, vcc_lo
	v_lshrrev_b32_e32 v30, v32, v30
; %bb.3425:                             ;   in Loop: Header=BB6_3177 Depth=4
	s_andn2_saveexec_b32 s17, s17
; %bb.3426:                             ;   in Loop: Header=BB6_3177 Depth=4
	v_bfe_u32 v8, v30, 23, 1
; %bb.3427:                             ;   in Loop: Header=BB6_3177 Depth=4
	s_or_b32 exec_lo, exec_lo, s17
	v_lshrrev_b32_e32 v30, 20, v30
	v_min_i32_e32 v32, 15, v8
	v_cmp_gt_i32_e32 vcc_lo, 16, v8
	v_and_b32_sdwa v31, v31, v62 dst_sel:DWORD dst_unused:UNUSED_PAD src0_sel:BYTE_3 src1_sel:DWORD
	v_lshlrev_b32_e32 v32, 3, v32
	v_cndmask_b32_e32 v30, 7, v30, vcc_lo
	v_and_b32_e32 v32, 0xf8, v32
	v_and_b32_e32 v33, 7, v30
	v_or_b32_e32 v8, v8, v30
	v_or3_b32 v30, v32, v31, v33
	v_cmp_ne_u32_e32 vcc_lo, 0, v8
	v_cndmask_b32_e32 v30, 0, v30, vcc_lo
.LBB6_3428:                             ;   in Loop: Header=BB6_3177 Depth=4
	s_or_b32 exec_lo, exec_lo, s75
.LBB6_3429:                             ;   in Loop: Header=BB6_3177 Depth=4
	s_or_b32 exec_lo, exec_lo, s74
	v_bfe_u32 v8, v9, 24, 3
	v_bfe_u32 v33, v9, 27, 4
	v_cmp_gt_i16_sdwa s74, v13, v61 src0_sel:BYTE_3 src1_sel:DWORD
	s_mov_b32 s17, -1
	v_ffbh_u32_e32 v31, v8
	v_cmp_eq_u32_e32 vcc_lo, 0, v33
	v_min_u32_e32 v31, 32, v31
	v_subrev_nc_u32_e32 v32, 28, v31
	v_sub_nc_u32_e32 v31, 29, v31
	v_lshlrev_b32_sdwa v32, v32, v9 dst_sel:DWORD dst_unused:UNUSED_PAD src0_sel:DWORD src1_sel:BYTE_3
	v_cndmask_b32_e32 v31, v33, v31, vcc_lo
	v_and_b32_e32 v32, 7, v32
	v_lshl_add_u32 v31, v31, 23, 0x3b800000
	v_cndmask_b32_e32 v8, v8, v32, vcc_lo
	v_and_b32_e32 v32, 0x80000000, v9
	s_and_b32 vcc_lo, exec_lo, s73
	v_lshlrev_b32_e32 v8, 20, v8
	v_or3_b32 v8, v32, v31, v8
                                        ; implicit-def: $vgpr31
	s_cbranch_vccz .LBB6_3443
; %bb.3430:                             ;   in Loop: Header=BB6_3177 Depth=4
	s_mov_b32 s17, 0
	s_and_saveexec_b32 s75, s74
	s_xor_b32 s74, exec_lo, s75
	s_cbranch_execz .LBB6_3807
; %bb.3431:                             ;   in Loop: Header=BB6_3177 Depth=4
	v_cmp_eq_u16_sdwa s76, v13, v62 src0_sel:BYTE_3 src1_sel:DWORD
	s_mov_b32 s17, -1
	s_and_saveexec_b32 s75, s76
; %bb.3432:                             ;   in Loop: Header=BB6_3177 Depth=4
	s_xor_b32 s17, exec_lo, -1
; %bb.3433:                             ;   in Loop: Header=BB6_3177 Depth=4
	s_or_b32 exec_lo, exec_lo, s75
	s_and_b32 s17, s17, exec_lo
	s_or_saveexec_b32 s74, s74
	v_mov_b32_e32 v31, 0x7f800001
	s_xor_b32 exec_lo, exec_lo, s74
	s_cbranch_execnz .LBB6_3808
.LBB6_3434:                             ;   in Loop: Header=BB6_3177 Depth=4
	s_or_b32 exec_lo, exec_lo, s74
	s_and_saveexec_b32 s74, s17
	s_cbranch_execz .LBB6_3436
.LBB6_3435:                             ;   in Loop: Header=BB6_3177 Depth=4
	v_bfe_u32 v31, v13, 24, 3
	v_bfe_u32 v34, v13, 27, 4
	v_ffbh_u32_e32 v32, v31
	v_cmp_eq_u32_e32 vcc_lo, 0, v34
	v_min_u32_e32 v32, 32, v32
	v_subrev_nc_u32_e32 v33, 28, v32
	v_sub_nc_u32_e32 v32, 29, v32
	v_lshlrev_b32_sdwa v33, v33, v13 dst_sel:DWORD dst_unused:UNUSED_PAD src0_sel:DWORD src1_sel:BYTE_3
	v_cndmask_b32_e32 v32, v34, v32, vcc_lo
	v_and_b32_e32 v33, 7, v33
	v_lshl_add_u32 v32, v32, 23, 0x3b800000
	v_cndmask_b32_e32 v31, v31, v33, vcc_lo
	v_and_b32_e32 v33, 0x80000000, v13
	v_lshlrev_b32_e32 v31, 20, v31
	v_or3_b32 v31, v33, v32, v31
.LBB6_3436:                             ;   in Loop: Header=BB6_3177 Depth=4
	s_or_b32 exec_lo, exec_lo, s74
	v_cmp_gt_i16_sdwa s74, v9, v61 src0_sel:BYTE_3 src1_sel:DWORD
	s_mov_b32 s17, 0
	s_and_saveexec_b32 s75, s74
	s_xor_b32 s74, exec_lo, s75
	s_cbranch_execz .LBB6_3809
; %bb.3437:                             ;   in Loop: Header=BB6_3177 Depth=4
	v_cmp_eq_u16_sdwa s76, v9, v62 src0_sel:BYTE_3 src1_sel:DWORD
	s_mov_b32 s17, -1
	s_and_saveexec_b32 s75, s76
; %bb.3438:                             ;   in Loop: Header=BB6_3177 Depth=4
	s_xor_b32 s17, exec_lo, -1
; %bb.3439:                             ;   in Loop: Header=BB6_3177 Depth=4
	s_or_b32 exec_lo, exec_lo, s75
	s_and_b32 s17, s17, exec_lo
	s_or_saveexec_b32 s74, s74
	v_mov_b32_e32 v32, 0x7f800001
	s_xor_b32 exec_lo, exec_lo, s74
	s_cbranch_execnz .LBB6_3810
.LBB6_3440:                             ;   in Loop: Header=BB6_3177 Depth=4
	s_or_b32 exec_lo, exec_lo, s74
	s_and_saveexec_b32 s74, s17
.LBB6_3441:                             ;   in Loop: Header=BB6_3177 Depth=4
	v_mov_b32_e32 v32, v8
.LBB6_3442:                             ;   in Loop: Header=BB6_3177 Depth=4
	s_or_b32 exec_lo, exec_lo, s74
	v_max_f32_e32 v32, v32, v32
	v_max_f32_e32 v31, v31, v31
	s_mov_b32 s17, 0
	v_max_f32_e32 v31, v31, v32
.LBB6_3443:                             ;   in Loop: Header=BB6_3177 Depth=4
	s_and_b32 vcc_lo, exec_lo, s17
	s_cbranch_vccz .LBB6_3457
; %bb.3444:                             ;   in Loop: Header=BB6_3177 Depth=4
	v_cmp_gt_i16_sdwa s74, v13, v61 src0_sel:BYTE_3 src1_sel:DWORD
	s_mov_b32 s17, 0
	s_and_saveexec_b32 s75, s74
	s_xor_b32 s74, exec_lo, s75
	s_cbranch_execz .LBB6_3811
; %bb.3445:                             ;   in Loop: Header=BB6_3177 Depth=4
	v_cmp_eq_u16_sdwa s76, v13, v62 src0_sel:BYTE_3 src1_sel:DWORD
	s_mov_b32 s17, -1
	s_and_saveexec_b32 s75, s76
; %bb.3446:                             ;   in Loop: Header=BB6_3177 Depth=4
	s_xor_b32 s17, exec_lo, -1
; %bb.3447:                             ;   in Loop: Header=BB6_3177 Depth=4
	s_or_b32 exec_lo, exec_lo, s75
	s_and_b32 s17, s17, exec_lo
	s_or_saveexec_b32 s74, s74
	v_mov_b32_e32 v31, 0x7f800001
	s_xor_b32 exec_lo, exec_lo, s74
	s_cbranch_execnz .LBB6_3812
.LBB6_3448:                             ;   in Loop: Header=BB6_3177 Depth=4
	s_or_b32 exec_lo, exec_lo, s74
	s_and_saveexec_b32 s74, s17
	s_cbranch_execz .LBB6_3450
.LBB6_3449:                             ;   in Loop: Header=BB6_3177 Depth=4
	v_bfe_u32 v31, v13, 24, 3
	v_bfe_u32 v34, v13, 27, 4
	v_ffbh_u32_e32 v32, v31
	v_cmp_eq_u32_e32 vcc_lo, 0, v34
	v_min_u32_e32 v32, 32, v32
	v_subrev_nc_u32_e32 v33, 28, v32
	v_sub_nc_u32_e32 v32, 29, v32
	v_lshlrev_b32_sdwa v33, v33, v13 dst_sel:DWORD dst_unused:UNUSED_PAD src0_sel:DWORD src1_sel:BYTE_3
	v_cndmask_b32_e32 v32, v34, v32, vcc_lo
	v_and_b32_e32 v13, 0x80000000, v13
	v_and_b32_e32 v33, 7, v33
	v_lshl_add_u32 v32, v32, 23, 0x3b800000
	v_cndmask_b32_e32 v31, v31, v33, vcc_lo
	v_lshlrev_b32_e32 v31, 20, v31
	v_or3_b32 v31, v13, v32, v31
.LBB6_3450:                             ;   in Loop: Header=BB6_3177 Depth=4
	s_or_b32 exec_lo, exec_lo, s74
	v_cmp_gt_i16_sdwa s74, v9, v61 src0_sel:BYTE_3 src1_sel:DWORD
	s_mov_b32 s17, 0
	s_and_saveexec_b32 s75, s74
	s_xor_b32 s74, exec_lo, s75
	s_cbranch_execz .LBB6_3813
; %bb.3451:                             ;   in Loop: Header=BB6_3177 Depth=4
	v_cmp_eq_u16_sdwa s76, v9, v62 src0_sel:BYTE_3 src1_sel:DWORD
	s_mov_b32 s17, -1
	s_and_saveexec_b32 s75, s76
; %bb.3452:                             ;   in Loop: Header=BB6_3177 Depth=4
	s_xor_b32 s17, exec_lo, -1
; %bb.3453:                             ;   in Loop: Header=BB6_3177 Depth=4
	s_or_b32 exec_lo, exec_lo, s75
	s_and_b32 s17, s17, exec_lo
	s_or_saveexec_b32 s74, s74
	v_mov_b32_e32 v13, 0x7f800001
	s_xor_b32 exec_lo, exec_lo, s74
	s_cbranch_execnz .LBB6_3814
.LBB6_3454:                             ;   in Loop: Header=BB6_3177 Depth=4
	s_or_b32 exec_lo, exec_lo, s74
	s_and_saveexec_b32 s74, s17
.LBB6_3455:                             ;   in Loop: Header=BB6_3177 Depth=4
	v_mov_b32_e32 v13, v8
.LBB6_3456:                             ;   in Loop: Header=BB6_3177 Depth=4
	s_or_b32 exec_lo, exec_lo, s74
	v_max_f32_e32 v8, v13, v13
	v_max_f32_e32 v9, v31, v31
	v_min_f32_e32 v31, v9, v8
.LBB6_3457:                             ;   in Loop: Header=BB6_3177 Depth=4
	v_and_b32_e32 v8, 0x7f800000, v31
	v_mov_b32_e32 v13, 0x8000
	s_mov_b32 s74, exec_lo
	v_cmpx_ne_u32_e32 0x7f800000, v8
	s_cbranch_execz .LBB6_3465
; %bb.3458:                             ;   in Loop: Header=BB6_3177 Depth=4
	v_mov_b32_e32 v13, 0
	s_mov_b32 s75, exec_lo
	v_cmpx_ne_u32_e32 0, v31
	s_cbranch_execz .LBB6_3464
; %bb.3459:                             ;   in Loop: Header=BB6_3177 Depth=4
	v_bfe_u32 v8, v31, 23, 8
	v_and_b32_e32 v9, 0x7fffff, v31
	v_sub_nc_u32_e32 v13, 0x78, v8
	v_cmp_gt_u32_e32 vcc_lo, 0x79, v8
	v_or_b32_e32 v32, 0x800000, v9
	v_cndmask_b32_e32 v13, 0, v13, vcc_lo
	v_cmp_eq_u32_e32 vcc_lo, 0, v8
	v_add_nc_u32_e32 v8, 0xffffff89, v8
	v_cndmask_b32_e64 v13, v13, 0x77, vcc_lo
	v_cndmask_b32_e32 v9, v32, v9, vcc_lo
	v_cndmask_b32_e64 v8, v8, 0xffffff8a, vcc_lo
	v_lshl_add_u32 v32, 0x100000, v13, -1
	v_lshrrev_b32_e32 v33, v13, v9
	v_lshlrev_b32_e64 v35, v13, 0x80000
	v_add_nc_u32_e32 v13, v13, v8
	v_and_b32_e32 v9, v32, v9
	v_bfe_u32 v34, v33, 20, 1
	v_cmp_eq_u32_e64 s17, v9, v35
	v_add_nc_u32_e32 v32, -1, v34
	v_cndmask_b32_e64 v9, 0, v32, s17
	v_lshrrev_b32_e32 v32, 23, v33
	s_mov_b32 s17, exec_lo
	v_add_nc_u32_e32 v9, v9, v33
	v_xor_b32_e32 v32, 1, v32
	v_and_b32_e32 v8, 0xfffff, v9
	v_add_nc_u32_e32 v9, v8, v33
                                        ; implicit-def: $vgpr8
	v_cmpx_ne_u32_e64 v13, v32
	s_xor_b32 s17, exec_lo, s17
; %bb.3460:                             ;   in Loop: Header=BB6_3177 Depth=4
	v_cmp_lt_u32_e32 vcc_lo, 0xffffff, v9
	v_sub_nc_u32_e32 v8, v13, v32
	v_cndmask_b32_e64 v13, 0, 1, vcc_lo
	v_add_co_ci_u32_e64 v8, null, 0, v8, vcc_lo
	v_lshrrev_b32_e32 v9, v13, v9
; %bb.3461:                             ;   in Loop: Header=BB6_3177 Depth=4
	s_andn2_saveexec_b32 s17, s17
; %bb.3462:                             ;   in Loop: Header=BB6_3177 Depth=4
	v_bfe_u32 v8, v9, 23, 1
; %bb.3463:                             ;   in Loop: Header=BB6_3177 Depth=4
	s_or_b32 exec_lo, exec_lo, s17
	v_lshrrev_b32_e32 v9, 20, v9
	v_min_i32_e32 v13, 15, v8
	v_cmp_gt_i32_e32 vcc_lo, 16, v8
	v_and_b32_sdwa v31, v31, v62 dst_sel:DWORD dst_unused:UNUSED_PAD src0_sel:BYTE_3 src1_sel:DWORD
	v_lshlrev_b32_e32 v13, 3, v13
	v_cndmask_b32_e32 v9, 7, v9, vcc_lo
	v_and_b32_e32 v13, 0xf8, v13
	v_and_b32_e32 v32, 7, v9
	v_or_b32_e32 v8, v8, v9
	v_or3_b32 v13, v31, v13, v32
	v_cmp_ne_u32_e32 vcc_lo, 0, v8
	v_lshlrev_b32_e32 v9, 8, v13
	v_cndmask_b32_e32 v13, 0, v9, vcc_lo
.LBB6_3464:                             ;   in Loop: Header=BB6_3177 Depth=4
	s_or_b32 exec_lo, exec_lo, s75
.LBB6_3465:                             ;   in Loop: Header=BB6_3177 Depth=4
	s_or_b32 exec_lo, exec_lo, s74
	v_and_b32_e32 v8, 7, v10
	v_bfe_u32 v32, v10, 3, 4
	v_lshlrev_b32_e32 v33, 24, v10
	v_cmp_gt_i16_sdwa s74, v14, v61 src0_sel:BYTE_0 src1_sel:DWORD
	s_mov_b32 s17, -1
	v_ffbh_u32_e32 v9, v8
	v_cmp_eq_u32_e32 vcc_lo, 0, v32
	v_min_u32_e32 v9, 32, v9
	v_subrev_nc_u32_e32 v31, 28, v9
	v_sub_nc_u32_e32 v9, 29, v9
	v_lshlrev_b32_e32 v31, v31, v10
	v_cndmask_b32_e32 v9, v32, v9, vcc_lo
	v_and_b32_e32 v31, 7, v31
	v_lshl_add_u32 v9, v9, 23, 0x3b800000
	v_cndmask_b32_e32 v8, v8, v31, vcc_lo
	v_and_b32_e32 v31, 0x80000000, v33
	s_and_b32 vcc_lo, exec_lo, s73
	v_lshlrev_b32_e32 v8, 20, v8
	v_or3_b32 v8, v31, v9, v8
                                        ; implicit-def: $vgpr9
	s_cbranch_vccz .LBB6_3479
; %bb.3466:                             ;   in Loop: Header=BB6_3177 Depth=4
	s_mov_b32 s17, 0
	s_and_saveexec_b32 s75, s74
	s_xor_b32 s74, exec_lo, s75
	s_cbranch_execz .LBB6_3815
; %bb.3467:                             ;   in Loop: Header=BB6_3177 Depth=4
	v_cmp_eq_u16_sdwa s76, v14, v62 src0_sel:BYTE_0 src1_sel:DWORD
	s_mov_b32 s17, -1
	s_and_saveexec_b32 s75, s76
; %bb.3468:                             ;   in Loop: Header=BB6_3177 Depth=4
	s_xor_b32 s17, exec_lo, -1
; %bb.3469:                             ;   in Loop: Header=BB6_3177 Depth=4
	s_or_b32 exec_lo, exec_lo, s75
	s_and_b32 s17, s17, exec_lo
	s_or_saveexec_b32 s74, s74
	v_mov_b32_e32 v9, 0x7f800001
	s_xor_b32 exec_lo, exec_lo, s74
	s_cbranch_execnz .LBB6_3816
.LBB6_3470:                             ;   in Loop: Header=BB6_3177 Depth=4
	s_or_b32 exec_lo, exec_lo, s74
	s_and_saveexec_b32 s74, s17
	s_cbranch_execz .LBB6_3472
.LBB6_3471:                             ;   in Loop: Header=BB6_3177 Depth=4
	v_and_b32_e32 v9, 7, v14
	v_bfe_u32 v33, v14, 3, 4
	v_lshlrev_b32_e32 v34, 24, v14
	v_ffbh_u32_e32 v31, v9
	v_cmp_eq_u32_e32 vcc_lo, 0, v33
	v_min_u32_e32 v31, 32, v31
	v_subrev_nc_u32_e32 v32, 28, v31
	v_sub_nc_u32_e32 v31, 29, v31
	v_lshlrev_b32_e32 v32, v32, v14
	v_cndmask_b32_e32 v31, v33, v31, vcc_lo
	v_and_b32_e32 v32, 7, v32
	v_lshl_add_u32 v31, v31, 23, 0x3b800000
	v_cndmask_b32_e32 v9, v9, v32, vcc_lo
	v_and_b32_e32 v32, 0x80000000, v34
	v_lshlrev_b32_e32 v9, 20, v9
	v_or3_b32 v9, v32, v31, v9
.LBB6_3472:                             ;   in Loop: Header=BB6_3177 Depth=4
	s_or_b32 exec_lo, exec_lo, s74
	v_cmp_gt_i16_sdwa s74, v10, v61 src0_sel:BYTE_0 src1_sel:DWORD
	s_mov_b32 s17, 0
	s_and_saveexec_b32 s75, s74
	s_xor_b32 s74, exec_lo, s75
	s_cbranch_execz .LBB6_3817
; %bb.3473:                             ;   in Loop: Header=BB6_3177 Depth=4
	v_cmp_eq_u16_sdwa s76, v10, v62 src0_sel:BYTE_0 src1_sel:DWORD
	s_mov_b32 s17, -1
	s_and_saveexec_b32 s75, s76
; %bb.3474:                             ;   in Loop: Header=BB6_3177 Depth=4
	s_xor_b32 s17, exec_lo, -1
; %bb.3475:                             ;   in Loop: Header=BB6_3177 Depth=4
	s_or_b32 exec_lo, exec_lo, s75
	s_and_b32 s17, s17, exec_lo
	s_or_saveexec_b32 s74, s74
	v_mov_b32_e32 v31, 0x7f800001
	s_xor_b32 exec_lo, exec_lo, s74
	s_cbranch_execnz .LBB6_3818
.LBB6_3476:                             ;   in Loop: Header=BB6_3177 Depth=4
	s_or_b32 exec_lo, exec_lo, s74
	s_and_saveexec_b32 s74, s17
.LBB6_3477:                             ;   in Loop: Header=BB6_3177 Depth=4
	v_mov_b32_e32 v31, v8
.LBB6_3478:                             ;   in Loop: Header=BB6_3177 Depth=4
	s_or_b32 exec_lo, exec_lo, s74
	v_max_f32_e32 v31, v31, v31
	v_max_f32_e32 v9, v9, v9
	s_mov_b32 s17, 0
	v_max_f32_e32 v9, v9, v31
.LBB6_3479:                             ;   in Loop: Header=BB6_3177 Depth=4
	s_and_b32 vcc_lo, exec_lo, s17
	s_cbranch_vccz .LBB6_3493
; %bb.3480:                             ;   in Loop: Header=BB6_3177 Depth=4
	v_cmp_gt_i16_sdwa s74, v14, v61 src0_sel:BYTE_0 src1_sel:DWORD
	s_mov_b32 s17, 0
	s_and_saveexec_b32 s75, s74
	s_xor_b32 s74, exec_lo, s75
	s_cbranch_execz .LBB6_3819
; %bb.3481:                             ;   in Loop: Header=BB6_3177 Depth=4
	v_cmp_eq_u16_sdwa s76, v14, v62 src0_sel:BYTE_0 src1_sel:DWORD
	s_mov_b32 s17, -1
	s_and_saveexec_b32 s75, s76
; %bb.3482:                             ;   in Loop: Header=BB6_3177 Depth=4
	s_xor_b32 s17, exec_lo, -1
; %bb.3483:                             ;   in Loop: Header=BB6_3177 Depth=4
	s_or_b32 exec_lo, exec_lo, s75
	s_and_b32 s17, s17, exec_lo
	s_or_saveexec_b32 s74, s74
	v_mov_b32_e32 v9, 0x7f800001
	s_xor_b32 exec_lo, exec_lo, s74
	s_cbranch_execnz .LBB6_3820
.LBB6_3484:                             ;   in Loop: Header=BB6_3177 Depth=4
	s_or_b32 exec_lo, exec_lo, s74
	s_and_saveexec_b32 s74, s17
	s_cbranch_execz .LBB6_3486
.LBB6_3485:                             ;   in Loop: Header=BB6_3177 Depth=4
	v_and_b32_e32 v9, 7, v14
	v_bfe_u32 v33, v14, 3, 4
	v_lshlrev_b32_e32 v34, 24, v14
	v_ffbh_u32_e32 v31, v9
	v_cmp_eq_u32_e32 vcc_lo, 0, v33
	v_min_u32_e32 v31, 32, v31
	v_subrev_nc_u32_e32 v32, 28, v31
	v_sub_nc_u32_e32 v31, 29, v31
	v_lshlrev_b32_e32 v32, v32, v14
	v_cndmask_b32_e32 v31, v33, v31, vcc_lo
	v_and_b32_e32 v32, 7, v32
	v_lshl_add_u32 v31, v31, 23, 0x3b800000
	v_cndmask_b32_e32 v9, v9, v32, vcc_lo
	v_and_b32_e32 v32, 0x80000000, v34
	v_lshlrev_b32_e32 v9, 20, v9
	v_or3_b32 v9, v32, v31, v9
.LBB6_3486:                             ;   in Loop: Header=BB6_3177 Depth=4
	s_or_b32 exec_lo, exec_lo, s74
	v_cmp_gt_i16_sdwa s74, v10, v61 src0_sel:BYTE_0 src1_sel:DWORD
	s_mov_b32 s17, 0
	s_and_saveexec_b32 s75, s74
	s_xor_b32 s74, exec_lo, s75
	s_cbranch_execz .LBB6_3821
; %bb.3487:                             ;   in Loop: Header=BB6_3177 Depth=4
	v_cmp_eq_u16_sdwa s76, v10, v62 src0_sel:BYTE_0 src1_sel:DWORD
	s_mov_b32 s17, -1
	s_and_saveexec_b32 s75, s76
; %bb.3488:                             ;   in Loop: Header=BB6_3177 Depth=4
	s_xor_b32 s17, exec_lo, -1
; %bb.3489:                             ;   in Loop: Header=BB6_3177 Depth=4
	s_or_b32 exec_lo, exec_lo, s75
	s_and_b32 s17, s17, exec_lo
	s_or_saveexec_b32 s74, s74
	v_mov_b32_e32 v31, 0x7f800001
	s_xor_b32 exec_lo, exec_lo, s74
	s_cbranch_execnz .LBB6_3822
.LBB6_3490:                             ;   in Loop: Header=BB6_3177 Depth=4
	s_or_b32 exec_lo, exec_lo, s74
	s_and_saveexec_b32 s74, s17
.LBB6_3491:                             ;   in Loop: Header=BB6_3177 Depth=4
	v_mov_b32_e32 v31, v8
.LBB6_3492:                             ;   in Loop: Header=BB6_3177 Depth=4
	s_or_b32 exec_lo, exec_lo, s74
	v_max_f32_e32 v8, v31, v31
	v_max_f32_e32 v9, v9, v9
	v_min_f32_e32 v9, v9, v8
.LBB6_3493:                             ;   in Loop: Header=BB6_3177 Depth=4
	v_and_b32_e32 v8, 0x7f800000, v9
	v_mov_b32_e32 v31, 0x80
	s_mov_b32 s74, exec_lo
	v_cmpx_ne_u32_e32 0x7f800000, v8
	s_cbranch_execz .LBB6_3501
; %bb.3494:                             ;   in Loop: Header=BB6_3177 Depth=4
	v_mov_b32_e32 v31, 0
	s_mov_b32 s75, exec_lo
	v_cmpx_ne_u32_e32 0, v9
	s_cbranch_execz .LBB6_3500
; %bb.3495:                             ;   in Loop: Header=BB6_3177 Depth=4
	v_bfe_u32 v8, v9, 23, 8
	v_and_b32_e32 v31, 0x7fffff, v9
	v_sub_nc_u32_e32 v32, 0x78, v8
	v_cmp_gt_u32_e32 vcc_lo, 0x79, v8
	v_or_b32_e32 v33, 0x800000, v31
	v_cndmask_b32_e32 v32, 0, v32, vcc_lo
	v_cmp_eq_u32_e32 vcc_lo, 0, v8
	v_add_nc_u32_e32 v8, 0xffffff89, v8
	v_cndmask_b32_e64 v32, v32, 0x77, vcc_lo
	v_cndmask_b32_e32 v31, v33, v31, vcc_lo
	v_cndmask_b32_e64 v8, v8, 0xffffff8a, vcc_lo
	v_lshl_add_u32 v33, 0x100000, v32, -1
	v_lshrrev_b32_e32 v34, v32, v31
	v_lshlrev_b32_e64 v36, v32, 0x80000
	v_add_nc_u32_e32 v32, v32, v8
	v_and_b32_e32 v31, v33, v31
	v_bfe_u32 v35, v34, 20, 1
	v_cmp_eq_u32_e64 s17, v31, v36
	v_add_nc_u32_e32 v33, -1, v35
	v_cndmask_b32_e64 v31, 0, v33, s17
	v_lshrrev_b32_e32 v33, 23, v34
	s_mov_b32 s17, exec_lo
	v_add_nc_u32_e32 v31, v31, v34
	v_xor_b32_e32 v33, 1, v33
	v_and_b32_e32 v8, 0xfffff, v31
	v_add_nc_u32_e32 v31, v8, v34
                                        ; implicit-def: $vgpr8
	v_cmpx_ne_u32_e64 v32, v33
	s_xor_b32 s17, exec_lo, s17
; %bb.3496:                             ;   in Loop: Header=BB6_3177 Depth=4
	v_cmp_lt_u32_e32 vcc_lo, 0xffffff, v31
	v_sub_nc_u32_e32 v8, v32, v33
	v_cndmask_b32_e64 v32, 0, 1, vcc_lo
	v_add_co_ci_u32_e64 v8, null, 0, v8, vcc_lo
	v_lshrrev_b32_e32 v31, v32, v31
; %bb.3497:                             ;   in Loop: Header=BB6_3177 Depth=4
	s_andn2_saveexec_b32 s17, s17
; %bb.3498:                             ;   in Loop: Header=BB6_3177 Depth=4
	v_bfe_u32 v8, v31, 23, 1
; %bb.3499:                             ;   in Loop: Header=BB6_3177 Depth=4
	s_or_b32 exec_lo, exec_lo, s17
	v_lshrrev_b32_e32 v31, 20, v31
	v_min_i32_e32 v32, 15, v8
	v_cmp_gt_i32_e32 vcc_lo, 16, v8
	v_and_b32_sdwa v9, v9, v62 dst_sel:DWORD dst_unused:UNUSED_PAD src0_sel:BYTE_3 src1_sel:DWORD
	v_lshlrev_b32_e32 v32, 3, v32
	v_cndmask_b32_e32 v31, 7, v31, vcc_lo
	v_and_b32_e32 v32, 0xf8, v32
	v_and_b32_e32 v33, 7, v31
	v_or_b32_e32 v8, v8, v31
	v_or3_b32 v9, v32, v9, v33
	v_cmp_ne_u32_e32 vcc_lo, 0, v8
	v_cndmask_b32_e32 v31, 0, v9, vcc_lo
.LBB6_3500:                             ;   in Loop: Header=BB6_3177 Depth=4
	s_or_b32 exec_lo, exec_lo, s75
.LBB6_3501:                             ;   in Loop: Header=BB6_3177 Depth=4
	s_or_b32 exec_lo, exec_lo, s74
	v_and_b32_sdwa v8, v63, v10 dst_sel:DWORD dst_unused:UNUSED_PAD src0_sel:DWORD src1_sel:BYTE_1
	v_cmp_gt_i16_sdwa s74, v14, v61 src0_sel:BYTE_1 src1_sel:DWORD
	s_mov_b32 s17, -1
	v_and_b32_e32 v9, 7, v8
	v_bfe_u32 v34, v8, 3, 4
	v_ffbh_u32_e32 v32, v9
	v_cmp_eq_u32_e32 vcc_lo, 0, v34
	v_min_u32_e32 v32, 32, v32
	v_subrev_nc_u32_e32 v33, 28, v32
	v_sub_nc_u32_e32 v32, 29, v32
	v_lshlrev_b32_e32 v8, v33, v8
	v_lshlrev_b32_sdwa v33, v73, v10 dst_sel:DWORD dst_unused:UNUSED_PAD src0_sel:DWORD src1_sel:BYTE_1
	v_cndmask_b32_e32 v32, v34, v32, vcc_lo
	v_and_b32_e32 v8, 7, v8
	v_lshl_add_u32 v32, v32, 23, 0x3b800000
	v_cndmask_b32_e32 v8, v9, v8, vcc_lo
	v_and_b32_e32 v9, 0x80000000, v33
	s_and_b32 vcc_lo, exec_lo, s73
	v_lshlrev_b32_e32 v8, 20, v8
	v_or3_b32 v8, v9, v32, v8
                                        ; implicit-def: $vgpr9
	s_cbranch_vccz .LBB6_3515
; %bb.3502:                             ;   in Loop: Header=BB6_3177 Depth=4
	s_mov_b32 s17, 0
	s_and_saveexec_b32 s75, s74
	s_xor_b32 s74, exec_lo, s75
	s_cbranch_execz .LBB6_3823
; %bb.3503:                             ;   in Loop: Header=BB6_3177 Depth=4
	v_cmp_eq_u16_sdwa s76, v14, v62 src0_sel:BYTE_1 src1_sel:DWORD
	s_mov_b32 s17, -1
	s_and_saveexec_b32 s75, s76
; %bb.3504:                             ;   in Loop: Header=BB6_3177 Depth=4
	s_xor_b32 s17, exec_lo, -1
; %bb.3505:                             ;   in Loop: Header=BB6_3177 Depth=4
	s_or_b32 exec_lo, exec_lo, s75
	s_and_b32 s17, s17, exec_lo
	s_or_saveexec_b32 s74, s74
	v_mov_b32_e32 v9, 0x7f800001
	s_xor_b32 exec_lo, exec_lo, s74
	s_cbranch_execnz .LBB6_3824
.LBB6_3506:                             ;   in Loop: Header=BB6_3177 Depth=4
	s_or_b32 exec_lo, exec_lo, s74
	s_and_saveexec_b32 s74, s17
	s_cbranch_execz .LBB6_3508
.LBB6_3507:                             ;   in Loop: Header=BB6_3177 Depth=4
	v_and_b32_sdwa v9, v63, v14 dst_sel:DWORD dst_unused:UNUSED_PAD src0_sel:DWORD src1_sel:BYTE_1
	v_and_b32_e32 v32, 7, v9
	v_bfe_u32 v35, v9, 3, 4
	v_ffbh_u32_e32 v33, v32
	v_cmp_eq_u32_e32 vcc_lo, 0, v35
	v_min_u32_e32 v33, 32, v33
	v_subrev_nc_u32_e32 v34, 28, v33
	v_sub_nc_u32_e32 v33, 29, v33
	v_lshlrev_b32_e32 v9, v34, v9
	v_lshlrev_b32_e32 v34, 16, v14
	v_cndmask_b32_e32 v33, v35, v33, vcc_lo
	v_and_b32_e32 v9, 7, v9
	v_lshl_add_u32 v33, v33, 23, 0x3b800000
	v_cndmask_b32_e32 v9, v32, v9, vcc_lo
	v_and_b32_e32 v32, 0x80000000, v34
	v_lshlrev_b32_e32 v9, 20, v9
	v_or3_b32 v9, v32, v33, v9
.LBB6_3508:                             ;   in Loop: Header=BB6_3177 Depth=4
	s_or_b32 exec_lo, exec_lo, s74
	v_cmp_gt_i16_sdwa s74, v10, v61 src0_sel:BYTE_1 src1_sel:DWORD
	s_mov_b32 s17, 0
	s_and_saveexec_b32 s75, s74
	s_xor_b32 s74, exec_lo, s75
	s_cbranch_execz .LBB6_3825
; %bb.3509:                             ;   in Loop: Header=BB6_3177 Depth=4
	v_cmp_eq_u16_sdwa s76, v10, v62 src0_sel:BYTE_1 src1_sel:DWORD
	s_mov_b32 s17, -1
	s_and_saveexec_b32 s75, s76
; %bb.3510:                             ;   in Loop: Header=BB6_3177 Depth=4
	s_xor_b32 s17, exec_lo, -1
; %bb.3511:                             ;   in Loop: Header=BB6_3177 Depth=4
	s_or_b32 exec_lo, exec_lo, s75
	s_and_b32 s17, s17, exec_lo
	s_or_saveexec_b32 s74, s74
	v_mov_b32_e32 v32, 0x7f800001
	s_xor_b32 exec_lo, exec_lo, s74
	s_cbranch_execnz .LBB6_3826
.LBB6_3512:                             ;   in Loop: Header=BB6_3177 Depth=4
	s_or_b32 exec_lo, exec_lo, s74
	s_and_saveexec_b32 s74, s17
.LBB6_3513:                             ;   in Loop: Header=BB6_3177 Depth=4
	v_mov_b32_e32 v32, v8
.LBB6_3514:                             ;   in Loop: Header=BB6_3177 Depth=4
	s_or_b32 exec_lo, exec_lo, s74
	v_max_f32_e32 v32, v32, v32
	v_max_f32_e32 v9, v9, v9
	s_mov_b32 s17, 0
	v_max_f32_e32 v9, v9, v32
.LBB6_3515:                             ;   in Loop: Header=BB6_3177 Depth=4
	s_and_b32 vcc_lo, exec_lo, s17
	s_cbranch_vccz .LBB6_3529
; %bb.3516:                             ;   in Loop: Header=BB6_3177 Depth=4
	v_cmp_gt_i16_sdwa s74, v14, v61 src0_sel:BYTE_1 src1_sel:DWORD
	s_mov_b32 s17, 0
	s_and_saveexec_b32 s75, s74
	s_xor_b32 s74, exec_lo, s75
	s_cbranch_execz .LBB6_3827
; %bb.3517:                             ;   in Loop: Header=BB6_3177 Depth=4
	v_cmp_eq_u16_sdwa s76, v14, v62 src0_sel:BYTE_1 src1_sel:DWORD
	s_mov_b32 s17, -1
	s_and_saveexec_b32 s75, s76
; %bb.3518:                             ;   in Loop: Header=BB6_3177 Depth=4
	s_xor_b32 s17, exec_lo, -1
; %bb.3519:                             ;   in Loop: Header=BB6_3177 Depth=4
	s_or_b32 exec_lo, exec_lo, s75
	s_and_b32 s17, s17, exec_lo
	s_or_saveexec_b32 s74, s74
	v_mov_b32_e32 v9, 0x7f800001
	s_xor_b32 exec_lo, exec_lo, s74
	s_cbranch_execnz .LBB6_3828
.LBB6_3520:                             ;   in Loop: Header=BB6_3177 Depth=4
	s_or_b32 exec_lo, exec_lo, s74
	s_and_saveexec_b32 s74, s17
	s_cbranch_execz .LBB6_3522
.LBB6_3521:                             ;   in Loop: Header=BB6_3177 Depth=4
	v_and_b32_sdwa v9, v63, v14 dst_sel:DWORD dst_unused:UNUSED_PAD src0_sel:DWORD src1_sel:BYTE_1
	v_and_b32_e32 v32, 7, v9
	v_bfe_u32 v35, v9, 3, 4
	v_ffbh_u32_e32 v33, v32
	v_cmp_eq_u32_e32 vcc_lo, 0, v35
	v_min_u32_e32 v33, 32, v33
	v_subrev_nc_u32_e32 v34, 28, v33
	v_sub_nc_u32_e32 v33, 29, v33
	v_lshlrev_b32_e32 v9, v34, v9
	v_lshlrev_b32_e32 v34, 16, v14
	v_cndmask_b32_e32 v33, v35, v33, vcc_lo
	v_and_b32_e32 v9, 7, v9
	v_lshl_add_u32 v33, v33, 23, 0x3b800000
	v_cndmask_b32_e32 v9, v32, v9, vcc_lo
	v_and_b32_e32 v32, 0x80000000, v34
	v_lshlrev_b32_e32 v9, 20, v9
	v_or3_b32 v9, v32, v33, v9
.LBB6_3522:                             ;   in Loop: Header=BB6_3177 Depth=4
	s_or_b32 exec_lo, exec_lo, s74
	v_cmp_gt_i16_sdwa s74, v10, v61 src0_sel:BYTE_1 src1_sel:DWORD
	s_mov_b32 s17, 0
	s_and_saveexec_b32 s75, s74
	s_xor_b32 s74, exec_lo, s75
	s_cbranch_execz .LBB6_3829
; %bb.3523:                             ;   in Loop: Header=BB6_3177 Depth=4
	v_cmp_eq_u16_sdwa s76, v10, v62 src0_sel:BYTE_1 src1_sel:DWORD
	s_mov_b32 s17, -1
	s_and_saveexec_b32 s75, s76
; %bb.3524:                             ;   in Loop: Header=BB6_3177 Depth=4
	s_xor_b32 s17, exec_lo, -1
; %bb.3525:                             ;   in Loop: Header=BB6_3177 Depth=4
	s_or_b32 exec_lo, exec_lo, s75
	s_and_b32 s17, s17, exec_lo
	s_or_saveexec_b32 s74, s74
	v_mov_b32_e32 v32, 0x7f800001
	s_xor_b32 exec_lo, exec_lo, s74
	s_cbranch_execnz .LBB6_3830
.LBB6_3526:                             ;   in Loop: Header=BB6_3177 Depth=4
	s_or_b32 exec_lo, exec_lo, s74
	s_and_saveexec_b32 s74, s17
.LBB6_3527:                             ;   in Loop: Header=BB6_3177 Depth=4
	v_mov_b32_e32 v32, v8
.LBB6_3528:                             ;   in Loop: Header=BB6_3177 Depth=4
	s_or_b32 exec_lo, exec_lo, s74
	v_max_f32_e32 v8, v32, v32
	v_max_f32_e32 v9, v9, v9
	v_min_f32_e32 v9, v9, v8
.LBB6_3529:                             ;   in Loop: Header=BB6_3177 Depth=4
	v_and_b32_e32 v8, 0x7f800000, v9
	v_mov_b32_e32 v32, 0x8000
	s_mov_b32 s74, exec_lo
	v_cmpx_ne_u32_e32 0x7f800000, v8
	s_cbranch_execz .LBB6_3537
; %bb.3530:                             ;   in Loop: Header=BB6_3177 Depth=4
	v_mov_b32_e32 v32, 0
	s_mov_b32 s75, exec_lo
	v_cmpx_ne_u32_e32 0, v9
	s_cbranch_execz .LBB6_3536
; %bb.3531:                             ;   in Loop: Header=BB6_3177 Depth=4
	v_bfe_u32 v8, v9, 23, 8
	v_and_b32_e32 v32, 0x7fffff, v9
	v_sub_nc_u32_e32 v33, 0x78, v8
	v_cmp_gt_u32_e32 vcc_lo, 0x79, v8
	v_or_b32_e32 v34, 0x800000, v32
	v_cndmask_b32_e32 v33, 0, v33, vcc_lo
	v_cmp_eq_u32_e32 vcc_lo, 0, v8
	v_add_nc_u32_e32 v8, 0xffffff89, v8
	v_cndmask_b32_e64 v33, v33, 0x77, vcc_lo
	v_cndmask_b32_e32 v32, v34, v32, vcc_lo
	v_cndmask_b32_e64 v8, v8, 0xffffff8a, vcc_lo
	v_lshl_add_u32 v34, 0x100000, v33, -1
	v_lshrrev_b32_e32 v35, v33, v32
	v_lshlrev_b32_e64 v37, v33, 0x80000
	v_add_nc_u32_e32 v33, v33, v8
	v_and_b32_e32 v32, v34, v32
	v_bfe_u32 v36, v35, 20, 1
	v_cmp_eq_u32_e64 s17, v32, v37
	v_add_nc_u32_e32 v34, -1, v36
	v_cndmask_b32_e64 v32, 0, v34, s17
	v_lshrrev_b32_e32 v34, 23, v35
	s_mov_b32 s17, exec_lo
	v_add_nc_u32_e32 v32, v32, v35
	v_xor_b32_e32 v34, 1, v34
	v_and_b32_e32 v8, 0xfffff, v32
	v_add_nc_u32_e32 v32, v8, v35
                                        ; implicit-def: $vgpr8
	v_cmpx_ne_u32_e64 v33, v34
	s_xor_b32 s17, exec_lo, s17
; %bb.3532:                             ;   in Loop: Header=BB6_3177 Depth=4
	v_cmp_lt_u32_e32 vcc_lo, 0xffffff, v32
	v_sub_nc_u32_e32 v8, v33, v34
	v_cndmask_b32_e64 v33, 0, 1, vcc_lo
	v_add_co_ci_u32_e64 v8, null, 0, v8, vcc_lo
	v_lshrrev_b32_e32 v32, v33, v32
; %bb.3533:                             ;   in Loop: Header=BB6_3177 Depth=4
	s_andn2_saveexec_b32 s17, s17
; %bb.3534:                             ;   in Loop: Header=BB6_3177 Depth=4
	v_bfe_u32 v8, v32, 23, 1
; %bb.3535:                             ;   in Loop: Header=BB6_3177 Depth=4
	s_or_b32 exec_lo, exec_lo, s17
	v_lshrrev_b32_e32 v32, 20, v32
	v_min_i32_e32 v33, 15, v8
	v_cmp_gt_i32_e32 vcc_lo, 16, v8
	v_and_b32_sdwa v9, v9, v62 dst_sel:DWORD dst_unused:UNUSED_PAD src0_sel:BYTE_3 src1_sel:DWORD
	v_lshlrev_b32_e32 v33, 3, v33
	v_cndmask_b32_e32 v32, 7, v32, vcc_lo
	v_and_b32_e32 v33, 0xf8, v33
	v_and_b32_e32 v34, 7, v32
	v_or_b32_e32 v8, v8, v32
	v_or3_b32 v9, v9, v33, v34
	v_cmp_ne_u32_e32 vcc_lo, 0, v8
	v_lshlrev_b32_e32 v9, 8, v9
	v_cndmask_b32_e32 v32, 0, v9, vcc_lo
.LBB6_3536:                             ;   in Loop: Header=BB6_3177 Depth=4
	s_or_b32 exec_lo, exec_lo, s75
.LBB6_3537:                             ;   in Loop: Header=BB6_3177 Depth=4
	s_or_b32 exec_lo, exec_lo, s74
	v_bfe_u32 v8, v10, 16, 3
	v_bfe_u32 v34, v10, 19, 4
	v_lshlrev_b32_e32 v35, 8, v10
	s_mov_b32 s74, -1
	v_ffbh_u32_e32 v9, v8
	v_cmp_eq_u32_e32 vcc_lo, 0, v34
	v_min_u32_e32 v9, 32, v9
	v_subrev_nc_u32_e32 v33, 28, v9
	v_sub_nc_u32_e32 v9, 29, v9
	v_lshlrev_b32_sdwa v33, v33, v10 dst_sel:DWORD dst_unused:UNUSED_PAD src0_sel:DWORD src1_sel:WORD_1
	v_cndmask_b32_e32 v9, v34, v9, vcc_lo
	v_and_b32_e32 v33, 7, v33
	v_lshl_add_u32 v34, v9, 23, 0x3b800000
	v_and_b32_sdwa v9, v14, v72 dst_sel:DWORD dst_unused:UNUSED_PAD src0_sel:WORD_1 src1_sel:DWORD
	v_cndmask_b32_e32 v8, v8, v33, vcc_lo
	v_and_b32_e32 v33, 0x80000000, v35
	v_cmp_lt_i16_e64 s17, 0x7f, v9
	s_and_b32 vcc_lo, exec_lo, s73
	v_lshlrev_b32_e32 v8, 20, v8
	v_or3_b32 v8, v33, v34, v8
                                        ; implicit-def: $vgpr34
	s_cbranch_vccz .LBB6_3551
; %bb.3538:                             ;   in Loop: Header=BB6_3177 Depth=4
	s_mov_b32 s74, 0
	s_and_saveexec_b32 s75, s17
	s_xor_b32 s17, exec_lo, s75
	s_cbranch_execz .LBB6_3831
; %bb.3539:                             ;   in Loop: Header=BB6_3177 Depth=4
	s_mov_b32 s74, -1
	s_mov_b32 s75, exec_lo
	v_cmpx_eq_u16_e32 0x80, v9
; %bb.3540:                             ;   in Loop: Header=BB6_3177 Depth=4
	s_xor_b32 s74, exec_lo, -1
; %bb.3541:                             ;   in Loop: Header=BB6_3177 Depth=4
	s_or_b32 exec_lo, exec_lo, s75
	s_and_b32 s74, s74, exec_lo
	s_or_saveexec_b32 s17, s17
	v_mov_b32_e32 v33, 0x7f800001
	s_xor_b32 exec_lo, exec_lo, s17
	s_cbranch_execnz .LBB6_3832
.LBB6_3542:                             ;   in Loop: Header=BB6_3177 Depth=4
	s_or_b32 exec_lo, exec_lo, s17
	s_and_saveexec_b32 s17, s74
	s_cbranch_execz .LBB6_3544
.LBB6_3543:                             ;   in Loop: Header=BB6_3177 Depth=4
	v_bfe_u32 v33, v14, 16, 3
	v_bfe_u32 v36, v14, 19, 4
	v_lshlrev_b32_sdwa v37, v73, v14 dst_sel:DWORD dst_unused:UNUSED_PAD src0_sel:DWORD src1_sel:WORD_1
	v_ffbh_u32_e32 v34, v33
	v_cmp_eq_u32_e32 vcc_lo, 0, v36
	v_min_u32_e32 v34, 32, v34
	v_subrev_nc_u32_e32 v35, 28, v34
	v_sub_nc_u32_e32 v34, 29, v34
	v_lshlrev_b32_sdwa v35, v35, v14 dst_sel:DWORD dst_unused:UNUSED_PAD src0_sel:DWORD src1_sel:WORD_1
	v_cndmask_b32_e32 v34, v36, v34, vcc_lo
	v_and_b32_e32 v35, 7, v35
	v_lshl_add_u32 v34, v34, 23, 0x3b800000
	v_cndmask_b32_e32 v33, v33, v35, vcc_lo
	v_and_b32_e32 v35, 0x80000000, v37
	v_lshlrev_b32_e32 v33, 20, v33
	v_or3_b32 v33, v35, v34, v33
.LBB6_3544:                             ;   in Loop: Header=BB6_3177 Depth=4
	s_or_b32 exec_lo, exec_lo, s17
	v_and_b32_sdwa v35, v10, v72 dst_sel:DWORD dst_unused:UNUSED_PAD src0_sel:WORD_1 src1_sel:DWORD
	s_mov_b32 s17, 0
	s_mov_b32 s74, exec_lo
	v_cmpx_lt_i16_e32 0x7f, v35
	s_xor_b32 s74, exec_lo, s74
	s_cbranch_execz .LBB6_3833
; %bb.3545:                             ;   in Loop: Header=BB6_3177 Depth=4
	s_mov_b32 s17, -1
	s_mov_b32 s75, exec_lo
	v_cmpx_eq_u16_e32 0x80, v35
; %bb.3546:                             ;   in Loop: Header=BB6_3177 Depth=4
	s_xor_b32 s17, exec_lo, -1
; %bb.3547:                             ;   in Loop: Header=BB6_3177 Depth=4
	s_or_b32 exec_lo, exec_lo, s75
	s_and_b32 s17, s17, exec_lo
                                        ; implicit-def: $vgpr35
	s_or_saveexec_b32 s74, s74
	v_mov_b32_e32 v34, 0x7f800001
	s_xor_b32 exec_lo, exec_lo, s74
	s_cbranch_execnz .LBB6_3834
.LBB6_3548:                             ;   in Loop: Header=BB6_3177 Depth=4
	s_or_b32 exec_lo, exec_lo, s74
	s_and_saveexec_b32 s74, s17
.LBB6_3549:                             ;   in Loop: Header=BB6_3177 Depth=4
	v_mov_b32_e32 v34, v8
.LBB6_3550:                             ;   in Loop: Header=BB6_3177 Depth=4
	s_or_b32 exec_lo, exec_lo, s74
	v_max_f32_e32 v34, v34, v34
	v_max_f32_e32 v33, v33, v33
	s_mov_b32 s74, 0
	v_max_f32_e32 v34, v33, v34
.LBB6_3551:                             ;   in Loop: Header=BB6_3177 Depth=4
	s_and_b32 vcc_lo, exec_lo, s74
	s_cbranch_vccz .LBB6_3565
; %bb.3552:                             ;   in Loop: Header=BB6_3177 Depth=4
	s_mov_b32 s17, 0
	s_mov_b32 s74, exec_lo
	v_cmpx_lt_i16_e32 0x7f, v9
	s_xor_b32 s74, exec_lo, s74
	s_cbranch_execz .LBB6_3835
; %bb.3553:                             ;   in Loop: Header=BB6_3177 Depth=4
	s_mov_b32 s17, -1
	s_mov_b32 s75, exec_lo
	v_cmpx_eq_u16_e32 0x80, v9
; %bb.3554:                             ;   in Loop: Header=BB6_3177 Depth=4
	s_xor_b32 s17, exec_lo, -1
; %bb.3555:                             ;   in Loop: Header=BB6_3177 Depth=4
	s_or_b32 exec_lo, exec_lo, s75
	s_and_b32 s17, s17, exec_lo
                                        ; implicit-def: $vgpr9
	s_or_saveexec_b32 s74, s74
	v_mov_b32_e32 v33, 0x7f800001
	s_xor_b32 exec_lo, exec_lo, s74
	s_cbranch_execnz .LBB6_3836
.LBB6_3556:                             ;   in Loop: Header=BB6_3177 Depth=4
	s_or_b32 exec_lo, exec_lo, s74
	s_and_saveexec_b32 s74, s17
	s_cbranch_execz .LBB6_3558
.LBB6_3557:                             ;   in Loop: Header=BB6_3177 Depth=4
	v_bfe_u32 v9, v14, 16, 3
	v_bfe_u32 v35, v14, 19, 4
	v_lshlrev_b32_sdwa v36, v73, v14 dst_sel:DWORD dst_unused:UNUSED_PAD src0_sel:DWORD src1_sel:WORD_1
	v_ffbh_u32_e32 v33, v9
	v_cmp_eq_u32_e32 vcc_lo, 0, v35
	v_min_u32_e32 v33, 32, v33
	v_subrev_nc_u32_e32 v34, 28, v33
	v_sub_nc_u32_e32 v33, 29, v33
	v_lshlrev_b32_sdwa v34, v34, v14 dst_sel:DWORD dst_unused:UNUSED_PAD src0_sel:DWORD src1_sel:WORD_1
	v_cndmask_b32_e32 v33, v35, v33, vcc_lo
	v_and_b32_e32 v34, 7, v34
	v_lshl_add_u32 v33, v33, 23, 0x3b800000
	v_cndmask_b32_e32 v9, v9, v34, vcc_lo
	v_and_b32_e32 v34, 0x80000000, v36
	v_lshlrev_b32_e32 v9, 20, v9
	v_or3_b32 v33, v34, v33, v9
.LBB6_3558:                             ;   in Loop: Header=BB6_3177 Depth=4
	s_or_b32 exec_lo, exec_lo, s74
	v_and_b32_sdwa v34, v10, v72 dst_sel:DWORD dst_unused:UNUSED_PAD src0_sel:WORD_1 src1_sel:DWORD
	s_mov_b32 s17, 0
	s_mov_b32 s74, exec_lo
	v_cmpx_lt_i16_e32 0x7f, v34
	s_xor_b32 s74, exec_lo, s74
	s_cbranch_execz .LBB6_3837
; %bb.3559:                             ;   in Loop: Header=BB6_3177 Depth=4
	s_mov_b32 s17, -1
	s_mov_b32 s75, exec_lo
	v_cmpx_eq_u16_e32 0x80, v34
; %bb.3560:                             ;   in Loop: Header=BB6_3177 Depth=4
	s_xor_b32 s17, exec_lo, -1
; %bb.3561:                             ;   in Loop: Header=BB6_3177 Depth=4
	s_or_b32 exec_lo, exec_lo, s75
	s_and_b32 s17, s17, exec_lo
                                        ; implicit-def: $vgpr34
	s_or_saveexec_b32 s74, s74
	v_mov_b32_e32 v9, 0x7f800001
	s_xor_b32 exec_lo, exec_lo, s74
	s_cbranch_execnz .LBB6_3838
.LBB6_3562:                             ;   in Loop: Header=BB6_3177 Depth=4
	s_or_b32 exec_lo, exec_lo, s74
	s_and_saveexec_b32 s74, s17
.LBB6_3563:                             ;   in Loop: Header=BB6_3177 Depth=4
	v_mov_b32_e32 v9, v8
.LBB6_3564:                             ;   in Loop: Header=BB6_3177 Depth=4
	s_or_b32 exec_lo, exec_lo, s74
	v_max_f32_e32 v8, v9, v9
	v_max_f32_e32 v9, v33, v33
	v_min_f32_e32 v34, v9, v8
.LBB6_3565:                             ;   in Loop: Header=BB6_3177 Depth=4
	v_and_b32_e32 v8, 0x7f800000, v34
	v_mov_b32_e32 v33, 0x80
	s_mov_b32 s74, exec_lo
	v_cmpx_ne_u32_e32 0x7f800000, v8
	s_cbranch_execz .LBB6_3573
; %bb.3566:                             ;   in Loop: Header=BB6_3177 Depth=4
	v_mov_b32_e32 v33, 0
	s_mov_b32 s75, exec_lo
	v_cmpx_ne_u32_e32 0, v34
	s_cbranch_execz .LBB6_3572
; %bb.3567:                             ;   in Loop: Header=BB6_3177 Depth=4
	v_bfe_u32 v8, v34, 23, 8
	v_and_b32_e32 v9, 0x7fffff, v34
	v_sub_nc_u32_e32 v33, 0x78, v8
	v_cmp_gt_u32_e32 vcc_lo, 0x79, v8
	v_or_b32_e32 v35, 0x800000, v9
	v_cndmask_b32_e32 v33, 0, v33, vcc_lo
	v_cmp_eq_u32_e32 vcc_lo, 0, v8
	v_add_nc_u32_e32 v8, 0xffffff89, v8
	v_cndmask_b32_e64 v33, v33, 0x77, vcc_lo
	v_cndmask_b32_e32 v9, v35, v9, vcc_lo
	v_cndmask_b32_e64 v8, v8, 0xffffff8a, vcc_lo
	v_lshl_add_u32 v35, 0x100000, v33, -1
	v_lshrrev_b32_e32 v36, v33, v9
	v_lshlrev_b32_e64 v38, v33, 0x80000
	v_add_nc_u32_e32 v33, v33, v8
	v_and_b32_e32 v9, v35, v9
	v_bfe_u32 v37, v36, 20, 1
	v_cmp_eq_u32_e64 s17, v9, v38
	v_add_nc_u32_e32 v35, -1, v37
	v_cndmask_b32_e64 v9, 0, v35, s17
	v_lshrrev_b32_e32 v35, 23, v36
	s_mov_b32 s17, exec_lo
	v_add_nc_u32_e32 v9, v9, v36
	v_xor_b32_e32 v35, 1, v35
	v_and_b32_e32 v8, 0xfffff, v9
	v_add_nc_u32_e32 v9, v8, v36
                                        ; implicit-def: $vgpr8
	v_cmpx_ne_u32_e64 v33, v35
	s_xor_b32 s17, exec_lo, s17
; %bb.3568:                             ;   in Loop: Header=BB6_3177 Depth=4
	v_cmp_lt_u32_e32 vcc_lo, 0xffffff, v9
	v_sub_nc_u32_e32 v8, v33, v35
	v_cndmask_b32_e64 v33, 0, 1, vcc_lo
	v_add_co_ci_u32_e64 v8, null, 0, v8, vcc_lo
	v_lshrrev_b32_e32 v9, v33, v9
; %bb.3569:                             ;   in Loop: Header=BB6_3177 Depth=4
	s_andn2_saveexec_b32 s17, s17
; %bb.3570:                             ;   in Loop: Header=BB6_3177 Depth=4
	v_bfe_u32 v8, v9, 23, 1
; %bb.3571:                             ;   in Loop: Header=BB6_3177 Depth=4
	s_or_b32 exec_lo, exec_lo, s17
	v_lshrrev_b32_e32 v9, 20, v9
	v_min_i32_e32 v33, 15, v8
	v_cmp_gt_i32_e32 vcc_lo, 16, v8
	v_and_b32_sdwa v34, v34, v62 dst_sel:DWORD dst_unused:UNUSED_PAD src0_sel:BYTE_3 src1_sel:DWORD
	v_lshlrev_b32_e32 v33, 3, v33
	v_cndmask_b32_e32 v9, 7, v9, vcc_lo
	v_and_b32_e32 v33, 0xf8, v33
	v_and_b32_e32 v35, 7, v9
	v_or_b32_e32 v8, v8, v9
	v_or3_b32 v9, v33, v34, v35
	v_cmp_ne_u32_e32 vcc_lo, 0, v8
	v_cndmask_b32_e32 v33, 0, v9, vcc_lo
.LBB6_3572:                             ;   in Loop: Header=BB6_3177 Depth=4
	s_or_b32 exec_lo, exec_lo, s75
.LBB6_3573:                             ;   in Loop: Header=BB6_3177 Depth=4
	s_or_b32 exec_lo, exec_lo, s74
	v_bfe_u32 v8, v10, 24, 3
	v_bfe_u32 v35, v10, 27, 4
	v_cmp_gt_i16_sdwa s74, v14, v61 src0_sel:BYTE_3 src1_sel:DWORD
	s_mov_b32 s17, -1
	v_ffbh_u32_e32 v9, v8
	v_cmp_eq_u32_e32 vcc_lo, 0, v35
	v_min_u32_e32 v9, 32, v9
	v_subrev_nc_u32_e32 v34, 28, v9
	v_sub_nc_u32_e32 v9, 29, v9
	v_lshlrev_b32_sdwa v34, v34, v10 dst_sel:DWORD dst_unused:UNUSED_PAD src0_sel:DWORD src1_sel:BYTE_3
	v_cndmask_b32_e32 v9, v35, v9, vcc_lo
	v_and_b32_e32 v34, 7, v34
	v_lshl_add_u32 v9, v9, 23, 0x3b800000
	v_cndmask_b32_e32 v8, v8, v34, vcc_lo
	v_and_b32_e32 v34, 0x80000000, v10
	s_and_b32 vcc_lo, exec_lo, s73
	v_lshlrev_b32_e32 v8, 20, v8
	v_or3_b32 v8, v34, v9, v8
                                        ; implicit-def: $vgpr9
	s_cbranch_vccz .LBB6_3587
; %bb.3574:                             ;   in Loop: Header=BB6_3177 Depth=4
	s_mov_b32 s17, 0
	s_and_saveexec_b32 s75, s74
	s_xor_b32 s74, exec_lo, s75
	s_cbranch_execz .LBB6_3839
; %bb.3575:                             ;   in Loop: Header=BB6_3177 Depth=4
	v_cmp_eq_u16_sdwa s76, v14, v62 src0_sel:BYTE_3 src1_sel:DWORD
	s_mov_b32 s17, -1
	s_and_saveexec_b32 s75, s76
; %bb.3576:                             ;   in Loop: Header=BB6_3177 Depth=4
	s_xor_b32 s17, exec_lo, -1
; %bb.3577:                             ;   in Loop: Header=BB6_3177 Depth=4
	s_or_b32 exec_lo, exec_lo, s75
	s_and_b32 s17, s17, exec_lo
	s_or_saveexec_b32 s74, s74
	v_mov_b32_e32 v9, 0x7f800001
	s_xor_b32 exec_lo, exec_lo, s74
	s_cbranch_execnz .LBB6_3840
.LBB6_3578:                             ;   in Loop: Header=BB6_3177 Depth=4
	s_or_b32 exec_lo, exec_lo, s74
	s_and_saveexec_b32 s74, s17
	s_cbranch_execz .LBB6_3580
.LBB6_3579:                             ;   in Loop: Header=BB6_3177 Depth=4
	v_bfe_u32 v9, v14, 24, 3
	v_bfe_u32 v36, v14, 27, 4
	v_ffbh_u32_e32 v34, v9
	v_cmp_eq_u32_e32 vcc_lo, 0, v36
	v_min_u32_e32 v34, 32, v34
	v_subrev_nc_u32_e32 v35, 28, v34
	v_sub_nc_u32_e32 v34, 29, v34
	v_lshlrev_b32_sdwa v35, v35, v14 dst_sel:DWORD dst_unused:UNUSED_PAD src0_sel:DWORD src1_sel:BYTE_3
	v_cndmask_b32_e32 v34, v36, v34, vcc_lo
	v_and_b32_e32 v35, 7, v35
	v_lshl_add_u32 v34, v34, 23, 0x3b800000
	v_cndmask_b32_e32 v9, v9, v35, vcc_lo
	v_and_b32_e32 v35, 0x80000000, v14
	v_lshlrev_b32_e32 v9, 20, v9
	v_or3_b32 v9, v35, v34, v9
.LBB6_3580:                             ;   in Loop: Header=BB6_3177 Depth=4
	s_or_b32 exec_lo, exec_lo, s74
	v_cmp_gt_i16_sdwa s74, v10, v61 src0_sel:BYTE_3 src1_sel:DWORD
	s_mov_b32 s17, 0
	s_and_saveexec_b32 s75, s74
	s_xor_b32 s74, exec_lo, s75
	s_cbranch_execz .LBB6_3841
; %bb.3581:                             ;   in Loop: Header=BB6_3177 Depth=4
	v_cmp_eq_u16_sdwa s76, v10, v62 src0_sel:BYTE_3 src1_sel:DWORD
	s_mov_b32 s17, -1
	s_and_saveexec_b32 s75, s76
; %bb.3582:                             ;   in Loop: Header=BB6_3177 Depth=4
	s_xor_b32 s17, exec_lo, -1
; %bb.3583:                             ;   in Loop: Header=BB6_3177 Depth=4
	s_or_b32 exec_lo, exec_lo, s75
	s_and_b32 s17, s17, exec_lo
	s_or_saveexec_b32 s74, s74
	v_mov_b32_e32 v34, 0x7f800001
	s_xor_b32 exec_lo, exec_lo, s74
	s_cbranch_execnz .LBB6_3842
.LBB6_3584:                             ;   in Loop: Header=BB6_3177 Depth=4
	s_or_b32 exec_lo, exec_lo, s74
	s_and_saveexec_b32 s74, s17
.LBB6_3585:                             ;   in Loop: Header=BB6_3177 Depth=4
	v_mov_b32_e32 v34, v8
.LBB6_3586:                             ;   in Loop: Header=BB6_3177 Depth=4
	s_or_b32 exec_lo, exec_lo, s74
	v_max_f32_e32 v34, v34, v34
	v_max_f32_e32 v9, v9, v9
	s_mov_b32 s17, 0
	v_max_f32_e32 v9, v9, v34
.LBB6_3587:                             ;   in Loop: Header=BB6_3177 Depth=4
	s_and_b32 vcc_lo, exec_lo, s17
	s_cbranch_vccz .LBB6_3601
; %bb.3588:                             ;   in Loop: Header=BB6_3177 Depth=4
	v_cmp_gt_i16_sdwa s74, v14, v61 src0_sel:BYTE_3 src1_sel:DWORD
	s_mov_b32 s17, 0
	s_and_saveexec_b32 s75, s74
	s_xor_b32 s74, exec_lo, s75
	s_cbranch_execz .LBB6_3843
; %bb.3589:                             ;   in Loop: Header=BB6_3177 Depth=4
	v_cmp_eq_u16_sdwa s76, v14, v62 src0_sel:BYTE_3 src1_sel:DWORD
	s_mov_b32 s17, -1
	s_and_saveexec_b32 s75, s76
; %bb.3590:                             ;   in Loop: Header=BB6_3177 Depth=4
	s_xor_b32 s17, exec_lo, -1
; %bb.3591:                             ;   in Loop: Header=BB6_3177 Depth=4
	s_or_b32 exec_lo, exec_lo, s75
	s_and_b32 s17, s17, exec_lo
	s_or_saveexec_b32 s74, s74
	v_mov_b32_e32 v9, 0x7f800001
	s_xor_b32 exec_lo, exec_lo, s74
	s_cbranch_execnz .LBB6_3844
.LBB6_3592:                             ;   in Loop: Header=BB6_3177 Depth=4
	s_or_b32 exec_lo, exec_lo, s74
	s_and_saveexec_b32 s74, s17
	s_cbranch_execz .LBB6_3594
.LBB6_3593:                             ;   in Loop: Header=BB6_3177 Depth=4
	v_bfe_u32 v9, v14, 24, 3
	v_bfe_u32 v36, v14, 27, 4
	v_ffbh_u32_e32 v34, v9
	v_cmp_eq_u32_e32 vcc_lo, 0, v36
	v_min_u32_e32 v34, 32, v34
	v_subrev_nc_u32_e32 v35, 28, v34
	v_sub_nc_u32_e32 v34, 29, v34
	v_lshlrev_b32_sdwa v35, v35, v14 dst_sel:DWORD dst_unused:UNUSED_PAD src0_sel:DWORD src1_sel:BYTE_3
	v_cndmask_b32_e32 v34, v36, v34, vcc_lo
	v_and_b32_e32 v14, 0x80000000, v14
	v_and_b32_e32 v35, 7, v35
	v_lshl_add_u32 v34, v34, 23, 0x3b800000
	v_cndmask_b32_e32 v9, v9, v35, vcc_lo
	v_lshlrev_b32_e32 v9, 20, v9
	v_or3_b32 v9, v14, v34, v9
.LBB6_3594:                             ;   in Loop: Header=BB6_3177 Depth=4
	s_or_b32 exec_lo, exec_lo, s74
	v_cmp_gt_i16_sdwa s74, v10, v61 src0_sel:BYTE_3 src1_sel:DWORD
	s_mov_b32 s17, 0
	s_and_saveexec_b32 s75, s74
	s_xor_b32 s74, exec_lo, s75
	s_cbranch_execz .LBB6_3845
; %bb.3595:                             ;   in Loop: Header=BB6_3177 Depth=4
	v_cmp_eq_u16_sdwa s76, v10, v62 src0_sel:BYTE_3 src1_sel:DWORD
	s_mov_b32 s17, -1
	s_and_saveexec_b32 s75, s76
; %bb.3596:                             ;   in Loop: Header=BB6_3177 Depth=4
	s_xor_b32 s17, exec_lo, -1
; %bb.3597:                             ;   in Loop: Header=BB6_3177 Depth=4
	s_or_b32 exec_lo, exec_lo, s75
	s_and_b32 s17, s17, exec_lo
	s_or_saveexec_b32 s74, s74
	v_mov_b32_e32 v14, 0x7f800001
	s_xor_b32 exec_lo, exec_lo, s74
	s_cbranch_execnz .LBB6_3846
.LBB6_3598:                             ;   in Loop: Header=BB6_3177 Depth=4
	s_or_b32 exec_lo, exec_lo, s74
	s_and_saveexec_b32 s74, s17
.LBB6_3599:                             ;   in Loop: Header=BB6_3177 Depth=4
	v_mov_b32_e32 v14, v8
.LBB6_3600:                             ;   in Loop: Header=BB6_3177 Depth=4
	s_or_b32 exec_lo, exec_lo, s74
	v_max_f32_e32 v8, v14, v14
	v_max_f32_e32 v9, v9, v9
	v_min_f32_e32 v9, v9, v8
.LBB6_3601:                             ;   in Loop: Header=BB6_3177 Depth=4
	v_and_b32_e32 v8, 0x7f800000, v9
	v_mov_b32_e32 v14, 0x8000
	s_mov_b32 s74, exec_lo
	v_cmpx_ne_u32_e32 0x7f800000, v8
	s_cbranch_execz .LBB6_3609
; %bb.3602:                             ;   in Loop: Header=BB6_3177 Depth=4
	v_mov_b32_e32 v14, 0
	s_mov_b32 s75, exec_lo
	v_cmpx_ne_u32_e32 0, v9
	s_cbranch_execz .LBB6_3608
; %bb.3603:                             ;   in Loop: Header=BB6_3177 Depth=4
	v_bfe_u32 v8, v9, 23, 8
	v_and_b32_e32 v10, 0x7fffff, v9
	v_sub_nc_u32_e32 v14, 0x78, v8
	v_cmp_gt_u32_e32 vcc_lo, 0x79, v8
	v_or_b32_e32 v34, 0x800000, v10
	v_cndmask_b32_e32 v14, 0, v14, vcc_lo
	v_cmp_eq_u32_e32 vcc_lo, 0, v8
	v_add_nc_u32_e32 v8, 0xffffff89, v8
	v_cndmask_b32_e64 v14, v14, 0x77, vcc_lo
	v_cndmask_b32_e32 v10, v34, v10, vcc_lo
	v_cndmask_b32_e64 v8, v8, 0xffffff8a, vcc_lo
	v_lshl_add_u32 v34, 0x100000, v14, -1
	v_lshrrev_b32_e32 v35, v14, v10
	v_lshlrev_b32_e64 v37, v14, 0x80000
	v_add_nc_u32_e32 v14, v14, v8
	v_and_b32_e32 v10, v34, v10
	v_bfe_u32 v36, v35, 20, 1
	v_cmp_eq_u32_e64 s17, v10, v37
	v_add_nc_u32_e32 v34, -1, v36
	v_cndmask_b32_e64 v10, 0, v34, s17
	v_lshrrev_b32_e32 v34, 23, v35
	s_mov_b32 s17, exec_lo
	v_add_nc_u32_e32 v10, v10, v35
	v_xor_b32_e32 v34, 1, v34
	v_and_b32_e32 v8, 0xfffff, v10
	v_add_nc_u32_e32 v10, v8, v35
                                        ; implicit-def: $vgpr8
	v_cmpx_ne_u32_e64 v14, v34
	s_xor_b32 s17, exec_lo, s17
; %bb.3604:                             ;   in Loop: Header=BB6_3177 Depth=4
	v_cmp_lt_u32_e32 vcc_lo, 0xffffff, v10
	v_sub_nc_u32_e32 v8, v14, v34
	v_cndmask_b32_e64 v14, 0, 1, vcc_lo
	v_add_co_ci_u32_e64 v8, null, 0, v8, vcc_lo
	v_lshrrev_b32_e32 v10, v14, v10
; %bb.3605:                             ;   in Loop: Header=BB6_3177 Depth=4
	s_andn2_saveexec_b32 s17, s17
; %bb.3606:                             ;   in Loop: Header=BB6_3177 Depth=4
	v_bfe_u32 v8, v10, 23, 1
; %bb.3607:                             ;   in Loop: Header=BB6_3177 Depth=4
	s_or_b32 exec_lo, exec_lo, s17
	v_lshrrev_b32_e32 v10, 20, v10
	v_min_i32_e32 v14, 15, v8
	v_cmp_gt_i32_e32 vcc_lo, 16, v8
	v_and_b32_sdwa v9, v9, v62 dst_sel:DWORD dst_unused:UNUSED_PAD src0_sel:BYTE_3 src1_sel:DWORD
	v_lshlrev_b32_e32 v14, 3, v14
	v_cndmask_b32_e32 v10, 7, v10, vcc_lo
	v_and_b32_e32 v14, 0xf8, v14
	v_and_b32_e32 v34, 7, v10
	v_or_b32_e32 v8, v8, v10
	v_or3_b32 v9, v9, v14, v34
	v_cmp_ne_u32_e32 vcc_lo, 0, v8
	v_lshlrev_b32_e32 v9, 8, v9
	v_cndmask_b32_e32 v14, 0, v9, vcc_lo
.LBB6_3608:                             ;   in Loop: Header=BB6_3177 Depth=4
	s_or_b32 exec_lo, exec_lo, s75
.LBB6_3609:                             ;   in Loop: Header=BB6_3177 Depth=4
	s_or_b32 exec_lo, exec_lo, s74
	v_and_b32_e32 v8, 7, v11
	v_bfe_u32 v34, v11, 3, 4
	v_lshlrev_b32_e32 v35, 24, v11
	v_cmp_gt_i16_sdwa s74, v15, v61 src0_sel:BYTE_0 src1_sel:DWORD
	s_mov_b32 s17, -1
	v_ffbh_u32_e32 v9, v8
	v_cmp_eq_u32_e32 vcc_lo, 0, v34
	v_min_u32_e32 v9, 32, v9
	v_subrev_nc_u32_e32 v10, 28, v9
	v_sub_nc_u32_e32 v9, 29, v9
	v_lshlrev_b32_e32 v10, v10, v11
	v_cndmask_b32_e32 v9, v34, v9, vcc_lo
	v_and_b32_e32 v10, 7, v10
	v_lshl_add_u32 v9, v9, 23, 0x3b800000
	v_cndmask_b32_e32 v8, v8, v10, vcc_lo
	v_and_b32_e32 v10, 0x80000000, v35
	s_and_b32 vcc_lo, exec_lo, s73
	v_lshlrev_b32_e32 v8, 20, v8
	v_or3_b32 v8, v10, v9, v8
                                        ; implicit-def: $vgpr9
	s_cbranch_vccz .LBB6_3623
; %bb.3610:                             ;   in Loop: Header=BB6_3177 Depth=4
	s_mov_b32 s17, 0
	s_and_saveexec_b32 s75, s74
	s_xor_b32 s74, exec_lo, s75
	s_cbranch_execz .LBB6_3847
; %bb.3611:                             ;   in Loop: Header=BB6_3177 Depth=4
	v_cmp_eq_u16_sdwa s76, v15, v62 src0_sel:BYTE_0 src1_sel:DWORD
	s_mov_b32 s17, -1
	s_and_saveexec_b32 s75, s76
; %bb.3612:                             ;   in Loop: Header=BB6_3177 Depth=4
	s_xor_b32 s17, exec_lo, -1
; %bb.3613:                             ;   in Loop: Header=BB6_3177 Depth=4
	s_or_b32 exec_lo, exec_lo, s75
	s_and_b32 s17, s17, exec_lo
	s_or_saveexec_b32 s74, s74
	v_mov_b32_e32 v9, 0x7f800001
	s_xor_b32 exec_lo, exec_lo, s74
	s_cbranch_execnz .LBB6_3848
.LBB6_3614:                             ;   in Loop: Header=BB6_3177 Depth=4
	s_or_b32 exec_lo, exec_lo, s74
	s_and_saveexec_b32 s74, s17
	s_cbranch_execz .LBB6_3616
.LBB6_3615:                             ;   in Loop: Header=BB6_3177 Depth=4
	v_and_b32_e32 v9, 7, v15
	v_bfe_u32 v35, v15, 3, 4
	v_lshlrev_b32_e32 v36, 24, v15
	v_ffbh_u32_e32 v10, v9
	v_cmp_eq_u32_e32 vcc_lo, 0, v35
	v_min_u32_e32 v10, 32, v10
	v_subrev_nc_u32_e32 v34, 28, v10
	v_sub_nc_u32_e32 v10, 29, v10
	v_lshlrev_b32_e32 v34, v34, v15
	v_cndmask_b32_e32 v10, v35, v10, vcc_lo
	v_and_b32_e32 v34, 7, v34
	v_lshl_add_u32 v10, v10, 23, 0x3b800000
	v_cndmask_b32_e32 v9, v9, v34, vcc_lo
	v_and_b32_e32 v34, 0x80000000, v36
	v_lshlrev_b32_e32 v9, 20, v9
	v_or3_b32 v9, v34, v10, v9
.LBB6_3616:                             ;   in Loop: Header=BB6_3177 Depth=4
	s_or_b32 exec_lo, exec_lo, s74
	v_cmp_gt_i16_sdwa s74, v11, v61 src0_sel:BYTE_0 src1_sel:DWORD
	s_mov_b32 s17, 0
	s_and_saveexec_b32 s75, s74
	s_xor_b32 s74, exec_lo, s75
	s_cbranch_execz .LBB6_3849
; %bb.3617:                             ;   in Loop: Header=BB6_3177 Depth=4
	v_cmp_eq_u16_sdwa s76, v11, v62 src0_sel:BYTE_0 src1_sel:DWORD
	s_mov_b32 s17, -1
	s_and_saveexec_b32 s75, s76
; %bb.3618:                             ;   in Loop: Header=BB6_3177 Depth=4
	s_xor_b32 s17, exec_lo, -1
; %bb.3619:                             ;   in Loop: Header=BB6_3177 Depth=4
	s_or_b32 exec_lo, exec_lo, s75
	s_and_b32 s17, s17, exec_lo
	s_or_saveexec_b32 s74, s74
	v_mov_b32_e32 v10, 0x7f800001
	s_xor_b32 exec_lo, exec_lo, s74
	s_cbranch_execnz .LBB6_3850
.LBB6_3620:                             ;   in Loop: Header=BB6_3177 Depth=4
	s_or_b32 exec_lo, exec_lo, s74
	s_and_saveexec_b32 s74, s17
.LBB6_3621:                             ;   in Loop: Header=BB6_3177 Depth=4
	v_mov_b32_e32 v10, v8
.LBB6_3622:                             ;   in Loop: Header=BB6_3177 Depth=4
	s_or_b32 exec_lo, exec_lo, s74
	v_max_f32_e32 v10, v10, v10
	v_max_f32_e32 v9, v9, v9
	s_mov_b32 s17, 0
	v_max_f32_e32 v9, v9, v10
.LBB6_3623:                             ;   in Loop: Header=BB6_3177 Depth=4
	s_and_b32 vcc_lo, exec_lo, s17
	s_cbranch_vccz .LBB6_3637
; %bb.3624:                             ;   in Loop: Header=BB6_3177 Depth=4
	v_cmp_gt_i16_sdwa s74, v15, v61 src0_sel:BYTE_0 src1_sel:DWORD
	s_mov_b32 s17, 0
	s_and_saveexec_b32 s75, s74
	s_xor_b32 s74, exec_lo, s75
	s_cbranch_execz .LBB6_3851
; %bb.3625:                             ;   in Loop: Header=BB6_3177 Depth=4
	v_cmp_eq_u16_sdwa s76, v15, v62 src0_sel:BYTE_0 src1_sel:DWORD
	s_mov_b32 s17, -1
	s_and_saveexec_b32 s75, s76
; %bb.3626:                             ;   in Loop: Header=BB6_3177 Depth=4
	s_xor_b32 s17, exec_lo, -1
; %bb.3627:                             ;   in Loop: Header=BB6_3177 Depth=4
	s_or_b32 exec_lo, exec_lo, s75
	s_and_b32 s17, s17, exec_lo
	s_or_saveexec_b32 s74, s74
	v_mov_b32_e32 v9, 0x7f800001
	s_xor_b32 exec_lo, exec_lo, s74
	s_cbranch_execnz .LBB6_3852
.LBB6_3628:                             ;   in Loop: Header=BB6_3177 Depth=4
	s_or_b32 exec_lo, exec_lo, s74
	s_and_saveexec_b32 s74, s17
	s_cbranch_execz .LBB6_3630
.LBB6_3629:                             ;   in Loop: Header=BB6_3177 Depth=4
	v_and_b32_e32 v9, 7, v15
	v_bfe_u32 v35, v15, 3, 4
	v_lshlrev_b32_e32 v36, 24, v15
	v_ffbh_u32_e32 v10, v9
	v_cmp_eq_u32_e32 vcc_lo, 0, v35
	v_min_u32_e32 v10, 32, v10
	v_subrev_nc_u32_e32 v34, 28, v10
	v_sub_nc_u32_e32 v10, 29, v10
	v_lshlrev_b32_e32 v34, v34, v15
	v_cndmask_b32_e32 v10, v35, v10, vcc_lo
	v_and_b32_e32 v34, 7, v34
	v_lshl_add_u32 v10, v10, 23, 0x3b800000
	v_cndmask_b32_e32 v9, v9, v34, vcc_lo
	v_and_b32_e32 v34, 0x80000000, v36
	v_lshlrev_b32_e32 v9, 20, v9
	v_or3_b32 v9, v34, v10, v9
.LBB6_3630:                             ;   in Loop: Header=BB6_3177 Depth=4
	s_or_b32 exec_lo, exec_lo, s74
	v_cmp_gt_i16_sdwa s74, v11, v61 src0_sel:BYTE_0 src1_sel:DWORD
	s_mov_b32 s17, 0
	s_and_saveexec_b32 s75, s74
	s_xor_b32 s74, exec_lo, s75
	s_cbranch_execz .LBB6_3853
; %bb.3631:                             ;   in Loop: Header=BB6_3177 Depth=4
	v_cmp_eq_u16_sdwa s76, v11, v62 src0_sel:BYTE_0 src1_sel:DWORD
	s_mov_b32 s17, -1
	s_and_saveexec_b32 s75, s76
; %bb.3632:                             ;   in Loop: Header=BB6_3177 Depth=4
	s_xor_b32 s17, exec_lo, -1
; %bb.3633:                             ;   in Loop: Header=BB6_3177 Depth=4
	s_or_b32 exec_lo, exec_lo, s75
	s_and_b32 s17, s17, exec_lo
	s_or_saveexec_b32 s74, s74
	v_mov_b32_e32 v10, 0x7f800001
	s_xor_b32 exec_lo, exec_lo, s74
	s_cbranch_execnz .LBB6_3854
.LBB6_3634:                             ;   in Loop: Header=BB6_3177 Depth=4
	s_or_b32 exec_lo, exec_lo, s74
	s_and_saveexec_b32 s74, s17
.LBB6_3635:                             ;   in Loop: Header=BB6_3177 Depth=4
	v_mov_b32_e32 v10, v8
.LBB6_3636:                             ;   in Loop: Header=BB6_3177 Depth=4
	s_or_b32 exec_lo, exec_lo, s74
	v_max_f32_e32 v8, v10, v10
	v_max_f32_e32 v9, v9, v9
	v_min_f32_e32 v9, v9, v8
.LBB6_3637:                             ;   in Loop: Header=BB6_3177 Depth=4
	v_and_b32_e32 v8, 0x7f800000, v9
	v_mov_b32_e32 v34, 0x80
	s_mov_b32 s74, exec_lo
	v_cmpx_ne_u32_e32 0x7f800000, v8
	s_cbranch_execz .LBB6_3645
; %bb.3638:                             ;   in Loop: Header=BB6_3177 Depth=4
	v_mov_b32_e32 v34, 0
	s_mov_b32 s75, exec_lo
	v_cmpx_ne_u32_e32 0, v9
	s_cbranch_execz .LBB6_3644
; %bb.3639:                             ;   in Loop: Header=BB6_3177 Depth=4
	v_bfe_u32 v8, v9, 23, 8
	v_and_b32_e32 v10, 0x7fffff, v9
	v_sub_nc_u32_e32 v34, 0x78, v8
	v_cmp_gt_u32_e32 vcc_lo, 0x79, v8
	v_or_b32_e32 v35, 0x800000, v10
	v_cndmask_b32_e32 v34, 0, v34, vcc_lo
	v_cmp_eq_u32_e32 vcc_lo, 0, v8
	v_add_nc_u32_e32 v8, 0xffffff89, v8
	v_cndmask_b32_e64 v34, v34, 0x77, vcc_lo
	v_cndmask_b32_e32 v10, v35, v10, vcc_lo
	v_cndmask_b32_e64 v8, v8, 0xffffff8a, vcc_lo
	v_lshl_add_u32 v35, 0x100000, v34, -1
	v_lshrrev_b32_e32 v36, v34, v10
	v_lshlrev_b32_e64 v38, v34, 0x80000
	v_add_nc_u32_e32 v34, v34, v8
	v_and_b32_e32 v10, v35, v10
	v_bfe_u32 v37, v36, 20, 1
	v_cmp_eq_u32_e64 s17, v10, v38
	v_add_nc_u32_e32 v35, -1, v37
	v_cndmask_b32_e64 v10, 0, v35, s17
	v_lshrrev_b32_e32 v35, 23, v36
	s_mov_b32 s17, exec_lo
	v_add_nc_u32_e32 v10, v10, v36
	v_xor_b32_e32 v35, 1, v35
	v_and_b32_e32 v8, 0xfffff, v10
	v_add_nc_u32_e32 v10, v8, v36
                                        ; implicit-def: $vgpr8
	v_cmpx_ne_u32_e64 v34, v35
	s_xor_b32 s17, exec_lo, s17
; %bb.3640:                             ;   in Loop: Header=BB6_3177 Depth=4
	v_cmp_lt_u32_e32 vcc_lo, 0xffffff, v10
	v_sub_nc_u32_e32 v8, v34, v35
	v_cndmask_b32_e64 v34, 0, 1, vcc_lo
	v_add_co_ci_u32_e64 v8, null, 0, v8, vcc_lo
	v_lshrrev_b32_e32 v10, v34, v10
; %bb.3641:                             ;   in Loop: Header=BB6_3177 Depth=4
	s_andn2_saveexec_b32 s17, s17
; %bb.3642:                             ;   in Loop: Header=BB6_3177 Depth=4
	v_bfe_u32 v8, v10, 23, 1
; %bb.3643:                             ;   in Loop: Header=BB6_3177 Depth=4
	s_or_b32 exec_lo, exec_lo, s17
	v_lshrrev_b32_e32 v10, 20, v10
	v_min_i32_e32 v34, 15, v8
	v_cmp_gt_i32_e32 vcc_lo, 16, v8
	v_and_b32_sdwa v9, v9, v62 dst_sel:DWORD dst_unused:UNUSED_PAD src0_sel:BYTE_3 src1_sel:DWORD
	v_lshlrev_b32_e32 v34, 3, v34
	v_cndmask_b32_e32 v10, 7, v10, vcc_lo
	v_and_b32_e32 v34, 0xf8, v34
	v_and_b32_e32 v35, 7, v10
	v_or_b32_e32 v8, v8, v10
	v_or3_b32 v9, v34, v9, v35
	v_cmp_ne_u32_e32 vcc_lo, 0, v8
	v_cndmask_b32_e32 v34, 0, v9, vcc_lo
.LBB6_3644:                             ;   in Loop: Header=BB6_3177 Depth=4
	s_or_b32 exec_lo, exec_lo, s75
.LBB6_3645:                             ;   in Loop: Header=BB6_3177 Depth=4
	s_or_b32 exec_lo, exec_lo, s74
	v_and_b32_sdwa v8, v63, v11 dst_sel:DWORD dst_unused:UNUSED_PAD src0_sel:DWORD src1_sel:BYTE_1
	v_cmp_gt_i16_sdwa s74, v15, v61 src0_sel:BYTE_1 src1_sel:DWORD
	s_mov_b32 s17, -1
	v_and_b32_e32 v9, 7, v8
	v_bfe_u32 v36, v8, 3, 4
	v_ffbh_u32_e32 v10, v9
	v_cmp_eq_u32_e32 vcc_lo, 0, v36
	v_min_u32_e32 v10, 32, v10
	v_subrev_nc_u32_e32 v35, 28, v10
	v_sub_nc_u32_e32 v10, 29, v10
	v_lshlrev_b32_e32 v8, v35, v8
	v_lshlrev_b32_sdwa v35, v73, v11 dst_sel:DWORD dst_unused:UNUSED_PAD src0_sel:DWORD src1_sel:BYTE_1
	v_cndmask_b32_e32 v10, v36, v10, vcc_lo
	v_and_b32_e32 v8, 7, v8
	v_lshl_add_u32 v10, v10, 23, 0x3b800000
	v_cndmask_b32_e32 v8, v9, v8, vcc_lo
	v_and_b32_e32 v9, 0x80000000, v35
	s_and_b32 vcc_lo, exec_lo, s73
	v_lshlrev_b32_e32 v8, 20, v8
	v_or3_b32 v8, v9, v10, v8
                                        ; implicit-def: $vgpr9
	s_cbranch_vccz .LBB6_3659
; %bb.3646:                             ;   in Loop: Header=BB6_3177 Depth=4
	s_mov_b32 s17, 0
	s_and_saveexec_b32 s75, s74
	s_xor_b32 s74, exec_lo, s75
	s_cbranch_execz .LBB6_3855
; %bb.3647:                             ;   in Loop: Header=BB6_3177 Depth=4
	v_cmp_eq_u16_sdwa s76, v15, v62 src0_sel:BYTE_1 src1_sel:DWORD
	s_mov_b32 s17, -1
	s_and_saveexec_b32 s75, s76
; %bb.3648:                             ;   in Loop: Header=BB6_3177 Depth=4
	s_xor_b32 s17, exec_lo, -1
; %bb.3649:                             ;   in Loop: Header=BB6_3177 Depth=4
	s_or_b32 exec_lo, exec_lo, s75
	s_and_b32 s17, s17, exec_lo
	s_or_saveexec_b32 s74, s74
	v_mov_b32_e32 v9, 0x7f800001
	s_xor_b32 exec_lo, exec_lo, s74
	s_cbranch_execnz .LBB6_3856
.LBB6_3650:                             ;   in Loop: Header=BB6_3177 Depth=4
	s_or_b32 exec_lo, exec_lo, s74
	s_and_saveexec_b32 s74, s17
	s_cbranch_execz .LBB6_3652
.LBB6_3651:                             ;   in Loop: Header=BB6_3177 Depth=4
	v_and_b32_sdwa v9, v63, v15 dst_sel:DWORD dst_unused:UNUSED_PAD src0_sel:DWORD src1_sel:BYTE_1
	v_and_b32_e32 v10, 7, v9
	v_bfe_u32 v37, v9, 3, 4
	v_ffbh_u32_e32 v35, v10
	v_cmp_eq_u32_e32 vcc_lo, 0, v37
	v_min_u32_e32 v35, 32, v35
	v_subrev_nc_u32_e32 v36, 28, v35
	v_sub_nc_u32_e32 v35, 29, v35
	v_lshlrev_b32_e32 v9, v36, v9
	v_lshlrev_b32_e32 v36, 16, v15
	v_cndmask_b32_e32 v35, v37, v35, vcc_lo
	v_and_b32_e32 v9, 7, v9
	v_lshl_add_u32 v35, v35, 23, 0x3b800000
	v_cndmask_b32_e32 v9, v10, v9, vcc_lo
	v_and_b32_e32 v10, 0x80000000, v36
	v_lshlrev_b32_e32 v9, 20, v9
	v_or3_b32 v9, v10, v35, v9
.LBB6_3652:                             ;   in Loop: Header=BB6_3177 Depth=4
	s_or_b32 exec_lo, exec_lo, s74
	v_cmp_gt_i16_sdwa s74, v11, v61 src0_sel:BYTE_1 src1_sel:DWORD
	s_mov_b32 s17, 0
	s_and_saveexec_b32 s75, s74
	s_xor_b32 s74, exec_lo, s75
	s_cbranch_execz .LBB6_3857
; %bb.3653:                             ;   in Loop: Header=BB6_3177 Depth=4
	v_cmp_eq_u16_sdwa s76, v11, v62 src0_sel:BYTE_1 src1_sel:DWORD
	s_mov_b32 s17, -1
	s_and_saveexec_b32 s75, s76
; %bb.3654:                             ;   in Loop: Header=BB6_3177 Depth=4
	s_xor_b32 s17, exec_lo, -1
; %bb.3655:                             ;   in Loop: Header=BB6_3177 Depth=4
	s_or_b32 exec_lo, exec_lo, s75
	s_and_b32 s17, s17, exec_lo
	s_or_saveexec_b32 s74, s74
	v_mov_b32_e32 v10, 0x7f800001
	s_xor_b32 exec_lo, exec_lo, s74
	s_cbranch_execnz .LBB6_3858
.LBB6_3656:                             ;   in Loop: Header=BB6_3177 Depth=4
	s_or_b32 exec_lo, exec_lo, s74
	s_and_saveexec_b32 s74, s17
.LBB6_3657:                             ;   in Loop: Header=BB6_3177 Depth=4
	v_mov_b32_e32 v10, v8
.LBB6_3658:                             ;   in Loop: Header=BB6_3177 Depth=4
	s_or_b32 exec_lo, exec_lo, s74
	v_max_f32_e32 v10, v10, v10
	v_max_f32_e32 v9, v9, v9
	s_mov_b32 s17, 0
	v_max_f32_e32 v9, v9, v10
.LBB6_3659:                             ;   in Loop: Header=BB6_3177 Depth=4
	s_and_b32 vcc_lo, exec_lo, s17
	s_cbranch_vccz .LBB6_3673
; %bb.3660:                             ;   in Loop: Header=BB6_3177 Depth=4
	v_cmp_gt_i16_sdwa s74, v15, v61 src0_sel:BYTE_1 src1_sel:DWORD
	s_mov_b32 s17, 0
	s_and_saveexec_b32 s75, s74
	s_xor_b32 s74, exec_lo, s75
	s_cbranch_execz .LBB6_3859
; %bb.3661:                             ;   in Loop: Header=BB6_3177 Depth=4
	v_cmp_eq_u16_sdwa s76, v15, v62 src0_sel:BYTE_1 src1_sel:DWORD
	s_mov_b32 s17, -1
	s_and_saveexec_b32 s75, s76
; %bb.3662:                             ;   in Loop: Header=BB6_3177 Depth=4
	s_xor_b32 s17, exec_lo, -1
; %bb.3663:                             ;   in Loop: Header=BB6_3177 Depth=4
	s_or_b32 exec_lo, exec_lo, s75
	s_and_b32 s17, s17, exec_lo
	s_or_saveexec_b32 s74, s74
	v_mov_b32_e32 v9, 0x7f800001
	s_xor_b32 exec_lo, exec_lo, s74
	s_cbranch_execnz .LBB6_3860
.LBB6_3664:                             ;   in Loop: Header=BB6_3177 Depth=4
	s_or_b32 exec_lo, exec_lo, s74
	s_and_saveexec_b32 s74, s17
	s_cbranch_execz .LBB6_3666
.LBB6_3665:                             ;   in Loop: Header=BB6_3177 Depth=4
	v_and_b32_sdwa v9, v63, v15 dst_sel:DWORD dst_unused:UNUSED_PAD src0_sel:DWORD src1_sel:BYTE_1
	v_and_b32_e32 v10, 7, v9
	v_bfe_u32 v37, v9, 3, 4
	v_ffbh_u32_e32 v35, v10
	v_cmp_eq_u32_e32 vcc_lo, 0, v37
	v_min_u32_e32 v35, 32, v35
	v_subrev_nc_u32_e32 v36, 28, v35
	v_sub_nc_u32_e32 v35, 29, v35
	v_lshlrev_b32_e32 v9, v36, v9
	v_lshlrev_b32_e32 v36, 16, v15
	v_cndmask_b32_e32 v35, v37, v35, vcc_lo
	v_and_b32_e32 v9, 7, v9
	v_lshl_add_u32 v35, v35, 23, 0x3b800000
	v_cndmask_b32_e32 v9, v10, v9, vcc_lo
	v_and_b32_e32 v10, 0x80000000, v36
	v_lshlrev_b32_e32 v9, 20, v9
	v_or3_b32 v9, v10, v35, v9
.LBB6_3666:                             ;   in Loop: Header=BB6_3177 Depth=4
	s_or_b32 exec_lo, exec_lo, s74
	v_cmp_gt_i16_sdwa s74, v11, v61 src0_sel:BYTE_1 src1_sel:DWORD
	s_mov_b32 s17, 0
	s_and_saveexec_b32 s75, s74
	s_xor_b32 s74, exec_lo, s75
	s_cbranch_execz .LBB6_3861
; %bb.3667:                             ;   in Loop: Header=BB6_3177 Depth=4
	v_cmp_eq_u16_sdwa s76, v11, v62 src0_sel:BYTE_1 src1_sel:DWORD
	s_mov_b32 s17, -1
	s_and_saveexec_b32 s75, s76
; %bb.3668:                             ;   in Loop: Header=BB6_3177 Depth=4
	s_xor_b32 s17, exec_lo, -1
; %bb.3669:                             ;   in Loop: Header=BB6_3177 Depth=4
	s_or_b32 exec_lo, exec_lo, s75
	s_and_b32 s17, s17, exec_lo
	s_or_saveexec_b32 s74, s74
	v_mov_b32_e32 v10, 0x7f800001
	s_xor_b32 exec_lo, exec_lo, s74
	s_cbranch_execnz .LBB6_3862
.LBB6_3670:                             ;   in Loop: Header=BB6_3177 Depth=4
	s_or_b32 exec_lo, exec_lo, s74
	s_and_saveexec_b32 s74, s17
.LBB6_3671:                             ;   in Loop: Header=BB6_3177 Depth=4
	v_mov_b32_e32 v10, v8
.LBB6_3672:                             ;   in Loop: Header=BB6_3177 Depth=4
	s_or_b32 exec_lo, exec_lo, s74
	v_max_f32_e32 v8, v10, v10
	v_max_f32_e32 v9, v9, v9
	v_min_f32_e32 v9, v9, v8
.LBB6_3673:                             ;   in Loop: Header=BB6_3177 Depth=4
	v_and_b32_e32 v8, 0x7f800000, v9
	v_mov_b32_e32 v35, 0x8000
	s_mov_b32 s74, exec_lo
	v_cmpx_ne_u32_e32 0x7f800000, v8
	s_cbranch_execz .LBB6_3681
; %bb.3674:                             ;   in Loop: Header=BB6_3177 Depth=4
	v_mov_b32_e32 v35, 0
	s_mov_b32 s75, exec_lo
	v_cmpx_ne_u32_e32 0, v9
	s_cbranch_execz .LBB6_3680
; %bb.3675:                             ;   in Loop: Header=BB6_3177 Depth=4
	v_bfe_u32 v8, v9, 23, 8
	v_and_b32_e32 v10, 0x7fffff, v9
	v_sub_nc_u32_e32 v35, 0x78, v8
	v_cmp_gt_u32_e32 vcc_lo, 0x79, v8
	v_or_b32_e32 v36, 0x800000, v10
	v_cndmask_b32_e32 v35, 0, v35, vcc_lo
	v_cmp_eq_u32_e32 vcc_lo, 0, v8
	v_add_nc_u32_e32 v8, 0xffffff89, v8
	v_cndmask_b32_e64 v35, v35, 0x77, vcc_lo
	v_cndmask_b32_e32 v10, v36, v10, vcc_lo
	v_cndmask_b32_e64 v8, v8, 0xffffff8a, vcc_lo
	v_lshl_add_u32 v36, 0x100000, v35, -1
	v_lshrrev_b32_e32 v37, v35, v10
	v_lshlrev_b32_e64 v39, v35, 0x80000
	v_add_nc_u32_e32 v35, v35, v8
	v_and_b32_e32 v10, v36, v10
	v_bfe_u32 v38, v37, 20, 1
	v_cmp_eq_u32_e64 s17, v10, v39
	v_add_nc_u32_e32 v36, -1, v38
	v_cndmask_b32_e64 v10, 0, v36, s17
	v_lshrrev_b32_e32 v36, 23, v37
	s_mov_b32 s17, exec_lo
	v_add_nc_u32_e32 v10, v10, v37
	v_xor_b32_e32 v36, 1, v36
	v_and_b32_e32 v8, 0xfffff, v10
	v_add_nc_u32_e32 v10, v8, v37
                                        ; implicit-def: $vgpr8
	v_cmpx_ne_u32_e64 v35, v36
	s_xor_b32 s17, exec_lo, s17
; %bb.3676:                             ;   in Loop: Header=BB6_3177 Depth=4
	v_cmp_lt_u32_e32 vcc_lo, 0xffffff, v10
	v_sub_nc_u32_e32 v8, v35, v36
	v_cndmask_b32_e64 v35, 0, 1, vcc_lo
	v_add_co_ci_u32_e64 v8, null, 0, v8, vcc_lo
	v_lshrrev_b32_e32 v10, v35, v10
; %bb.3677:                             ;   in Loop: Header=BB6_3177 Depth=4
	s_andn2_saveexec_b32 s17, s17
; %bb.3678:                             ;   in Loop: Header=BB6_3177 Depth=4
	v_bfe_u32 v8, v10, 23, 1
; %bb.3679:                             ;   in Loop: Header=BB6_3177 Depth=4
	s_or_b32 exec_lo, exec_lo, s17
	v_lshrrev_b32_e32 v10, 20, v10
	v_min_i32_e32 v35, 15, v8
	v_cmp_gt_i32_e32 vcc_lo, 16, v8
	v_and_b32_sdwa v9, v9, v62 dst_sel:DWORD dst_unused:UNUSED_PAD src0_sel:BYTE_3 src1_sel:DWORD
	v_lshlrev_b32_e32 v35, 3, v35
	v_cndmask_b32_e32 v10, 7, v10, vcc_lo
	v_and_b32_e32 v35, 0xf8, v35
	v_and_b32_e32 v36, 7, v10
	v_or_b32_e32 v8, v8, v10
	v_or3_b32 v9, v9, v35, v36
	v_cmp_ne_u32_e32 vcc_lo, 0, v8
	v_lshlrev_b32_e32 v9, 8, v9
	v_cndmask_b32_e32 v35, 0, v9, vcc_lo
.LBB6_3680:                             ;   in Loop: Header=BB6_3177 Depth=4
	s_or_b32 exec_lo, exec_lo, s75
.LBB6_3681:                             ;   in Loop: Header=BB6_3177 Depth=4
	s_or_b32 exec_lo, exec_lo, s74
	v_bfe_u32 v8, v11, 16, 3
	v_bfe_u32 v36, v11, 19, 4
	v_lshlrev_b32_e32 v37, 8, v11
	s_mov_b32 s74, -1
	v_ffbh_u32_e32 v9, v8
	v_cmp_eq_u32_e32 vcc_lo, 0, v36
	v_min_u32_e32 v9, 32, v9
	v_subrev_nc_u32_e32 v10, 28, v9
	v_sub_nc_u32_e32 v9, 29, v9
	v_lshlrev_b32_sdwa v10, v10, v11 dst_sel:DWORD dst_unused:UNUSED_PAD src0_sel:DWORD src1_sel:WORD_1
	v_cndmask_b32_e32 v9, v36, v9, vcc_lo
	v_and_b32_e32 v10, 7, v10
	v_lshl_add_u32 v36, v9, 23, 0x3b800000
	v_and_b32_sdwa v9, v15, v72 dst_sel:DWORD dst_unused:UNUSED_PAD src0_sel:WORD_1 src1_sel:DWORD
	v_cndmask_b32_e32 v8, v8, v10, vcc_lo
	v_and_b32_e32 v10, 0x80000000, v37
	v_cmp_lt_i16_e64 s17, 0x7f, v9
	s_and_b32 vcc_lo, exec_lo, s73
	v_lshlrev_b32_e32 v8, 20, v8
	v_or3_b32 v8, v10, v36, v8
                                        ; implicit-def: $vgpr10
	s_cbranch_vccz .LBB6_3695
; %bb.3682:                             ;   in Loop: Header=BB6_3177 Depth=4
	s_mov_b32 s74, 0
	s_and_saveexec_b32 s75, s17
	s_xor_b32 s17, exec_lo, s75
	s_cbranch_execz .LBB6_3863
; %bb.3683:                             ;   in Loop: Header=BB6_3177 Depth=4
	s_mov_b32 s74, -1
	s_mov_b32 s75, exec_lo
	v_cmpx_eq_u16_e32 0x80, v9
; %bb.3684:                             ;   in Loop: Header=BB6_3177 Depth=4
	s_xor_b32 s74, exec_lo, -1
; %bb.3685:                             ;   in Loop: Header=BB6_3177 Depth=4
	s_or_b32 exec_lo, exec_lo, s75
	s_and_b32 s74, s74, exec_lo
	s_or_saveexec_b32 s17, s17
	v_mov_b32_e32 v10, 0x7f800001
	s_xor_b32 exec_lo, exec_lo, s17
	s_cbranch_execnz .LBB6_3864
.LBB6_3686:                             ;   in Loop: Header=BB6_3177 Depth=4
	s_or_b32 exec_lo, exec_lo, s17
	s_and_saveexec_b32 s17, s74
	s_cbranch_execz .LBB6_3688
.LBB6_3687:                             ;   in Loop: Header=BB6_3177 Depth=4
	v_bfe_u32 v10, v15, 16, 3
	v_bfe_u32 v38, v15, 19, 4
	v_lshlrev_b32_sdwa v39, v73, v15 dst_sel:DWORD dst_unused:UNUSED_PAD src0_sel:DWORD src1_sel:WORD_1
	v_ffbh_u32_e32 v36, v10
	v_cmp_eq_u32_e32 vcc_lo, 0, v38
	v_min_u32_e32 v36, 32, v36
	v_subrev_nc_u32_e32 v37, 28, v36
	v_sub_nc_u32_e32 v36, 29, v36
	v_lshlrev_b32_sdwa v37, v37, v15 dst_sel:DWORD dst_unused:UNUSED_PAD src0_sel:DWORD src1_sel:WORD_1
	v_cndmask_b32_e32 v36, v38, v36, vcc_lo
	v_and_b32_e32 v37, 7, v37
	v_lshl_add_u32 v36, v36, 23, 0x3b800000
	v_cndmask_b32_e32 v10, v10, v37, vcc_lo
	v_and_b32_e32 v37, 0x80000000, v39
	v_lshlrev_b32_e32 v10, 20, v10
	v_or3_b32 v10, v37, v36, v10
.LBB6_3688:                             ;   in Loop: Header=BB6_3177 Depth=4
	s_or_b32 exec_lo, exec_lo, s17
	v_and_b32_sdwa v37, v11, v72 dst_sel:DWORD dst_unused:UNUSED_PAD src0_sel:WORD_1 src1_sel:DWORD
	s_mov_b32 s17, 0
	s_mov_b32 s74, exec_lo
	v_cmpx_lt_i16_e32 0x7f, v37
	s_xor_b32 s74, exec_lo, s74
	s_cbranch_execz .LBB6_3865
; %bb.3689:                             ;   in Loop: Header=BB6_3177 Depth=4
	s_mov_b32 s17, -1
	s_mov_b32 s75, exec_lo
	v_cmpx_eq_u16_e32 0x80, v37
; %bb.3690:                             ;   in Loop: Header=BB6_3177 Depth=4
	s_xor_b32 s17, exec_lo, -1
; %bb.3691:                             ;   in Loop: Header=BB6_3177 Depth=4
	s_or_b32 exec_lo, exec_lo, s75
	s_and_b32 s17, s17, exec_lo
                                        ; implicit-def: $vgpr37
	s_or_saveexec_b32 s74, s74
	v_mov_b32_e32 v36, 0x7f800001
	s_xor_b32 exec_lo, exec_lo, s74
	s_cbranch_execnz .LBB6_3866
.LBB6_3692:                             ;   in Loop: Header=BB6_3177 Depth=4
	s_or_b32 exec_lo, exec_lo, s74
	s_and_saveexec_b32 s74, s17
.LBB6_3693:                             ;   in Loop: Header=BB6_3177 Depth=4
	v_mov_b32_e32 v36, v8
.LBB6_3694:                             ;   in Loop: Header=BB6_3177 Depth=4
	s_or_b32 exec_lo, exec_lo, s74
	v_max_f32_e32 v36, v36, v36
	v_max_f32_e32 v10, v10, v10
	s_mov_b32 s74, 0
	v_max_f32_e32 v10, v10, v36
.LBB6_3695:                             ;   in Loop: Header=BB6_3177 Depth=4
	s_and_b32 vcc_lo, exec_lo, s74
	s_cbranch_vccz .LBB6_3709
; %bb.3696:                             ;   in Loop: Header=BB6_3177 Depth=4
	s_mov_b32 s17, 0
	s_mov_b32 s74, exec_lo
	v_cmpx_lt_i16_e32 0x7f, v9
	s_xor_b32 s74, exec_lo, s74
	s_cbranch_execz .LBB6_3867
; %bb.3697:                             ;   in Loop: Header=BB6_3177 Depth=4
	s_mov_b32 s17, -1
	s_mov_b32 s75, exec_lo
	v_cmpx_eq_u16_e32 0x80, v9
; %bb.3698:                             ;   in Loop: Header=BB6_3177 Depth=4
	s_xor_b32 s17, exec_lo, -1
; %bb.3699:                             ;   in Loop: Header=BB6_3177 Depth=4
	s_or_b32 exec_lo, exec_lo, s75
	s_and_b32 s17, s17, exec_lo
                                        ; implicit-def: $vgpr9
	s_or_saveexec_b32 s74, s74
	v_mov_b32_e32 v10, 0x7f800001
	s_xor_b32 exec_lo, exec_lo, s74
	s_cbranch_execnz .LBB6_3868
.LBB6_3700:                             ;   in Loop: Header=BB6_3177 Depth=4
	s_or_b32 exec_lo, exec_lo, s74
	s_and_saveexec_b32 s74, s17
	s_cbranch_execz .LBB6_3702
.LBB6_3701:                             ;   in Loop: Header=BB6_3177 Depth=4
	v_bfe_u32 v9, v15, 16, 3
	v_bfe_u32 v37, v15, 19, 4
	v_lshlrev_b32_sdwa v38, v73, v15 dst_sel:DWORD dst_unused:UNUSED_PAD src0_sel:DWORD src1_sel:WORD_1
	v_ffbh_u32_e32 v10, v9
	v_cmp_eq_u32_e32 vcc_lo, 0, v37
	v_min_u32_e32 v10, 32, v10
	v_subrev_nc_u32_e32 v36, 28, v10
	v_sub_nc_u32_e32 v10, 29, v10
	v_lshlrev_b32_sdwa v36, v36, v15 dst_sel:DWORD dst_unused:UNUSED_PAD src0_sel:DWORD src1_sel:WORD_1
	v_cndmask_b32_e32 v10, v37, v10, vcc_lo
	v_and_b32_e32 v36, 7, v36
	v_lshl_add_u32 v10, v10, 23, 0x3b800000
	v_cndmask_b32_e32 v9, v9, v36, vcc_lo
	v_and_b32_e32 v36, 0x80000000, v38
	v_lshlrev_b32_e32 v9, 20, v9
	v_or3_b32 v10, v36, v10, v9
.LBB6_3702:                             ;   in Loop: Header=BB6_3177 Depth=4
	s_or_b32 exec_lo, exec_lo, s74
	v_and_b32_sdwa v36, v11, v72 dst_sel:DWORD dst_unused:UNUSED_PAD src0_sel:WORD_1 src1_sel:DWORD
	s_mov_b32 s17, 0
	s_mov_b32 s74, exec_lo
	v_cmpx_lt_i16_e32 0x7f, v36
	s_xor_b32 s74, exec_lo, s74
	s_cbranch_execz .LBB6_3869
; %bb.3703:                             ;   in Loop: Header=BB6_3177 Depth=4
	s_mov_b32 s17, -1
	s_mov_b32 s75, exec_lo
	v_cmpx_eq_u16_e32 0x80, v36
; %bb.3704:                             ;   in Loop: Header=BB6_3177 Depth=4
	s_xor_b32 s17, exec_lo, -1
; %bb.3705:                             ;   in Loop: Header=BB6_3177 Depth=4
	s_or_b32 exec_lo, exec_lo, s75
	s_and_b32 s17, s17, exec_lo
                                        ; implicit-def: $vgpr36
	s_or_saveexec_b32 s74, s74
	v_mov_b32_e32 v9, 0x7f800001
	s_xor_b32 exec_lo, exec_lo, s74
	s_cbranch_execnz .LBB6_3870
.LBB6_3706:                             ;   in Loop: Header=BB6_3177 Depth=4
	s_or_b32 exec_lo, exec_lo, s74
	s_and_saveexec_b32 s74, s17
.LBB6_3707:                             ;   in Loop: Header=BB6_3177 Depth=4
	v_mov_b32_e32 v9, v8
.LBB6_3708:                             ;   in Loop: Header=BB6_3177 Depth=4
	s_or_b32 exec_lo, exec_lo, s74
	v_max_f32_e32 v8, v9, v9
	v_max_f32_e32 v9, v10, v10
	v_min_f32_e32 v10, v9, v8
.LBB6_3709:                             ;   in Loop: Header=BB6_3177 Depth=4
	v_and_b32_e32 v8, 0x7f800000, v10
	v_mov_b32_e32 v36, 0x80
	s_mov_b32 s74, exec_lo
	v_cmpx_ne_u32_e32 0x7f800000, v8
	s_cbranch_execz .LBB6_3717
; %bb.3710:                             ;   in Loop: Header=BB6_3177 Depth=4
	v_mov_b32_e32 v36, 0
	s_mov_b32 s75, exec_lo
	v_cmpx_ne_u32_e32 0, v10
	s_cbranch_execz .LBB6_3716
; %bb.3711:                             ;   in Loop: Header=BB6_3177 Depth=4
	v_bfe_u32 v8, v10, 23, 8
	v_and_b32_e32 v9, 0x7fffff, v10
	v_sub_nc_u32_e32 v36, 0x78, v8
	v_cmp_gt_u32_e32 vcc_lo, 0x79, v8
	v_or_b32_e32 v37, 0x800000, v9
	v_cndmask_b32_e32 v36, 0, v36, vcc_lo
	v_cmp_eq_u32_e32 vcc_lo, 0, v8
	v_add_nc_u32_e32 v8, 0xffffff89, v8
	v_cndmask_b32_e64 v36, v36, 0x77, vcc_lo
	v_cndmask_b32_e32 v9, v37, v9, vcc_lo
	v_cndmask_b32_e64 v8, v8, 0xffffff8a, vcc_lo
	v_lshl_add_u32 v37, 0x100000, v36, -1
	v_lshrrev_b32_e32 v38, v36, v9
	v_lshlrev_b32_e64 v48, v36, 0x80000
	v_add_nc_u32_e32 v36, v36, v8
	v_and_b32_e32 v9, v37, v9
	v_bfe_u32 v39, v38, 20, 1
	v_cmp_eq_u32_e64 s17, v9, v48
	v_add_nc_u32_e32 v37, -1, v39
	v_cndmask_b32_e64 v9, 0, v37, s17
	v_lshrrev_b32_e32 v37, 23, v38
	s_mov_b32 s17, exec_lo
	v_add_nc_u32_e32 v9, v9, v38
	v_xor_b32_e32 v37, 1, v37
	v_and_b32_e32 v8, 0xfffff, v9
	v_add_nc_u32_e32 v9, v8, v38
                                        ; implicit-def: $vgpr8
	v_cmpx_ne_u32_e64 v36, v37
	s_xor_b32 s17, exec_lo, s17
; %bb.3712:                             ;   in Loop: Header=BB6_3177 Depth=4
	v_cmp_lt_u32_e32 vcc_lo, 0xffffff, v9
	v_sub_nc_u32_e32 v8, v36, v37
	v_cndmask_b32_e64 v36, 0, 1, vcc_lo
	v_add_co_ci_u32_e64 v8, null, 0, v8, vcc_lo
	v_lshrrev_b32_e32 v9, v36, v9
; %bb.3713:                             ;   in Loop: Header=BB6_3177 Depth=4
	s_andn2_saveexec_b32 s17, s17
; %bb.3714:                             ;   in Loop: Header=BB6_3177 Depth=4
	v_bfe_u32 v8, v9, 23, 1
; %bb.3715:                             ;   in Loop: Header=BB6_3177 Depth=4
	s_or_b32 exec_lo, exec_lo, s17
	v_lshrrev_b32_e32 v9, 20, v9
	v_min_i32_e32 v36, 15, v8
	v_cmp_gt_i32_e32 vcc_lo, 16, v8
	v_and_b32_sdwa v10, v10, v62 dst_sel:DWORD dst_unused:UNUSED_PAD src0_sel:BYTE_3 src1_sel:DWORD
	v_lshlrev_b32_e32 v36, 3, v36
	v_cndmask_b32_e32 v9, 7, v9, vcc_lo
	v_and_b32_e32 v36, 0xf8, v36
	v_and_b32_e32 v37, 7, v9
	v_or_b32_e32 v8, v8, v9
	v_or3_b32 v9, v36, v10, v37
	v_cmp_ne_u32_e32 vcc_lo, 0, v8
	v_cndmask_b32_e32 v36, 0, v9, vcc_lo
.LBB6_3716:                             ;   in Loop: Header=BB6_3177 Depth=4
	s_or_b32 exec_lo, exec_lo, s75
.LBB6_3717:                             ;   in Loop: Header=BB6_3177 Depth=4
	s_or_b32 exec_lo, exec_lo, s74
	v_bfe_u32 v8, v11, 24, 3
	v_bfe_u32 v37, v11, 27, 4
	v_cmp_gt_i16_sdwa s74, v15, v61 src0_sel:BYTE_3 src1_sel:DWORD
	s_mov_b32 s17, -1
	v_ffbh_u32_e32 v9, v8
	v_cmp_eq_u32_e32 vcc_lo, 0, v37
	v_min_u32_e32 v9, 32, v9
	v_subrev_nc_u32_e32 v10, 28, v9
	v_sub_nc_u32_e32 v9, 29, v9
	v_lshlrev_b32_sdwa v10, v10, v11 dst_sel:DWORD dst_unused:UNUSED_PAD src0_sel:DWORD src1_sel:BYTE_3
	v_cndmask_b32_e32 v9, v37, v9, vcc_lo
	v_and_b32_e32 v10, 7, v10
	v_lshl_add_u32 v9, v9, 23, 0x3b800000
	v_cndmask_b32_e32 v8, v8, v10, vcc_lo
	v_and_b32_e32 v10, 0x80000000, v11
	s_and_b32 vcc_lo, exec_lo, s73
	v_lshlrev_b32_e32 v8, 20, v8
	v_or3_b32 v37, v10, v9, v8
                                        ; implicit-def: $vgpr8
	s_cbranch_vccz .LBB6_3731
; %bb.3718:                             ;   in Loop: Header=BB6_3177 Depth=4
	s_mov_b32 s17, 0
	s_and_saveexec_b32 s75, s74
	s_xor_b32 s74, exec_lo, s75
	s_cbranch_execz .LBB6_3871
; %bb.3719:                             ;   in Loop: Header=BB6_3177 Depth=4
	v_cmp_eq_u16_sdwa s76, v15, v62 src0_sel:BYTE_3 src1_sel:DWORD
	s_mov_b32 s17, -1
	s_and_saveexec_b32 s75, s76
; %bb.3720:                             ;   in Loop: Header=BB6_3177 Depth=4
	s_xor_b32 s17, exec_lo, -1
; %bb.3721:                             ;   in Loop: Header=BB6_3177 Depth=4
	s_or_b32 exec_lo, exec_lo, s75
	s_and_b32 s17, s17, exec_lo
	s_or_saveexec_b32 s74, s74
	v_mov_b32_e32 v8, 0x7f800001
	s_xor_b32 exec_lo, exec_lo, s74
	s_cbranch_execnz .LBB6_3872
.LBB6_3722:                             ;   in Loop: Header=BB6_3177 Depth=4
	s_or_b32 exec_lo, exec_lo, s74
	s_and_saveexec_b32 s74, s17
	s_cbranch_execz .LBB6_3724
.LBB6_3723:                             ;   in Loop: Header=BB6_3177 Depth=4
	v_bfe_u32 v8, v15, 24, 3
	v_bfe_u32 v38, v15, 27, 4
	v_ffbh_u32_e32 v9, v8
	v_cmp_eq_u32_e32 vcc_lo, 0, v38
	v_min_u32_e32 v9, 32, v9
	v_subrev_nc_u32_e32 v10, 28, v9
	v_sub_nc_u32_e32 v9, 29, v9
	v_lshlrev_b32_sdwa v10, v10, v15 dst_sel:DWORD dst_unused:UNUSED_PAD src0_sel:DWORD src1_sel:BYTE_3
	v_cndmask_b32_e32 v9, v38, v9, vcc_lo
	v_and_b32_e32 v10, 7, v10
	v_lshl_add_u32 v9, v9, 23, 0x3b800000
	v_cndmask_b32_e32 v8, v8, v10, vcc_lo
	v_and_b32_e32 v10, 0x80000000, v15
	v_lshlrev_b32_e32 v8, 20, v8
	v_or3_b32 v8, v10, v9, v8
.LBB6_3724:                             ;   in Loop: Header=BB6_3177 Depth=4
	s_or_b32 exec_lo, exec_lo, s74
	v_cmp_gt_i16_sdwa s74, v11, v61 src0_sel:BYTE_3 src1_sel:DWORD
	s_mov_b32 s17, 0
	s_and_saveexec_b32 s75, s74
	s_xor_b32 s74, exec_lo, s75
	s_cbranch_execz .LBB6_3873
; %bb.3725:                             ;   in Loop: Header=BB6_3177 Depth=4
	v_cmp_eq_u16_sdwa s76, v11, v62 src0_sel:BYTE_3 src1_sel:DWORD
	s_mov_b32 s17, -1
	s_and_saveexec_b32 s75, s76
; %bb.3726:                             ;   in Loop: Header=BB6_3177 Depth=4
	s_xor_b32 s17, exec_lo, -1
; %bb.3727:                             ;   in Loop: Header=BB6_3177 Depth=4
	s_or_b32 exec_lo, exec_lo, s75
	s_and_b32 s17, s17, exec_lo
	s_or_saveexec_b32 s74, s74
	v_mov_b32_e32 v9, 0x7f800001
	s_xor_b32 exec_lo, exec_lo, s74
	s_cbranch_execnz .LBB6_3874
.LBB6_3728:                             ;   in Loop: Header=BB6_3177 Depth=4
	s_or_b32 exec_lo, exec_lo, s74
	s_and_saveexec_b32 s74, s17
.LBB6_3729:                             ;   in Loop: Header=BB6_3177 Depth=4
	v_mov_b32_e32 v9, v37
.LBB6_3730:                             ;   in Loop: Header=BB6_3177 Depth=4
	s_or_b32 exec_lo, exec_lo, s74
	v_max_f32_e32 v9, v9, v9
	v_max_f32_e32 v8, v8, v8
	s_mov_b32 s17, 0
	v_max_f32_e32 v8, v8, v9
.LBB6_3731:                             ;   in Loop: Header=BB6_3177 Depth=4
	s_and_b32 vcc_lo, exec_lo, s17
	s_cbranch_vccz .LBB6_3745
; %bb.3732:                             ;   in Loop: Header=BB6_3177 Depth=4
	v_cmp_gt_i16_sdwa s74, v15, v61 src0_sel:BYTE_3 src1_sel:DWORD
	s_mov_b32 s17, 0
	s_and_saveexec_b32 s75, s74
	s_xor_b32 s74, exec_lo, s75
	s_cbranch_execz .LBB6_3875
; %bb.3733:                             ;   in Loop: Header=BB6_3177 Depth=4
	v_cmp_eq_u16_sdwa s76, v15, v62 src0_sel:BYTE_3 src1_sel:DWORD
	s_mov_b32 s17, -1
	s_and_saveexec_b32 s75, s76
; %bb.3734:                             ;   in Loop: Header=BB6_3177 Depth=4
	s_xor_b32 s17, exec_lo, -1
; %bb.3735:                             ;   in Loop: Header=BB6_3177 Depth=4
	s_or_b32 exec_lo, exec_lo, s75
	s_and_b32 s17, s17, exec_lo
	s_or_saveexec_b32 s74, s74
	v_mov_b32_e32 v38, 0x7f800001
	s_xor_b32 exec_lo, exec_lo, s74
	s_cbranch_execnz .LBB6_3876
.LBB6_3736:                             ;   in Loop: Header=BB6_3177 Depth=4
	s_or_b32 exec_lo, exec_lo, s74
	s_and_saveexec_b32 s74, s17
	s_cbranch_execz .LBB6_3738
.LBB6_3737:                             ;   in Loop: Header=BB6_3177 Depth=4
	v_bfe_u32 v8, v15, 24, 3
	v_bfe_u32 v38, v15, 27, 4
	v_ffbh_u32_e32 v9, v8
	v_cmp_eq_u32_e32 vcc_lo, 0, v38
	v_min_u32_e32 v9, 32, v9
	v_subrev_nc_u32_e32 v10, 28, v9
	v_sub_nc_u32_e32 v9, 29, v9
	v_lshlrev_b32_sdwa v10, v10, v15 dst_sel:DWORD dst_unused:UNUSED_PAD src0_sel:DWORD src1_sel:BYTE_3
	v_cndmask_b32_e32 v9, v38, v9, vcc_lo
	v_and_b32_e32 v10, 7, v10
	v_lshl_add_u32 v9, v9, 23, 0x3b800000
	v_cndmask_b32_e32 v8, v8, v10, vcc_lo
	v_and_b32_e32 v10, 0x80000000, v15
	v_lshlrev_b32_e32 v8, 20, v8
	v_or3_b32 v38, v10, v9, v8
.LBB6_3738:                             ;   in Loop: Header=BB6_3177 Depth=4
	s_or_b32 exec_lo, exec_lo, s74
	v_cmp_gt_i16_sdwa s74, v11, v61 src0_sel:BYTE_3 src1_sel:DWORD
	s_mov_b32 s17, 0
	s_and_saveexec_b32 s75, s74
	s_xor_b32 s74, exec_lo, s75
	s_cbranch_execz .LBB6_3877
; %bb.3739:                             ;   in Loop: Header=BB6_3177 Depth=4
	v_cmp_eq_u16_sdwa s76, v11, v62 src0_sel:BYTE_3 src1_sel:DWORD
	s_mov_b32 s17, -1
	s_and_saveexec_b32 s75, s76
; %bb.3740:                             ;   in Loop: Header=BB6_3177 Depth=4
	s_xor_b32 s17, exec_lo, -1
; %bb.3741:                             ;   in Loop: Header=BB6_3177 Depth=4
	s_or_b32 exec_lo, exec_lo, s75
	s_and_b32 s17, s17, exec_lo
                                        ; implicit-def: $vgpr8_vgpr9_vgpr10_vgpr11
	s_or_saveexec_b32 s74, s74
	v_mov_b32_e32 v8, 0x7f800001
	s_xor_b32 exec_lo, exec_lo, s74
	s_cbranch_execnz .LBB6_3878
.LBB6_3742:                             ;   in Loop: Header=BB6_3177 Depth=4
	s_or_b32 exec_lo, exec_lo, s74
	s_and_saveexec_b32 s74, s17
.LBB6_3743:                             ;   in Loop: Header=BB6_3177 Depth=4
	v_mov_b32_e32 v8, v37
.LBB6_3744:                             ;   in Loop: Header=BB6_3177 Depth=4
	s_or_b32 exec_lo, exec_lo, s74
	v_max_f32_e32 v8, v8, v8
	v_max_f32_e32 v9, v38, v38
	v_min_f32_e32 v8, v9, v8
.LBB6_3745:                             ;   in Loop: Header=BB6_3177 Depth=4
	v_and_b32_e32 v9, 0x7f800000, v8
	v_cmp_ne_u32_e32 vcc_lo, 0x7f800000, v9
	v_mov_b32_e32 v9, 0x8000
	s_and_saveexec_b32 s74, vcc_lo
	s_cbranch_execz .LBB6_3176
; %bb.3746:                             ;   in Loop: Header=BB6_3177 Depth=4
	v_mov_b32_e32 v9, 0
	s_mov_b32 s75, exec_lo
	v_cmpx_ne_u32_e32 0, v8
	s_cbranch_execz .LBB6_3175
; %bb.3747:                             ;   in Loop: Header=BB6_3177 Depth=4
	v_bfe_u32 v9, v8, 23, 8
	v_and_b32_e32 v10, 0x7fffff, v8
	v_sub_nc_u32_e32 v11, 0x78, v9
	v_cmp_gt_u32_e32 vcc_lo, 0x79, v9
	v_or_b32_e32 v15, 0x800000, v10
	v_cndmask_b32_e32 v11, 0, v11, vcc_lo
	v_cmp_eq_u32_e32 vcc_lo, 0, v9
	v_add_nc_u32_e32 v9, 0xffffff89, v9
	v_cndmask_b32_e64 v11, v11, 0x77, vcc_lo
	v_cndmask_b32_e32 v10, v15, v10, vcc_lo
	v_cndmask_b32_e64 v9, v9, 0xffffff8a, vcc_lo
	v_lshl_add_u32 v15, 0x100000, v11, -1
	v_lshrrev_b32_e32 v37, v11, v10
	v_lshlrev_b32_e64 v39, v11, 0x80000
	v_add_nc_u32_e32 v11, v11, v9
	v_and_b32_e32 v10, v15, v10
	v_bfe_u32 v38, v37, 20, 1
	v_cmp_eq_u32_e64 s17, v10, v39
	v_add_nc_u32_e32 v15, -1, v38
	v_cndmask_b32_e64 v10, 0, v15, s17
	v_lshrrev_b32_e32 v15, 23, v37
	s_mov_b32 s17, exec_lo
	v_add_nc_u32_e32 v10, v10, v37
	v_xor_b32_e32 v15, 1, v15
	v_and_b32_e32 v9, 0xfffff, v10
	v_add_nc_u32_e32 v10, v9, v37
                                        ; implicit-def: $vgpr9
	v_cmpx_ne_u32_e64 v11, v15
	s_xor_b32 s17, exec_lo, s17
; %bb.3748:                             ;   in Loop: Header=BB6_3177 Depth=4
	v_cmp_lt_u32_e32 vcc_lo, 0xffffff, v10
	v_sub_nc_u32_e32 v9, v11, v15
	v_cndmask_b32_e64 v11, 0, 1, vcc_lo
	v_add_co_ci_u32_e64 v9, null, 0, v9, vcc_lo
	v_lshrrev_b32_e32 v10, v11, v10
; %bb.3749:                             ;   in Loop: Header=BB6_3177 Depth=4
	s_andn2_saveexec_b32 s17, s17
	s_cbranch_execz .LBB6_3174
; %bb.3750:                             ;   in Loop: Header=BB6_3177 Depth=4
	v_bfe_u32 v9, v10, 23, 1
	s_branch .LBB6_3174
.LBB6_3751:                             ;   in Loop: Header=BB6_3177 Depth=4
	s_or_saveexec_b32 s74, s74
	v_mov_b32_e32 v26, 0x7f800001
	s_xor_b32 exec_lo, exec_lo, s74
	s_cbranch_execz .LBB6_3182
.LBB6_3752:                             ;   in Loop: Header=BB6_3177 Depth=4
	v_cmp_ne_u16_sdwa s75, v12, v2 src0_sel:BYTE_0 src1_sel:DWORD
	v_mov_b32_e32 v26, 0
	s_andn2_b32 s17, s17, exec_lo
	s_and_b32 s75, s75, exec_lo
	s_or_b32 s17, s17, s75
	s_or_b32 exec_lo, exec_lo, s74
	s_and_saveexec_b32 s74, s17
	s_cbranch_execnz .LBB6_3183
	s_branch .LBB6_3184
.LBB6_3753:                             ;   in Loop: Header=BB6_3177 Depth=4
	s_or_saveexec_b32 s74, s74
	v_mov_b32_e32 v27, 0x7f800001
	s_xor_b32 exec_lo, exec_lo, s74
	s_cbranch_execz .LBB6_3188
.LBB6_3754:                             ;   in Loop: Header=BB6_3177 Depth=4
	v_cmp_ne_u16_sdwa s75, v8, v2 src0_sel:BYTE_0 src1_sel:DWORD
	v_mov_b32_e32 v27, 0
	s_andn2_b32 s17, s17, exec_lo
	s_and_b32 s75, s75, exec_lo
	s_or_b32 s17, s17, s75
	s_or_b32 exec_lo, exec_lo, s74
	s_and_saveexec_b32 s74, s17
	s_cbranch_execnz .LBB6_3189
	s_branch .LBB6_3190
.LBB6_3755:                             ;   in Loop: Header=BB6_3177 Depth=4
	s_or_saveexec_b32 s74, s74
	v_mov_b32_e32 v26, 0x7f800001
	s_xor_b32 exec_lo, exec_lo, s74
	s_cbranch_execz .LBB6_3196
.LBB6_3756:                             ;   in Loop: Header=BB6_3177 Depth=4
	v_cmp_ne_u16_sdwa s75, v12, v2 src0_sel:BYTE_0 src1_sel:DWORD
	v_mov_b32_e32 v26, 0
	s_andn2_b32 s17, s17, exec_lo
	s_and_b32 s75, s75, exec_lo
	s_or_b32 s17, s17, s75
	s_or_b32 exec_lo, exec_lo, s74
	s_and_saveexec_b32 s74, s17
	s_cbranch_execnz .LBB6_3197
	s_branch .LBB6_3198
.LBB6_3757:                             ;   in Loop: Header=BB6_3177 Depth=4
	s_or_saveexec_b32 s74, s74
	v_mov_b32_e32 v27, 0x7f800001
	s_xor_b32 exec_lo, exec_lo, s74
	s_cbranch_execz .LBB6_3202
.LBB6_3758:                             ;   in Loop: Header=BB6_3177 Depth=4
	v_cmp_ne_u16_sdwa s75, v8, v2 src0_sel:BYTE_0 src1_sel:DWORD
	v_mov_b32_e32 v27, 0
	s_andn2_b32 s17, s17, exec_lo
	s_and_b32 s75, s75, exec_lo
	s_or_b32 s17, s17, s75
	s_or_b32 exec_lo, exec_lo, s74
	s_and_saveexec_b32 s74, s17
	s_cbranch_execnz .LBB6_3203
	s_branch .LBB6_3204
.LBB6_3759:                             ;   in Loop: Header=BB6_3177 Depth=4
	s_or_saveexec_b32 s74, s74
	v_mov_b32_e32 v27, 0x7f800001
	s_xor_b32 exec_lo, exec_lo, s74
	s_cbranch_execz .LBB6_3218
.LBB6_3760:                             ;   in Loop: Header=BB6_3177 Depth=4
	v_cmp_ne_u16_sdwa s75, v12, v2 src0_sel:BYTE_1 src1_sel:DWORD
	v_mov_b32_e32 v27, 0
	s_andn2_b32 s17, s17, exec_lo
	s_and_b32 s75, s75, exec_lo
	s_or_b32 s17, s17, s75
	s_or_b32 exec_lo, exec_lo, s74
	s_and_saveexec_b32 s74, s17
	s_cbranch_execnz .LBB6_3219
	s_branch .LBB6_3220
.LBB6_3761:                             ;   in Loop: Header=BB6_3177 Depth=4
	s_or_saveexec_b32 s74, s74
	v_mov_b32_e32 v28, 0x7f800001
	s_xor_b32 exec_lo, exec_lo, s74
	s_cbranch_execz .LBB6_3224
.LBB6_3762:                             ;   in Loop: Header=BB6_3177 Depth=4
	v_cmp_ne_u16_sdwa s75, v8, v2 src0_sel:BYTE_1 src1_sel:DWORD
	v_mov_b32_e32 v28, 0
	s_andn2_b32 s17, s17, exec_lo
	s_and_b32 s75, s75, exec_lo
	s_or_b32 s17, s17, s75
	s_or_b32 exec_lo, exec_lo, s74
	s_and_saveexec_b32 s74, s17
	s_cbranch_execnz .LBB6_3225
	s_branch .LBB6_3226
.LBB6_3763:                             ;   in Loop: Header=BB6_3177 Depth=4
	s_or_saveexec_b32 s74, s74
	v_mov_b32_e32 v27, 0x7f800001
	s_xor_b32 exec_lo, exec_lo, s74
	s_cbranch_execz .LBB6_3232
.LBB6_3764:                             ;   in Loop: Header=BB6_3177 Depth=4
	v_cmp_ne_u16_sdwa s75, v12, v2 src0_sel:BYTE_1 src1_sel:DWORD
	v_mov_b32_e32 v27, 0
	s_andn2_b32 s17, s17, exec_lo
	s_and_b32 s75, s75, exec_lo
	s_or_b32 s17, s17, s75
	s_or_b32 exec_lo, exec_lo, s74
	s_and_saveexec_b32 s74, s17
	s_cbranch_execnz .LBB6_3233
	s_branch .LBB6_3234
.LBB6_3765:                             ;   in Loop: Header=BB6_3177 Depth=4
	s_or_saveexec_b32 s74, s74
	v_mov_b32_e32 v28, 0x7f800001
	s_xor_b32 exec_lo, exec_lo, s74
	s_cbranch_execz .LBB6_3238
.LBB6_3766:                             ;   in Loop: Header=BB6_3177 Depth=4
	v_cmp_ne_u16_sdwa s75, v8, v2 src0_sel:BYTE_1 src1_sel:DWORD
	v_mov_b32_e32 v28, 0
	s_andn2_b32 s17, s17, exec_lo
	s_and_b32 s75, s75, exec_lo
	s_or_b32 s17, s17, s75
	s_or_b32 exec_lo, exec_lo, s74
	s_and_saveexec_b32 s74, s17
	s_cbranch_execnz .LBB6_3239
	s_branch .LBB6_3240
.LBB6_3767:                             ;   in Loop: Header=BB6_3177 Depth=4
	s_or_saveexec_b32 s17, s17
	v_mov_b32_e32 v29, 0x7f800001
	s_xor_b32 exec_lo, exec_lo, s17
	s_cbranch_execz .LBB6_3254
.LBB6_3768:                             ;   in Loop: Header=BB6_3177 Depth=4
	v_cmp_ne_u16_e32 vcc_lo, 0, v28
	v_mov_b32_e32 v29, 0
	s_andn2_b32 s74, s74, exec_lo
	s_and_b32 s75, vcc_lo, exec_lo
	s_or_b32 s74, s74, s75
	s_or_b32 exec_lo, exec_lo, s17
	s_and_saveexec_b32 s17, s74
	s_cbranch_execnz .LBB6_3255
	s_branch .LBB6_3256
.LBB6_3769:                             ;   in Loop: Header=BB6_3177 Depth=4
	s_or_saveexec_b32 s74, s74
	v_mov_b32_e32 v30, 0x7f800001
	s_xor_b32 exec_lo, exec_lo, s74
	s_cbranch_execz .LBB6_3260
.LBB6_3770:                             ;   in Loop: Header=BB6_3177 Depth=4
	v_cmp_ne_u16_e32 vcc_lo, 0, v31
	v_mov_b32_e32 v30, 0
	s_andn2_b32 s17, s17, exec_lo
	s_and_b32 s75, vcc_lo, exec_lo
	s_or_b32 s17, s17, s75
	s_or_b32 exec_lo, exec_lo, s74
	s_and_saveexec_b32 s74, s17
	s_cbranch_execnz .LBB6_3261
	s_branch .LBB6_3262
.LBB6_3771:                             ;   in Loop: Header=BB6_3177 Depth=4
	s_or_saveexec_b32 s74, s74
	v_mov_b32_e32 v29, 0x7f800001
	s_xor_b32 exec_lo, exec_lo, s74
	s_cbranch_execz .LBB6_3268
.LBB6_3772:                             ;   in Loop: Header=BB6_3177 Depth=4
	v_cmp_ne_u16_e32 vcc_lo, 0, v28
	v_mov_b32_e32 v29, 0
	s_andn2_b32 s17, s17, exec_lo
	s_and_b32 s75, vcc_lo, exec_lo
	s_or_b32 s17, s17, s75
	s_or_b32 exec_lo, exec_lo, s74
	s_and_saveexec_b32 s74, s17
	s_cbranch_execnz .LBB6_3269
	s_branch .LBB6_3270
.LBB6_3773:                             ;   in Loop: Header=BB6_3177 Depth=4
	s_or_saveexec_b32 s74, s74
	v_mov_b32_e32 v28, 0x7f800001
	s_xor_b32 exec_lo, exec_lo, s74
	s_cbranch_execz .LBB6_3274
.LBB6_3774:                             ;   in Loop: Header=BB6_3177 Depth=4
	v_cmp_ne_u16_e32 vcc_lo, 0, v30
	v_mov_b32_e32 v28, 0
	s_andn2_b32 s17, s17, exec_lo
	s_and_b32 s75, vcc_lo, exec_lo
	s_or_b32 s17, s17, s75
	s_or_b32 exec_lo, exec_lo, s74
	s_and_saveexec_b32 s74, s17
	s_cbranch_execnz .LBB6_3275
	s_branch .LBB6_3276
.LBB6_3775:                             ;   in Loop: Header=BB6_3177 Depth=4
	s_or_saveexec_b32 s74, s74
	v_mov_b32_e32 v29, 0x7f800001
	s_xor_b32 exec_lo, exec_lo, s74
	s_cbranch_execz .LBB6_3290
.LBB6_3776:                             ;   in Loop: Header=BB6_3177 Depth=4
	v_cmp_ne_u16_sdwa s75, v12, v2 src0_sel:BYTE_3 src1_sel:DWORD
	v_mov_b32_e32 v29, 0
	s_andn2_b32 s17, s17, exec_lo
	s_and_b32 s75, s75, exec_lo
	s_or_b32 s17, s17, s75
	s_or_b32 exec_lo, exec_lo, s74
	s_and_saveexec_b32 s74, s17
	s_cbranch_execnz .LBB6_3291
	s_branch .LBB6_3292
.LBB6_3777:                             ;   in Loop: Header=BB6_3177 Depth=4
	s_or_saveexec_b32 s74, s74
	v_mov_b32_e32 v30, 0x7f800001
	s_xor_b32 exec_lo, exec_lo, s74
	s_cbranch_execz .LBB6_3296
.LBB6_3778:                             ;   in Loop: Header=BB6_3177 Depth=4
	v_cmp_ne_u16_sdwa s75, v8, v2 src0_sel:BYTE_3 src1_sel:DWORD
	v_mov_b32_e32 v30, 0
	s_andn2_b32 s17, s17, exec_lo
	s_and_b32 s75, s75, exec_lo
	s_or_b32 s17, s17, s75
	s_or_b32 exec_lo, exec_lo, s74
	s_and_saveexec_b32 s74, s17
	s_cbranch_execnz .LBB6_3297
	s_branch .LBB6_3298
.LBB6_3779:                             ;   in Loop: Header=BB6_3177 Depth=4
	s_or_saveexec_b32 s74, s74
	v_mov_b32_e32 v29, 0x7f800001
	s_xor_b32 exec_lo, exec_lo, s74
	s_cbranch_execz .LBB6_3304
.LBB6_3780:                             ;   in Loop: Header=BB6_3177 Depth=4
	v_cmp_ne_u16_sdwa s75, v12, v2 src0_sel:BYTE_3 src1_sel:DWORD
	v_mov_b32_e32 v29, 0
	s_andn2_b32 s17, s17, exec_lo
	s_and_b32 s75, s75, exec_lo
	s_or_b32 s17, s17, s75
	s_or_b32 exec_lo, exec_lo, s74
	s_and_saveexec_b32 s74, s17
	s_cbranch_execnz .LBB6_3305
	s_branch .LBB6_3306
.LBB6_3781:                             ;   in Loop: Header=BB6_3177 Depth=4
	s_or_saveexec_b32 s74, s74
	v_mov_b32_e32 v12, 0x7f800001
	s_xor_b32 exec_lo, exec_lo, s74
	s_cbranch_execz .LBB6_3310
.LBB6_3782:                             ;   in Loop: Header=BB6_3177 Depth=4
	v_cmp_ne_u16_sdwa s75, v8, v2 src0_sel:BYTE_3 src1_sel:DWORD
	v_mov_b32_e32 v12, 0
	s_andn2_b32 s17, s17, exec_lo
	s_and_b32 s75, s75, exec_lo
	s_or_b32 s17, s17, s75
	s_or_b32 exec_lo, exec_lo, s74
	s_and_saveexec_b32 s74, s17
	s_cbranch_execnz .LBB6_3311
	s_branch .LBB6_3312
.LBB6_3783:                             ;   in Loop: Header=BB6_3177 Depth=4
	s_or_saveexec_b32 s74, s74
	v_mov_b32_e32 v28, 0x7f800001
	s_xor_b32 exec_lo, exec_lo, s74
	s_cbranch_execz .LBB6_3326
.LBB6_3784:                             ;   in Loop: Header=BB6_3177 Depth=4
	v_cmp_ne_u16_sdwa s75, v13, v2 src0_sel:BYTE_0 src1_sel:DWORD
	v_mov_b32_e32 v28, 0
	s_andn2_b32 s17, s17, exec_lo
	s_and_b32 s75, s75, exec_lo
	s_or_b32 s17, s17, s75
	s_or_b32 exec_lo, exec_lo, s74
	s_and_saveexec_b32 s74, s17
	s_cbranch_execnz .LBB6_3327
	s_branch .LBB6_3328
.LBB6_3785:                             ;   in Loop: Header=BB6_3177 Depth=4
	s_or_saveexec_b32 s74, s74
	v_mov_b32_e32 v29, 0x7f800001
	s_xor_b32 exec_lo, exec_lo, s74
	s_cbranch_execz .LBB6_3332
.LBB6_3786:                             ;   in Loop: Header=BB6_3177 Depth=4
	v_cmp_ne_u16_sdwa s75, v9, v2 src0_sel:BYTE_0 src1_sel:DWORD
	v_mov_b32_e32 v29, 0
	s_andn2_b32 s17, s17, exec_lo
	s_and_b32 s75, s75, exec_lo
	s_or_b32 s17, s17, s75
	s_or_b32 exec_lo, exec_lo, s74
	s_and_saveexec_b32 s74, s17
	s_cbranch_execnz .LBB6_3333
	s_branch .LBB6_3334
.LBB6_3787:                             ;   in Loop: Header=BB6_3177 Depth=4
	s_or_saveexec_b32 s74, s74
	v_mov_b32_e32 v28, 0x7f800001
	s_xor_b32 exec_lo, exec_lo, s74
	s_cbranch_execz .LBB6_3340
.LBB6_3788:                             ;   in Loop: Header=BB6_3177 Depth=4
	v_cmp_ne_u16_sdwa s75, v13, v2 src0_sel:BYTE_0 src1_sel:DWORD
	v_mov_b32_e32 v28, 0
	s_andn2_b32 s17, s17, exec_lo
	s_and_b32 s75, s75, exec_lo
	s_or_b32 s17, s17, s75
	s_or_b32 exec_lo, exec_lo, s74
	s_and_saveexec_b32 s74, s17
	s_cbranch_execnz .LBB6_3341
	s_branch .LBB6_3342
.LBB6_3789:                             ;   in Loop: Header=BB6_3177 Depth=4
	s_or_saveexec_b32 s74, s74
	v_mov_b32_e32 v29, 0x7f800001
	s_xor_b32 exec_lo, exec_lo, s74
	s_cbranch_execz .LBB6_3346
.LBB6_3790:                             ;   in Loop: Header=BB6_3177 Depth=4
	v_cmp_ne_u16_sdwa s75, v9, v2 src0_sel:BYTE_0 src1_sel:DWORD
	v_mov_b32_e32 v29, 0
	s_andn2_b32 s17, s17, exec_lo
	s_and_b32 s75, s75, exec_lo
	s_or_b32 s17, s17, s75
	s_or_b32 exec_lo, exec_lo, s74
	s_and_saveexec_b32 s74, s17
	s_cbranch_execnz .LBB6_3347
	s_branch .LBB6_3348
.LBB6_3791:                             ;   in Loop: Header=BB6_3177 Depth=4
	s_or_saveexec_b32 s74, s74
	v_mov_b32_e32 v29, 0x7f800001
	s_xor_b32 exec_lo, exec_lo, s74
	s_cbranch_execz .LBB6_3362
.LBB6_3792:                             ;   in Loop: Header=BB6_3177 Depth=4
	v_cmp_ne_u16_sdwa s75, v13, v2 src0_sel:BYTE_1 src1_sel:DWORD
	v_mov_b32_e32 v29, 0
	s_andn2_b32 s17, s17, exec_lo
	s_and_b32 s75, s75, exec_lo
	s_or_b32 s17, s17, s75
	s_or_b32 exec_lo, exec_lo, s74
	s_and_saveexec_b32 s74, s17
	s_cbranch_execnz .LBB6_3363
	s_branch .LBB6_3364
.LBB6_3793:                             ;   in Loop: Header=BB6_3177 Depth=4
	s_or_saveexec_b32 s74, s74
	v_mov_b32_e32 v30, 0x7f800001
	s_xor_b32 exec_lo, exec_lo, s74
	s_cbranch_execz .LBB6_3368
.LBB6_3794:                             ;   in Loop: Header=BB6_3177 Depth=4
	v_cmp_ne_u16_sdwa s75, v9, v2 src0_sel:BYTE_1 src1_sel:DWORD
	v_mov_b32_e32 v30, 0
	s_andn2_b32 s17, s17, exec_lo
	s_and_b32 s75, s75, exec_lo
	s_or_b32 s17, s17, s75
	s_or_b32 exec_lo, exec_lo, s74
	s_and_saveexec_b32 s74, s17
	s_cbranch_execnz .LBB6_3369
	s_branch .LBB6_3370
.LBB6_3795:                             ;   in Loop: Header=BB6_3177 Depth=4
	s_or_saveexec_b32 s74, s74
	v_mov_b32_e32 v29, 0x7f800001
	s_xor_b32 exec_lo, exec_lo, s74
	s_cbranch_execz .LBB6_3376
.LBB6_3796:                             ;   in Loop: Header=BB6_3177 Depth=4
	v_cmp_ne_u16_sdwa s75, v13, v2 src0_sel:BYTE_1 src1_sel:DWORD
	v_mov_b32_e32 v29, 0
	s_andn2_b32 s17, s17, exec_lo
	s_and_b32 s75, s75, exec_lo
	s_or_b32 s17, s17, s75
	s_or_b32 exec_lo, exec_lo, s74
	s_and_saveexec_b32 s74, s17
	s_cbranch_execnz .LBB6_3377
	s_branch .LBB6_3378
.LBB6_3797:                             ;   in Loop: Header=BB6_3177 Depth=4
	s_or_saveexec_b32 s74, s74
	v_mov_b32_e32 v30, 0x7f800001
	s_xor_b32 exec_lo, exec_lo, s74
	s_cbranch_execz .LBB6_3382
.LBB6_3798:                             ;   in Loop: Header=BB6_3177 Depth=4
	v_cmp_ne_u16_sdwa s75, v9, v2 src0_sel:BYTE_1 src1_sel:DWORD
	v_mov_b32_e32 v30, 0
	s_andn2_b32 s17, s17, exec_lo
	s_and_b32 s75, s75, exec_lo
	s_or_b32 s17, s17, s75
	s_or_b32 exec_lo, exec_lo, s74
	s_and_saveexec_b32 s74, s17
	s_cbranch_execnz .LBB6_3383
	s_branch .LBB6_3384
.LBB6_3799:                             ;   in Loop: Header=BB6_3177 Depth=4
	s_or_saveexec_b32 s17, s17
	v_mov_b32_e32 v31, 0x7f800001
	s_xor_b32 exec_lo, exec_lo, s17
	s_cbranch_execz .LBB6_3398
.LBB6_3800:                             ;   in Loop: Header=BB6_3177 Depth=4
	v_cmp_ne_u16_e32 vcc_lo, 0, v30
	v_mov_b32_e32 v31, 0
	s_andn2_b32 s74, s74, exec_lo
	s_and_b32 s75, vcc_lo, exec_lo
	s_or_b32 s74, s74, s75
	s_or_b32 exec_lo, exec_lo, s17
	s_and_saveexec_b32 s17, s74
	s_cbranch_execnz .LBB6_3399
	s_branch .LBB6_3400
.LBB6_3801:                             ;   in Loop: Header=BB6_3177 Depth=4
	s_or_saveexec_b32 s74, s74
	v_mov_b32_e32 v32, 0x7f800001
	s_xor_b32 exec_lo, exec_lo, s74
	s_cbranch_execz .LBB6_3404
.LBB6_3802:                             ;   in Loop: Header=BB6_3177 Depth=4
	v_cmp_ne_u16_e32 vcc_lo, 0, v33
	v_mov_b32_e32 v32, 0
	s_andn2_b32 s17, s17, exec_lo
	s_and_b32 s75, vcc_lo, exec_lo
	s_or_b32 s17, s17, s75
	s_or_b32 exec_lo, exec_lo, s74
	s_and_saveexec_b32 s74, s17
	s_cbranch_execnz .LBB6_3405
	s_branch .LBB6_3406
.LBB6_3803:                             ;   in Loop: Header=BB6_3177 Depth=4
	s_or_saveexec_b32 s74, s74
	v_mov_b32_e32 v31, 0x7f800001
	s_xor_b32 exec_lo, exec_lo, s74
	s_cbranch_execz .LBB6_3412
.LBB6_3804:                             ;   in Loop: Header=BB6_3177 Depth=4
	v_cmp_ne_u16_e32 vcc_lo, 0, v30
	v_mov_b32_e32 v31, 0
	s_andn2_b32 s17, s17, exec_lo
	s_and_b32 s75, vcc_lo, exec_lo
	s_or_b32 s17, s17, s75
	s_or_b32 exec_lo, exec_lo, s74
	s_and_saveexec_b32 s74, s17
	s_cbranch_execnz .LBB6_3413
	s_branch .LBB6_3414
.LBB6_3805:                             ;   in Loop: Header=BB6_3177 Depth=4
	s_or_saveexec_b32 s74, s74
	v_mov_b32_e32 v30, 0x7f800001
	s_xor_b32 exec_lo, exec_lo, s74
	s_cbranch_execz .LBB6_3418
.LBB6_3806:                             ;   in Loop: Header=BB6_3177 Depth=4
	v_cmp_ne_u16_e32 vcc_lo, 0, v32
	v_mov_b32_e32 v30, 0
	s_andn2_b32 s17, s17, exec_lo
	s_and_b32 s75, vcc_lo, exec_lo
	s_or_b32 s17, s17, s75
	s_or_b32 exec_lo, exec_lo, s74
	s_and_saveexec_b32 s74, s17
	s_cbranch_execnz .LBB6_3419
	s_branch .LBB6_3420
.LBB6_3807:                             ;   in Loop: Header=BB6_3177 Depth=4
	s_or_saveexec_b32 s74, s74
	v_mov_b32_e32 v31, 0x7f800001
	s_xor_b32 exec_lo, exec_lo, s74
	s_cbranch_execz .LBB6_3434
.LBB6_3808:                             ;   in Loop: Header=BB6_3177 Depth=4
	v_cmp_ne_u16_sdwa s75, v13, v2 src0_sel:BYTE_3 src1_sel:DWORD
	v_mov_b32_e32 v31, 0
	s_andn2_b32 s17, s17, exec_lo
	s_and_b32 s75, s75, exec_lo
	s_or_b32 s17, s17, s75
	s_or_b32 exec_lo, exec_lo, s74
	s_and_saveexec_b32 s74, s17
	s_cbranch_execnz .LBB6_3435
	s_branch .LBB6_3436
.LBB6_3809:                             ;   in Loop: Header=BB6_3177 Depth=4
	s_or_saveexec_b32 s74, s74
	v_mov_b32_e32 v32, 0x7f800001
	s_xor_b32 exec_lo, exec_lo, s74
	s_cbranch_execz .LBB6_3440
.LBB6_3810:                             ;   in Loop: Header=BB6_3177 Depth=4
	v_cmp_ne_u16_sdwa s75, v9, v2 src0_sel:BYTE_3 src1_sel:DWORD
	v_mov_b32_e32 v32, 0
	s_andn2_b32 s17, s17, exec_lo
	s_and_b32 s75, s75, exec_lo
	s_or_b32 s17, s17, s75
	s_or_b32 exec_lo, exec_lo, s74
	s_and_saveexec_b32 s74, s17
	s_cbranch_execnz .LBB6_3441
	s_branch .LBB6_3442
.LBB6_3811:                             ;   in Loop: Header=BB6_3177 Depth=4
	s_or_saveexec_b32 s74, s74
	v_mov_b32_e32 v31, 0x7f800001
	s_xor_b32 exec_lo, exec_lo, s74
	s_cbranch_execz .LBB6_3448
.LBB6_3812:                             ;   in Loop: Header=BB6_3177 Depth=4
	v_cmp_ne_u16_sdwa s75, v13, v2 src0_sel:BYTE_3 src1_sel:DWORD
	v_mov_b32_e32 v31, 0
	s_andn2_b32 s17, s17, exec_lo
	s_and_b32 s75, s75, exec_lo
	s_or_b32 s17, s17, s75
	s_or_b32 exec_lo, exec_lo, s74
	s_and_saveexec_b32 s74, s17
	s_cbranch_execnz .LBB6_3449
	s_branch .LBB6_3450
.LBB6_3813:                             ;   in Loop: Header=BB6_3177 Depth=4
	s_or_saveexec_b32 s74, s74
	v_mov_b32_e32 v13, 0x7f800001
	s_xor_b32 exec_lo, exec_lo, s74
	s_cbranch_execz .LBB6_3454
.LBB6_3814:                             ;   in Loop: Header=BB6_3177 Depth=4
	v_cmp_ne_u16_sdwa s75, v9, v2 src0_sel:BYTE_3 src1_sel:DWORD
	v_mov_b32_e32 v13, 0
	s_andn2_b32 s17, s17, exec_lo
	s_and_b32 s75, s75, exec_lo
	s_or_b32 s17, s17, s75
	s_or_b32 exec_lo, exec_lo, s74
	s_and_saveexec_b32 s74, s17
	s_cbranch_execnz .LBB6_3455
	s_branch .LBB6_3456
.LBB6_3815:                             ;   in Loop: Header=BB6_3177 Depth=4
	s_or_saveexec_b32 s74, s74
	v_mov_b32_e32 v9, 0x7f800001
	s_xor_b32 exec_lo, exec_lo, s74
	s_cbranch_execz .LBB6_3470
.LBB6_3816:                             ;   in Loop: Header=BB6_3177 Depth=4
	v_cmp_ne_u16_sdwa s75, v14, v2 src0_sel:BYTE_0 src1_sel:DWORD
	v_mov_b32_e32 v9, 0
	s_andn2_b32 s17, s17, exec_lo
	s_and_b32 s75, s75, exec_lo
	s_or_b32 s17, s17, s75
	s_or_b32 exec_lo, exec_lo, s74
	s_and_saveexec_b32 s74, s17
	s_cbranch_execnz .LBB6_3471
	s_branch .LBB6_3472
.LBB6_3817:                             ;   in Loop: Header=BB6_3177 Depth=4
	s_or_saveexec_b32 s74, s74
	v_mov_b32_e32 v31, 0x7f800001
	s_xor_b32 exec_lo, exec_lo, s74
	s_cbranch_execz .LBB6_3476
.LBB6_3818:                             ;   in Loop: Header=BB6_3177 Depth=4
	v_cmp_ne_u16_sdwa s75, v10, v2 src0_sel:BYTE_0 src1_sel:DWORD
	v_mov_b32_e32 v31, 0
	s_andn2_b32 s17, s17, exec_lo
	s_and_b32 s75, s75, exec_lo
	s_or_b32 s17, s17, s75
	s_or_b32 exec_lo, exec_lo, s74
	s_and_saveexec_b32 s74, s17
	s_cbranch_execnz .LBB6_3477
	s_branch .LBB6_3478
.LBB6_3819:                             ;   in Loop: Header=BB6_3177 Depth=4
	s_or_saveexec_b32 s74, s74
	v_mov_b32_e32 v9, 0x7f800001
	s_xor_b32 exec_lo, exec_lo, s74
	s_cbranch_execz .LBB6_3484
.LBB6_3820:                             ;   in Loop: Header=BB6_3177 Depth=4
	v_cmp_ne_u16_sdwa s75, v14, v2 src0_sel:BYTE_0 src1_sel:DWORD
	v_mov_b32_e32 v9, 0
	s_andn2_b32 s17, s17, exec_lo
	s_and_b32 s75, s75, exec_lo
	s_or_b32 s17, s17, s75
	s_or_b32 exec_lo, exec_lo, s74
	s_and_saveexec_b32 s74, s17
	s_cbranch_execnz .LBB6_3485
	s_branch .LBB6_3486
.LBB6_3821:                             ;   in Loop: Header=BB6_3177 Depth=4
	s_or_saveexec_b32 s74, s74
	v_mov_b32_e32 v31, 0x7f800001
	s_xor_b32 exec_lo, exec_lo, s74
	s_cbranch_execz .LBB6_3490
.LBB6_3822:                             ;   in Loop: Header=BB6_3177 Depth=4
	v_cmp_ne_u16_sdwa s75, v10, v2 src0_sel:BYTE_0 src1_sel:DWORD
	v_mov_b32_e32 v31, 0
	s_andn2_b32 s17, s17, exec_lo
	s_and_b32 s75, s75, exec_lo
	s_or_b32 s17, s17, s75
	s_or_b32 exec_lo, exec_lo, s74
	s_and_saveexec_b32 s74, s17
	s_cbranch_execnz .LBB6_3491
	s_branch .LBB6_3492
.LBB6_3823:                             ;   in Loop: Header=BB6_3177 Depth=4
	s_or_saveexec_b32 s74, s74
	v_mov_b32_e32 v9, 0x7f800001
	s_xor_b32 exec_lo, exec_lo, s74
	s_cbranch_execz .LBB6_3506
.LBB6_3824:                             ;   in Loop: Header=BB6_3177 Depth=4
	v_cmp_ne_u16_sdwa s75, v14, v2 src0_sel:BYTE_1 src1_sel:DWORD
	v_mov_b32_e32 v9, 0
	s_andn2_b32 s17, s17, exec_lo
	s_and_b32 s75, s75, exec_lo
	s_or_b32 s17, s17, s75
	s_or_b32 exec_lo, exec_lo, s74
	s_and_saveexec_b32 s74, s17
	s_cbranch_execnz .LBB6_3507
	s_branch .LBB6_3508
.LBB6_3825:                             ;   in Loop: Header=BB6_3177 Depth=4
	s_or_saveexec_b32 s74, s74
	v_mov_b32_e32 v32, 0x7f800001
	s_xor_b32 exec_lo, exec_lo, s74
	s_cbranch_execz .LBB6_3512
.LBB6_3826:                             ;   in Loop: Header=BB6_3177 Depth=4
	v_cmp_ne_u16_sdwa s75, v10, v2 src0_sel:BYTE_1 src1_sel:DWORD
	v_mov_b32_e32 v32, 0
	s_andn2_b32 s17, s17, exec_lo
	s_and_b32 s75, s75, exec_lo
	s_or_b32 s17, s17, s75
	s_or_b32 exec_lo, exec_lo, s74
	s_and_saveexec_b32 s74, s17
	s_cbranch_execnz .LBB6_3513
	s_branch .LBB6_3514
.LBB6_3827:                             ;   in Loop: Header=BB6_3177 Depth=4
	s_or_saveexec_b32 s74, s74
	v_mov_b32_e32 v9, 0x7f800001
	s_xor_b32 exec_lo, exec_lo, s74
	s_cbranch_execz .LBB6_3520
.LBB6_3828:                             ;   in Loop: Header=BB6_3177 Depth=4
	v_cmp_ne_u16_sdwa s75, v14, v2 src0_sel:BYTE_1 src1_sel:DWORD
	v_mov_b32_e32 v9, 0
	s_andn2_b32 s17, s17, exec_lo
	s_and_b32 s75, s75, exec_lo
	s_or_b32 s17, s17, s75
	s_or_b32 exec_lo, exec_lo, s74
	s_and_saveexec_b32 s74, s17
	s_cbranch_execnz .LBB6_3521
	s_branch .LBB6_3522
.LBB6_3829:                             ;   in Loop: Header=BB6_3177 Depth=4
	s_or_saveexec_b32 s74, s74
	v_mov_b32_e32 v32, 0x7f800001
	s_xor_b32 exec_lo, exec_lo, s74
	s_cbranch_execz .LBB6_3526
.LBB6_3830:                             ;   in Loop: Header=BB6_3177 Depth=4
	v_cmp_ne_u16_sdwa s75, v10, v2 src0_sel:BYTE_1 src1_sel:DWORD
	v_mov_b32_e32 v32, 0
	s_andn2_b32 s17, s17, exec_lo
	s_and_b32 s75, s75, exec_lo
	s_or_b32 s17, s17, s75
	s_or_b32 exec_lo, exec_lo, s74
	s_and_saveexec_b32 s74, s17
	s_cbranch_execnz .LBB6_3527
	s_branch .LBB6_3528
.LBB6_3831:                             ;   in Loop: Header=BB6_3177 Depth=4
	s_or_saveexec_b32 s17, s17
	v_mov_b32_e32 v33, 0x7f800001
	s_xor_b32 exec_lo, exec_lo, s17
	s_cbranch_execz .LBB6_3542
.LBB6_3832:                             ;   in Loop: Header=BB6_3177 Depth=4
	v_cmp_ne_u16_e32 vcc_lo, 0, v9
	v_mov_b32_e32 v33, 0
	s_andn2_b32 s74, s74, exec_lo
	s_and_b32 s75, vcc_lo, exec_lo
	s_or_b32 s74, s74, s75
	s_or_b32 exec_lo, exec_lo, s17
	s_and_saveexec_b32 s17, s74
	s_cbranch_execnz .LBB6_3543
	s_branch .LBB6_3544
.LBB6_3833:                             ;   in Loop: Header=BB6_3177 Depth=4
	s_or_saveexec_b32 s74, s74
	v_mov_b32_e32 v34, 0x7f800001
	s_xor_b32 exec_lo, exec_lo, s74
	s_cbranch_execz .LBB6_3548
.LBB6_3834:                             ;   in Loop: Header=BB6_3177 Depth=4
	v_cmp_ne_u16_e32 vcc_lo, 0, v35
	v_mov_b32_e32 v34, 0
	s_andn2_b32 s17, s17, exec_lo
	s_and_b32 s75, vcc_lo, exec_lo
	s_or_b32 s17, s17, s75
	s_or_b32 exec_lo, exec_lo, s74
	s_and_saveexec_b32 s74, s17
	s_cbranch_execnz .LBB6_3549
	s_branch .LBB6_3550
.LBB6_3835:                             ;   in Loop: Header=BB6_3177 Depth=4
	s_or_saveexec_b32 s74, s74
	v_mov_b32_e32 v33, 0x7f800001
	s_xor_b32 exec_lo, exec_lo, s74
	s_cbranch_execz .LBB6_3556
.LBB6_3836:                             ;   in Loop: Header=BB6_3177 Depth=4
	v_cmp_ne_u16_e32 vcc_lo, 0, v9
	v_mov_b32_e32 v33, 0
	s_andn2_b32 s17, s17, exec_lo
	s_and_b32 s75, vcc_lo, exec_lo
	s_or_b32 s17, s17, s75
	s_or_b32 exec_lo, exec_lo, s74
	s_and_saveexec_b32 s74, s17
	s_cbranch_execnz .LBB6_3557
	s_branch .LBB6_3558
.LBB6_3837:                             ;   in Loop: Header=BB6_3177 Depth=4
	s_or_saveexec_b32 s74, s74
	v_mov_b32_e32 v9, 0x7f800001
	s_xor_b32 exec_lo, exec_lo, s74
	s_cbranch_execz .LBB6_3562
.LBB6_3838:                             ;   in Loop: Header=BB6_3177 Depth=4
	v_cmp_ne_u16_e32 vcc_lo, 0, v34
	v_mov_b32_e32 v9, 0
	s_andn2_b32 s17, s17, exec_lo
	s_and_b32 s75, vcc_lo, exec_lo
	s_or_b32 s17, s17, s75
	s_or_b32 exec_lo, exec_lo, s74
	s_and_saveexec_b32 s74, s17
	s_cbranch_execnz .LBB6_3563
	s_branch .LBB6_3564
.LBB6_3839:                             ;   in Loop: Header=BB6_3177 Depth=4
	s_or_saveexec_b32 s74, s74
	v_mov_b32_e32 v9, 0x7f800001
	s_xor_b32 exec_lo, exec_lo, s74
	s_cbranch_execz .LBB6_3578
.LBB6_3840:                             ;   in Loop: Header=BB6_3177 Depth=4
	v_cmp_ne_u16_sdwa s75, v14, v2 src0_sel:BYTE_3 src1_sel:DWORD
	v_mov_b32_e32 v9, 0
	s_andn2_b32 s17, s17, exec_lo
	s_and_b32 s75, s75, exec_lo
	s_or_b32 s17, s17, s75
	s_or_b32 exec_lo, exec_lo, s74
	s_and_saveexec_b32 s74, s17
	s_cbranch_execnz .LBB6_3579
	s_branch .LBB6_3580
.LBB6_3841:                             ;   in Loop: Header=BB6_3177 Depth=4
	s_or_saveexec_b32 s74, s74
	v_mov_b32_e32 v34, 0x7f800001
	s_xor_b32 exec_lo, exec_lo, s74
	s_cbranch_execz .LBB6_3584
.LBB6_3842:                             ;   in Loop: Header=BB6_3177 Depth=4
	v_cmp_ne_u16_sdwa s75, v10, v2 src0_sel:BYTE_3 src1_sel:DWORD
	v_mov_b32_e32 v34, 0
	s_andn2_b32 s17, s17, exec_lo
	s_and_b32 s75, s75, exec_lo
	s_or_b32 s17, s17, s75
	s_or_b32 exec_lo, exec_lo, s74
	s_and_saveexec_b32 s74, s17
	s_cbranch_execnz .LBB6_3585
	s_branch .LBB6_3586
.LBB6_3843:                             ;   in Loop: Header=BB6_3177 Depth=4
	s_or_saveexec_b32 s74, s74
	v_mov_b32_e32 v9, 0x7f800001
	s_xor_b32 exec_lo, exec_lo, s74
	s_cbranch_execz .LBB6_3592
.LBB6_3844:                             ;   in Loop: Header=BB6_3177 Depth=4
	v_cmp_ne_u16_sdwa s75, v14, v2 src0_sel:BYTE_3 src1_sel:DWORD
	v_mov_b32_e32 v9, 0
	s_andn2_b32 s17, s17, exec_lo
	s_and_b32 s75, s75, exec_lo
	s_or_b32 s17, s17, s75
	s_or_b32 exec_lo, exec_lo, s74
	s_and_saveexec_b32 s74, s17
	s_cbranch_execnz .LBB6_3593
	s_branch .LBB6_3594
.LBB6_3845:                             ;   in Loop: Header=BB6_3177 Depth=4
	s_or_saveexec_b32 s74, s74
	v_mov_b32_e32 v14, 0x7f800001
	s_xor_b32 exec_lo, exec_lo, s74
	s_cbranch_execz .LBB6_3598
.LBB6_3846:                             ;   in Loop: Header=BB6_3177 Depth=4
	v_cmp_ne_u16_sdwa s75, v10, v2 src0_sel:BYTE_3 src1_sel:DWORD
	v_mov_b32_e32 v14, 0
	s_andn2_b32 s17, s17, exec_lo
	s_and_b32 s75, s75, exec_lo
	s_or_b32 s17, s17, s75
	s_or_b32 exec_lo, exec_lo, s74
	s_and_saveexec_b32 s74, s17
	s_cbranch_execnz .LBB6_3599
	s_branch .LBB6_3600
.LBB6_3847:                             ;   in Loop: Header=BB6_3177 Depth=4
	s_or_saveexec_b32 s74, s74
	v_mov_b32_e32 v9, 0x7f800001
	s_xor_b32 exec_lo, exec_lo, s74
	s_cbranch_execz .LBB6_3614
.LBB6_3848:                             ;   in Loop: Header=BB6_3177 Depth=4
	v_cmp_ne_u16_sdwa s75, v15, v2 src0_sel:BYTE_0 src1_sel:DWORD
	v_mov_b32_e32 v9, 0
	s_andn2_b32 s17, s17, exec_lo
	s_and_b32 s75, s75, exec_lo
	s_or_b32 s17, s17, s75
	s_or_b32 exec_lo, exec_lo, s74
	s_and_saveexec_b32 s74, s17
	s_cbranch_execnz .LBB6_3615
	s_branch .LBB6_3616
.LBB6_3849:                             ;   in Loop: Header=BB6_3177 Depth=4
	s_or_saveexec_b32 s74, s74
	v_mov_b32_e32 v10, 0x7f800001
	s_xor_b32 exec_lo, exec_lo, s74
	s_cbranch_execz .LBB6_3620
.LBB6_3850:                             ;   in Loop: Header=BB6_3177 Depth=4
	v_cmp_ne_u16_sdwa s75, v11, v2 src0_sel:BYTE_0 src1_sel:DWORD
	v_mov_b32_e32 v10, 0
	s_andn2_b32 s17, s17, exec_lo
	s_and_b32 s75, s75, exec_lo
	s_or_b32 s17, s17, s75
	s_or_b32 exec_lo, exec_lo, s74
	s_and_saveexec_b32 s74, s17
	s_cbranch_execnz .LBB6_3621
	s_branch .LBB6_3622
.LBB6_3851:                             ;   in Loop: Header=BB6_3177 Depth=4
	s_or_saveexec_b32 s74, s74
	v_mov_b32_e32 v9, 0x7f800001
	s_xor_b32 exec_lo, exec_lo, s74
	s_cbranch_execz .LBB6_3628
.LBB6_3852:                             ;   in Loop: Header=BB6_3177 Depth=4
	v_cmp_ne_u16_sdwa s75, v15, v2 src0_sel:BYTE_0 src1_sel:DWORD
	v_mov_b32_e32 v9, 0
	s_andn2_b32 s17, s17, exec_lo
	s_and_b32 s75, s75, exec_lo
	s_or_b32 s17, s17, s75
	s_or_b32 exec_lo, exec_lo, s74
	s_and_saveexec_b32 s74, s17
	s_cbranch_execnz .LBB6_3629
	s_branch .LBB6_3630
.LBB6_3853:                             ;   in Loop: Header=BB6_3177 Depth=4
	s_or_saveexec_b32 s74, s74
	v_mov_b32_e32 v10, 0x7f800001
	s_xor_b32 exec_lo, exec_lo, s74
	s_cbranch_execz .LBB6_3634
.LBB6_3854:                             ;   in Loop: Header=BB6_3177 Depth=4
	v_cmp_ne_u16_sdwa s75, v11, v2 src0_sel:BYTE_0 src1_sel:DWORD
	v_mov_b32_e32 v10, 0
	s_andn2_b32 s17, s17, exec_lo
	s_and_b32 s75, s75, exec_lo
	s_or_b32 s17, s17, s75
	s_or_b32 exec_lo, exec_lo, s74
	s_and_saveexec_b32 s74, s17
	s_cbranch_execnz .LBB6_3635
	s_branch .LBB6_3636
.LBB6_3855:                             ;   in Loop: Header=BB6_3177 Depth=4
	s_or_saveexec_b32 s74, s74
	v_mov_b32_e32 v9, 0x7f800001
	s_xor_b32 exec_lo, exec_lo, s74
	s_cbranch_execz .LBB6_3650
.LBB6_3856:                             ;   in Loop: Header=BB6_3177 Depth=4
	v_cmp_ne_u16_sdwa s75, v15, v2 src0_sel:BYTE_1 src1_sel:DWORD
	v_mov_b32_e32 v9, 0
	s_andn2_b32 s17, s17, exec_lo
	s_and_b32 s75, s75, exec_lo
	s_or_b32 s17, s17, s75
	s_or_b32 exec_lo, exec_lo, s74
	s_and_saveexec_b32 s74, s17
	s_cbranch_execnz .LBB6_3651
	s_branch .LBB6_3652
.LBB6_3857:                             ;   in Loop: Header=BB6_3177 Depth=4
	s_or_saveexec_b32 s74, s74
	v_mov_b32_e32 v10, 0x7f800001
	s_xor_b32 exec_lo, exec_lo, s74
	s_cbranch_execz .LBB6_3656
.LBB6_3858:                             ;   in Loop: Header=BB6_3177 Depth=4
	v_cmp_ne_u16_sdwa s75, v11, v2 src0_sel:BYTE_1 src1_sel:DWORD
	v_mov_b32_e32 v10, 0
	s_andn2_b32 s17, s17, exec_lo
	s_and_b32 s75, s75, exec_lo
	s_or_b32 s17, s17, s75
	s_or_b32 exec_lo, exec_lo, s74
	s_and_saveexec_b32 s74, s17
	s_cbranch_execnz .LBB6_3657
	s_branch .LBB6_3658
.LBB6_3859:                             ;   in Loop: Header=BB6_3177 Depth=4
	s_or_saveexec_b32 s74, s74
	v_mov_b32_e32 v9, 0x7f800001
	s_xor_b32 exec_lo, exec_lo, s74
	s_cbranch_execz .LBB6_3664
.LBB6_3860:                             ;   in Loop: Header=BB6_3177 Depth=4
	v_cmp_ne_u16_sdwa s75, v15, v2 src0_sel:BYTE_1 src1_sel:DWORD
	v_mov_b32_e32 v9, 0
	s_andn2_b32 s17, s17, exec_lo
	s_and_b32 s75, s75, exec_lo
	s_or_b32 s17, s17, s75
	s_or_b32 exec_lo, exec_lo, s74
	s_and_saveexec_b32 s74, s17
	s_cbranch_execnz .LBB6_3665
	s_branch .LBB6_3666
.LBB6_3861:                             ;   in Loop: Header=BB6_3177 Depth=4
	s_or_saveexec_b32 s74, s74
	v_mov_b32_e32 v10, 0x7f800001
	s_xor_b32 exec_lo, exec_lo, s74
	s_cbranch_execz .LBB6_3670
.LBB6_3862:                             ;   in Loop: Header=BB6_3177 Depth=4
	v_cmp_ne_u16_sdwa s75, v11, v2 src0_sel:BYTE_1 src1_sel:DWORD
	v_mov_b32_e32 v10, 0
	s_andn2_b32 s17, s17, exec_lo
	s_and_b32 s75, s75, exec_lo
	s_or_b32 s17, s17, s75
	s_or_b32 exec_lo, exec_lo, s74
	s_and_saveexec_b32 s74, s17
	s_cbranch_execnz .LBB6_3671
	s_branch .LBB6_3672
.LBB6_3863:                             ;   in Loop: Header=BB6_3177 Depth=4
	s_or_saveexec_b32 s17, s17
	v_mov_b32_e32 v10, 0x7f800001
	s_xor_b32 exec_lo, exec_lo, s17
	s_cbranch_execz .LBB6_3686
.LBB6_3864:                             ;   in Loop: Header=BB6_3177 Depth=4
	v_cmp_ne_u16_e32 vcc_lo, 0, v9
	v_mov_b32_e32 v10, 0
	s_andn2_b32 s74, s74, exec_lo
	s_and_b32 s75, vcc_lo, exec_lo
	s_or_b32 s74, s74, s75
	s_or_b32 exec_lo, exec_lo, s17
	s_and_saveexec_b32 s17, s74
	s_cbranch_execnz .LBB6_3687
	s_branch .LBB6_3688
.LBB6_3865:                             ;   in Loop: Header=BB6_3177 Depth=4
	s_or_saveexec_b32 s74, s74
	v_mov_b32_e32 v36, 0x7f800001
	s_xor_b32 exec_lo, exec_lo, s74
	s_cbranch_execz .LBB6_3692
.LBB6_3866:                             ;   in Loop: Header=BB6_3177 Depth=4
	v_cmp_ne_u16_e32 vcc_lo, 0, v37
	v_mov_b32_e32 v36, 0
	s_andn2_b32 s17, s17, exec_lo
	s_and_b32 s75, vcc_lo, exec_lo
	s_or_b32 s17, s17, s75
	s_or_b32 exec_lo, exec_lo, s74
	s_and_saveexec_b32 s74, s17
	s_cbranch_execnz .LBB6_3693
	s_branch .LBB6_3694
.LBB6_3867:                             ;   in Loop: Header=BB6_3177 Depth=4
	s_or_saveexec_b32 s74, s74
	v_mov_b32_e32 v10, 0x7f800001
	s_xor_b32 exec_lo, exec_lo, s74
	s_cbranch_execz .LBB6_3700
.LBB6_3868:                             ;   in Loop: Header=BB6_3177 Depth=4
	v_cmp_ne_u16_e32 vcc_lo, 0, v9
	v_mov_b32_e32 v10, 0
	s_andn2_b32 s17, s17, exec_lo
	s_and_b32 s75, vcc_lo, exec_lo
	s_or_b32 s17, s17, s75
	s_or_b32 exec_lo, exec_lo, s74
	s_and_saveexec_b32 s74, s17
	s_cbranch_execnz .LBB6_3701
	s_branch .LBB6_3702
.LBB6_3869:                             ;   in Loop: Header=BB6_3177 Depth=4
	s_or_saveexec_b32 s74, s74
	v_mov_b32_e32 v9, 0x7f800001
	s_xor_b32 exec_lo, exec_lo, s74
	s_cbranch_execz .LBB6_3706
.LBB6_3870:                             ;   in Loop: Header=BB6_3177 Depth=4
	v_cmp_ne_u16_e32 vcc_lo, 0, v36
	v_mov_b32_e32 v9, 0
	s_andn2_b32 s17, s17, exec_lo
	s_and_b32 s75, vcc_lo, exec_lo
	s_or_b32 s17, s17, s75
	s_or_b32 exec_lo, exec_lo, s74
	s_and_saveexec_b32 s74, s17
	s_cbranch_execnz .LBB6_3707
	s_branch .LBB6_3708
.LBB6_3871:                             ;   in Loop: Header=BB6_3177 Depth=4
	s_or_saveexec_b32 s74, s74
	v_mov_b32_e32 v8, 0x7f800001
	s_xor_b32 exec_lo, exec_lo, s74
	s_cbranch_execz .LBB6_3722
.LBB6_3872:                             ;   in Loop: Header=BB6_3177 Depth=4
	v_cmp_ne_u16_sdwa s75, v15, v2 src0_sel:BYTE_3 src1_sel:DWORD
	v_mov_b32_e32 v8, 0
	s_andn2_b32 s17, s17, exec_lo
	s_and_b32 s75, s75, exec_lo
	s_or_b32 s17, s17, s75
	s_or_b32 exec_lo, exec_lo, s74
	s_and_saveexec_b32 s74, s17
	s_cbranch_execnz .LBB6_3723
	s_branch .LBB6_3724
.LBB6_3873:                             ;   in Loop: Header=BB6_3177 Depth=4
	s_or_saveexec_b32 s74, s74
	v_mov_b32_e32 v9, 0x7f800001
	s_xor_b32 exec_lo, exec_lo, s74
	s_cbranch_execz .LBB6_3728
.LBB6_3874:                             ;   in Loop: Header=BB6_3177 Depth=4
	v_cmp_ne_u16_sdwa s75, v11, v2 src0_sel:BYTE_3 src1_sel:DWORD
	v_mov_b32_e32 v9, 0
	s_andn2_b32 s17, s17, exec_lo
	s_and_b32 s75, s75, exec_lo
	s_or_b32 s17, s17, s75
	s_or_b32 exec_lo, exec_lo, s74
	s_and_saveexec_b32 s74, s17
	s_cbranch_execnz .LBB6_3729
	s_branch .LBB6_3730
.LBB6_3875:                             ;   in Loop: Header=BB6_3177 Depth=4
	s_or_saveexec_b32 s74, s74
	v_mov_b32_e32 v38, 0x7f800001
	s_xor_b32 exec_lo, exec_lo, s74
	s_cbranch_execz .LBB6_3736
.LBB6_3876:                             ;   in Loop: Header=BB6_3177 Depth=4
	v_cmp_ne_u16_sdwa s75, v15, v2 src0_sel:BYTE_3 src1_sel:DWORD
	v_mov_b32_e32 v38, 0
	s_andn2_b32 s17, s17, exec_lo
	s_and_b32 s75, s75, exec_lo
	s_or_b32 s17, s17, s75
	s_or_b32 exec_lo, exec_lo, s74
	s_and_saveexec_b32 s74, s17
	s_cbranch_execnz .LBB6_3737
	s_branch .LBB6_3738
.LBB6_3877:                             ;   in Loop: Header=BB6_3177 Depth=4
	s_or_saveexec_b32 s74, s74
	v_mov_b32_e32 v8, 0x7f800001
	s_xor_b32 exec_lo, exec_lo, s74
	s_cbranch_execz .LBB6_3742
.LBB6_3878:                             ;   in Loop: Header=BB6_3177 Depth=4
	v_cmp_ne_u16_sdwa s75, v11, v2 src0_sel:BYTE_3 src1_sel:DWORD
	v_mov_b32_e32 v8, 0
	s_andn2_b32 s17, s17, exec_lo
	s_and_b32 s75, s75, exec_lo
	s_or_b32 s17, s17, s75
	s_or_b32 exec_lo, exec_lo, s74
	s_and_saveexec_b32 s74, s17
	s_cbranch_execnz .LBB6_3743
	s_branch .LBB6_3744
.LBB6_3879:                             ;   in Loop: Header=BB6_272 Depth=3
	s_or_b32 exec_lo, exec_lo, s72
.LBB6_3880:                             ;   in Loop: Header=BB6_272 Depth=3
	s_or_b32 exec_lo, exec_lo, s63
	v_and_b32_e32 v8, 15, v3
	v_cmp_lt_i32_e32 vcc_lo, 0, v23
	v_sub_nc_u32_e32 v9, v5, v8
	v_cndmask_b32_e32 v10, 0, v47, vcc_lo
	v_cndmask_b32_e64 v5, v5, v8, s16
	v_cndmask_b32_e64 v8, 0, v9, s16
	v_sub_nc_u32_e32 v9, v10, v23
	v_cmp_ne_u32_e32 vcc_lo, 0, v5
	v_add3_u32 v4, v4, v1, v8
	v_lshl_add_u32 v14, v9, 5, v22
	s_and_b32 s16, vcc_lo, exec_lo
.LBB6_3881:                             ;   in Loop: Header=BB6_272 Depth=3
	s_or_b32 exec_lo, exec_lo, s62
	s_and_saveexec_b32 s17, s16
	s_cbranch_execz .LBB6_5342
.LBB6_3882:                             ;   in Loop: Header=BB6_272 Depth=3
	v_ashrrev_i32_e32 v1, 31, v14
	v_ashrrev_i32_e32 v8, 31, v5
	s_mov_b32 s62, exec_lo
	v_lshrrev_b32_e32 v1, 27, v1
	v_lshrrev_b32_e32 v8, 22, v8
	v_add_nc_u32_e32 v1, v14, v1
	v_add_nc_u32_e32 v8, v5, v8
	v_ashrrev_i32_e32 v15, 5, v1
	v_ashrrev_i32_e32 v17, 10, v8
	v_sub_nc_u32_e32 v16, v17, v15
	v_cmpx_lt_i32_e32 0, v16
	s_cbranch_execz .LBB6_5294
; %bb.3883:                             ;   in Loop: Header=BB6_272 Depth=3
	v_and_b32_e32 v1, 0xffffffe0, v1
	s_trap 2
	ds_read_b64 v[10:11], v0
	v_lshlrev_b32_e32 v8, 10, v15
	v_add_co_u32 v12, vcc_lo, 0x3e0, v114
	v_sub_nc_u32_e32 v1, v14, v1
	v_add_co_ci_u32_e64 v18, null, 0, v115, vcc_lo
	s_bitcmp1_b32 s61, 0
	s_mov_b32 s72, 0
	v_add3_u32 v1, v4, v1, v8
	s_cselect_b32 s63, -1, 0
	v_ashrrev_i32_e32 v13, 31, v1
	v_add_co_u32 v8, vcc_lo, v1, v112
	v_add_co_ci_u32_e64 v9, null, v13, v113, vcc_lo
	s_waitcnt lgkmcnt(0)
	v_add_co_u32 v10, vcc_lo, v10, v1
	v_add_co_ci_u32_e64 v11, null, v11, v13, vcc_lo
	v_add_co_u32 v12, vcc_lo, v12, v1
	v_add_co_ci_u32_e64 v13, null, v18, v13, vcc_lo
	s_branch .LBB6_3887
.LBB6_3884:                             ;   in Loop: Header=BB6_3887 Depth=4
	s_or_b32 exec_lo, exec_lo, s16
	v_lshrrev_b32_e32 v19, 20, v19
	v_cmp_gt_i32_e32 vcc_lo, 16, v18
	v_min_i32_e32 v24, 15, v18
	v_and_b32_sdwa v21, v21, v62 dst_sel:DWORD dst_unused:UNUSED_PAD src0_sel:BYTE_3 src1_sel:DWORD
	v_cndmask_b32_e32 v19, 7, v19, vcc_lo
	v_lshlrev_b32_e32 v24, 3, v24
	v_and_b32_e32 v27, 7, v19
	v_or_b32_e32 v18, v18, v19
	v_or3_b32 v19, v24, v21, v27
	v_cmp_ne_u32_e32 vcc_lo, 0, v18
	v_cndmask_b32_e32 v18, 0, v19, vcc_lo
.LBB6_3885:                             ;   in Loop: Header=BB6_3887 Depth=4
	s_or_b32 exec_lo, exec_lo, s74
.LBB6_3886:                             ;   in Loop: Header=BB6_3887 Depth=4
	s_or_b32 exec_lo, exec_lo, s73
	v_add_co_u32 v86, vcc_lo, 0xfffffc20, v12
	v_add_co_ci_u32_e64 v87, null, -1, v13, vcc_lo
	v_add_co_u32 v21, vcc_lo, 0xfffffc40, v12
	v_sub_nc_u32_e32 v16, v16, v47
	flat_store_byte v[86:87], v22 glc slc
	v_add_co_ci_u32_e64 v22, null, -1, v13, vcc_lo
	v_add_co_u32 v86, vcc_lo, 0xfffffc60, v12
	v_add_co_ci_u32_e64 v87, null, -1, v13, vcc_lo
	v_add_co_u32 v98, vcc_lo, 0xfffffc80, v12
	v_add_co_ci_u32_e64 v99, null, -1, v13, vcc_lo
	v_add_co_u32 v105, vcc_lo, 0xfffffca0, v12
	v_add_co_ci_u32_e64 v106, null, -1, v13, vcc_lo
	v_add_co_u32 v108, vcc_lo, 0xfffffcc0, v12
	v_add_co_ci_u32_e64 v109, null, -1, v13, vcc_lo
	flat_store_byte v[21:22], v25 glc slc
	flat_store_byte v[86:87], v28 glc slc
	flat_store_byte v[98:99], v32 glc slc
	flat_store_byte v[105:106], v35 glc slc
	flat_store_byte v[108:109], v38 glc slc
	v_add_co_u32 v21, vcc_lo, 0xfffffce0, v12
	v_add_co_ci_u32_e64 v22, null, -1, v13, vcc_lo
	v_add_co_u32 v24, vcc_lo, 0xfffffd00, v12
	v_add_co_ci_u32_e64 v25, null, -1, v13, vcc_lo
	v_add_co_u32 v27, vcc_lo, 0xfffffd20, v12
	v_add_co_ci_u32_e64 v28, null, -1, v13, vcc_lo
	v_add_co_u32 v34, vcc_lo, 0xfffffd40, v12
	v_add_co_ci_u32_e64 v35, null, -1, v13, vcc_lo
	v_add_co_u32 v37, vcc_lo, 0xfffffd60, v12
	v_add_co_ci_u32_e64 v38, null, -1, v13, vcc_lo
	flat_store_byte v[21:22], v49 glc slc
	flat_store_byte v[24:25], v51 glc slc
	flat_store_byte v[27:28], v1 glc slc
	flat_store_byte v[34:35], v82 glc slc
	flat_store_byte v[37:38], v85 glc slc
	v_add_co_u32 v21, vcc_lo, 0xfffffd80, v12
	;; [unrolled: 15-line block ×5, first 2 shown]
	v_add_co_ci_u32_e64 v22, null, -1, v13, vcc_lo
	v_add_co_u32 v24, vcc_lo, 0xffffff80, v12
	v_add_co_ci_u32_e64 v25, null, -1, v13, vcc_lo
	v_add_co_u32 v27, vcc_lo, 0xffffffa0, v12
	;; [unrolled: 2-line block ×5, first 2 shown]
	v_add_co_ci_u32_e64 v9, null, 0, v9, vcc_lo
	v_add_co_u32 v10, vcc_lo, v10, v77
	flat_store_byte v[21:22], v33 glc slc
	flat_store_byte v[24:25], v29 glc slc
	;; [unrolled: 1-line block ×6, first 2 shown]
	v_add_co_ci_u32_e64 v11, null, 0, v11, vcc_lo
	v_cmp_gt_i32_e32 vcc_lo, 1, v16
	v_add_co_u32 v12, s16, v12, v77
	v_add_co_ci_u32_e64 v13, null, 0, v13, s16
	s_or_b32 s72, vcc_lo, s72
	s_andn2_b32 exec_lo, exec_lo, s72
	s_cbranch_execz .LBB6_5293
.LBB6_3887:                             ;   Parent Loop BB6_47 Depth=1
                                        ;     Parent Loop BB6_269 Depth=2
                                        ;       Parent Loop BB6_272 Depth=3
                                        ; =>      This Inner Loop Header: Depth=4
	s_clause 0x1f
	flat_load_ubyte v46, v[8:9] slc
	flat_load_ubyte v74, v[8:9] offset:32 slc
	flat_load_ubyte v125, v[8:9] offset:64 slc
	;; [unrolled: 1-line block ×31, first 2 shown]
	s_clause 0x1f
	flat_load_ubyte v22, v[10:11] slc
	flat_load_ubyte v25, v[10:11] offset:32 slc
	flat_load_ubyte v28, v[10:11] offset:64 slc
	;; [unrolled: 1-line block ×31, first 2 shown]
	s_mov_b32 s16, -1
	s_and_b32 vcc_lo, exec_lo, s63
                                        ; implicit-def: $vgpr126
	s_waitcnt vmcnt(62) lgkmcnt(62)
	v_cmp_gt_i16_sdwa s73, v46, v61 src0_sel:BYTE_0 src1_sel:DWORD
	s_cbranch_vccz .LBB6_3901
; %bb.3888:                             ;   in Loop: Header=BB6_3887 Depth=4
	s_mov_b32 s74, 0
	s_and_saveexec_b32 s16, s73
	s_xor_b32 s16, exec_lo, s16
	s_cbranch_execz .LBB6_5037
; %bb.3889:                             ;   in Loop: Header=BB6_3887 Depth=4
	v_cmp_eq_u16_sdwa s75, v46, v62 src0_sel:BYTE_0 src1_sel:DWORD
	s_mov_b32 s73, -1
	s_and_saveexec_b32 s74, s75
; %bb.3890:                             ;   in Loop: Header=BB6_3887 Depth=4
	s_xor_b32 s73, exec_lo, -1
; %bb.3891:                             ;   in Loop: Header=BB6_3887 Depth=4
	s_or_b32 exec_lo, exec_lo, s74
	s_and_b32 s74, s73, exec_lo
	s_or_saveexec_b32 s16, s16
	v_mov_b32_e32 v60, 0x7f800001
	s_xor_b32 exec_lo, exec_lo, s16
	s_cbranch_execnz .LBB6_5038
.LBB6_3892:                             ;   in Loop: Header=BB6_3887 Depth=4
	s_or_b32 exec_lo, exec_lo, s16
	s_and_saveexec_b32 s16, s74
	s_cbranch_execz .LBB6_3894
.LBB6_3893:                             ;   in Loop: Header=BB6_3887 Depth=4
	v_and_b32_e32 v86, 7, v46
	v_lshrrev_b16 v60, 3, v46
	v_lshlrev_b32_e32 v106, 24, v46
	v_ffbh_u32_e32 v87, v86
	v_and_b32_e32 v60, 15, v60
	v_min_u32_e32 v87, 32, v87
	v_cmp_eq_u32_e32 vcc_lo, 0, v60
	v_subrev_nc_u32_e32 v105, 28, v87
	v_sub_nc_u32_e32 v87, 29, v87
	v_lshlrev_b32_e32 v105, v105, v46
	v_cndmask_b32_e32 v87, v60, v87, vcc_lo
	v_and_b32_e32 v60, 0x80000000, v106
	v_and_b32_e32 v105, 7, v105
	v_lshl_add_u32 v87, v87, 23, 0x3b800000
	v_cndmask_b32_e32 v86, v86, v105, vcc_lo
	v_lshlrev_b32_e32 v86, 20, v86
	v_or3_b32 v60, v60, v87, v86
.LBB6_3894:                             ;   in Loop: Header=BB6_3887 Depth=4
	s_or_b32 exec_lo, exec_lo, s16
	s_waitcnt vmcnt(31) lgkmcnt(31)
	v_cmp_gt_i16_sdwa s16, v22, v61 src0_sel:BYTE_0 src1_sel:DWORD
	s_mov_b32 s73, 0
	s_and_saveexec_b32 s74, s16
	s_xor_b32 s16, exec_lo, s74
	s_cbranch_execz .LBB6_5039
; %bb.3895:                             ;   in Loop: Header=BB6_3887 Depth=4
	v_cmp_eq_u16_sdwa s75, v22, v62 src0_sel:BYTE_0 src1_sel:DWORD
	s_mov_b32 s73, -1
	s_and_saveexec_b32 s74, s75
; %bb.3896:                             ;   in Loop: Header=BB6_3887 Depth=4
	s_xor_b32 s73, exec_lo, -1
; %bb.3897:                             ;   in Loop: Header=BB6_3887 Depth=4
	s_or_b32 exec_lo, exec_lo, s74
	s_and_b32 s73, s73, exec_lo
	s_or_saveexec_b32 s16, s16
	v_mov_b32_e32 v86, 0x7f800001
	s_xor_b32 exec_lo, exec_lo, s16
	s_cbranch_execnz .LBB6_5040
.LBB6_3898:                             ;   in Loop: Header=BB6_3887 Depth=4
	s_or_b32 exec_lo, exec_lo, s16
	s_and_saveexec_b32 s16, s73
	s_cbranch_execz .LBB6_3900
.LBB6_3899:                             ;   in Loop: Header=BB6_3887 Depth=4
	v_and_b32_e32 v86, 7, v22
	v_lshrrev_b16 v105, 3, v22
	v_lshlrev_b32_e32 v126, 24, v22
	v_ffbh_u32_e32 v87, v86
	v_and_b32_e32 v105, 15, v105
	v_min_u32_e32 v87, 32, v87
	v_cmp_eq_u32_e32 vcc_lo, 0, v105
	v_subrev_nc_u32_e32 v106, 28, v87
	v_sub_nc_u32_e32 v87, 29, v87
	v_lshlrev_b32_e32 v106, v106, v22
	v_cndmask_b32_e32 v87, v105, v87, vcc_lo
	v_and_b32_e32 v105, 0x80000000, v126
	v_and_b32_e32 v106, 7, v106
	v_lshl_add_u32 v87, v87, 23, 0x3b800000
	v_cndmask_b32_e32 v86, v86, v106, vcc_lo
	v_lshlrev_b32_e32 v86, 20, v86
	v_or3_b32 v86, v105, v87, v86
.LBB6_3900:                             ;   in Loop: Header=BB6_3887 Depth=4
	s_or_b32 exec_lo, exec_lo, s16
	v_max_f32_e32 v86, v86, v86
	v_max_f32_e32 v87, v60, v60
	s_mov_b32 s16, 0
	v_max_f32_e32 v126, v87, v86
.LBB6_3901:                             ;   in Loop: Header=BB6_3887 Depth=4
	s_and_b32 vcc_lo, exec_lo, s16
	s_cbranch_vccz .LBB6_3915
; %bb.3902:                             ;   in Loop: Header=BB6_3887 Depth=4
	v_cmp_gt_i16_sdwa s16, v46, v61 src0_sel:BYTE_0 src1_sel:DWORD
	s_mov_b32 s73, 0
	s_and_saveexec_b32 s74, s16
	s_xor_b32 s16, exec_lo, s74
	s_cbranch_execz .LBB6_5041
; %bb.3903:                             ;   in Loop: Header=BB6_3887 Depth=4
	v_cmp_eq_u16_sdwa s75, v46, v62 src0_sel:BYTE_0 src1_sel:DWORD
	s_mov_b32 s73, -1
	s_and_saveexec_b32 s74, s75
; %bb.3904:                             ;   in Loop: Header=BB6_3887 Depth=4
	s_xor_b32 s73, exec_lo, -1
; %bb.3905:                             ;   in Loop: Header=BB6_3887 Depth=4
	s_or_b32 exec_lo, exec_lo, s74
	s_and_b32 s73, s73, exec_lo
	s_or_saveexec_b32 s16, s16
	v_mov_b32_e32 v60, 0x7f800001
	s_xor_b32 exec_lo, exec_lo, s16
	s_cbranch_execnz .LBB6_5042
.LBB6_3906:                             ;   in Loop: Header=BB6_3887 Depth=4
	s_or_b32 exec_lo, exec_lo, s16
	s_and_saveexec_b32 s16, s73
	s_cbranch_execz .LBB6_3908
.LBB6_3907:                             ;   in Loop: Header=BB6_3887 Depth=4
	v_and_b32_e32 v86, 7, v46
	v_lshrrev_b16 v60, 3, v46
	v_ffbh_u32_e32 v87, v86
	v_and_b32_e32 v60, 15, v60
	v_min_u32_e32 v87, 32, v87
	v_cmp_eq_u32_e32 vcc_lo, 0, v60
	v_subrev_nc_u32_e32 v105, 28, v87
	v_sub_nc_u32_e32 v87, 29, v87
	v_lshlrev_b32_e32 v105, v105, v46
	v_lshlrev_b32_e32 v46, 24, v46
	v_cndmask_b32_e32 v87, v60, v87, vcc_lo
	v_and_b32_e32 v105, 7, v105
	v_and_b32_e32 v46, 0x80000000, v46
	v_lshl_add_u32 v87, v87, 23, 0x3b800000
	v_cndmask_b32_e32 v86, v86, v105, vcc_lo
	v_lshlrev_b32_e32 v86, 20, v86
	v_or3_b32 v60, v46, v87, v86
.LBB6_3908:                             ;   in Loop: Header=BB6_3887 Depth=4
	s_or_b32 exec_lo, exec_lo, s16
	s_waitcnt vmcnt(31) lgkmcnt(31)
	v_cmp_gt_i16_sdwa s16, v22, v61 src0_sel:BYTE_0 src1_sel:DWORD
	s_mov_b32 s73, 0
	s_and_saveexec_b32 s74, s16
	s_xor_b32 s16, exec_lo, s74
	s_cbranch_execz .LBB6_5043
; %bb.3909:                             ;   in Loop: Header=BB6_3887 Depth=4
	v_cmp_eq_u16_sdwa s75, v22, v62 src0_sel:BYTE_0 src1_sel:DWORD
	s_mov_b32 s73, -1
	s_and_saveexec_b32 s74, s75
; %bb.3910:                             ;   in Loop: Header=BB6_3887 Depth=4
	s_xor_b32 s73, exec_lo, -1
; %bb.3911:                             ;   in Loop: Header=BB6_3887 Depth=4
	s_or_b32 exec_lo, exec_lo, s74
	s_and_b32 s73, s73, exec_lo
	s_or_saveexec_b32 s16, s16
	v_mov_b32_e32 v86, 0x7f800001
	s_xor_b32 exec_lo, exec_lo, s16
	s_cbranch_execnz .LBB6_5044
.LBB6_3912:                             ;   in Loop: Header=BB6_3887 Depth=4
	s_or_b32 exec_lo, exec_lo, s16
	s_and_saveexec_b32 s16, s73
	s_cbranch_execz .LBB6_3914
.LBB6_3913:                             ;   in Loop: Header=BB6_3887 Depth=4
	v_and_b32_e32 v86, 7, v22
	v_lshrrev_b16 v46, 3, v22
	v_ffbh_u32_e32 v87, v86
	v_and_b32_e32 v46, 15, v46
	v_min_u32_e32 v87, 32, v87
	v_cmp_eq_u32_e32 vcc_lo, 0, v46
	v_subrev_nc_u32_e32 v105, 28, v87
	v_sub_nc_u32_e32 v87, 29, v87
	v_lshlrev_b32_e32 v105, v105, v22
	v_lshlrev_b32_e32 v22, 24, v22
	v_cndmask_b32_e32 v87, v46, v87, vcc_lo
	v_and_b32_e32 v105, 7, v105
	v_and_b32_e32 v22, 0x80000000, v22
	v_lshl_add_u32 v87, v87, 23, 0x3b800000
	v_cndmask_b32_e32 v86, v86, v105, vcc_lo
	v_lshlrev_b32_e32 v86, 20, v86
	v_or3_b32 v86, v22, v87, v86
.LBB6_3914:                             ;   in Loop: Header=BB6_3887 Depth=4
	s_or_b32 exec_lo, exec_lo, s16
	v_max_f32_e32 v22, v86, v86
	v_max_f32_e32 v86, v60, v60
	v_min_f32_e32 v126, v86, v22
.LBB6_3915:                             ;   in Loop: Header=BB6_3887 Depth=4
	s_waitcnt vmcnt(31) lgkmcnt(31)
	v_and_b32_e32 v22, 0x7f800000, v126
	v_cmp_ne_u32_e32 vcc_lo, 0x7f800000, v22
	v_mov_b32_e32 v22, 0x80
	s_and_saveexec_b32 s73, vcc_lo
	s_cbranch_execz .LBB6_3923
; %bb.3916:                             ;   in Loop: Header=BB6_3887 Depth=4
	v_mov_b32_e32 v22, 0
	s_mov_b32 s74, exec_lo
	v_cmpx_ne_u32_e32 0, v126
	s_cbranch_execz .LBB6_3922
; %bb.3917:                             ;   in Loop: Header=BB6_3887 Depth=4
	v_bfe_u32 v86, v126, 23, 8
	v_and_b32_e32 v22, 0x7fffff, v126
                                        ; implicit-def: $vgpr105
	v_cmp_gt_u32_e64 s16, 0x79, v86
	v_sub_nc_u32_e32 v87, 0x78, v86
	v_cmp_eq_u32_e32 vcc_lo, 0, v86
	v_or_b32_e32 v46, 0x800000, v22
	v_cndmask_b32_e64 v87, 0, v87, s16
	v_cndmask_b32_e32 v22, v46, v22, vcc_lo
	v_cndmask_b32_e64 v87, v87, 0x77, vcc_lo
	v_lshl_add_u32 v46, 0x100000, v87, -1
	v_lshlrev_b32_e64 v60, v87, 0x80000
	v_and_b32_e32 v46, v46, v22
	v_cmp_eq_u32_e64 s16, v46, v60
	v_lshrrev_b32_e32 v60, v87, v22
	v_add_nc_u32_e32 v22, 0xffffff89, v86
	v_lshrrev_b32_e32 v86, 23, v60
	v_cndmask_b32_e64 v22, v22, 0xffffff8a, vcc_lo
	v_xor_b32_e32 v46, 1, v86
	v_bfe_u32 v86, v60, 20, 1
	v_add_nc_u32_e32 v22, v87, v22
	v_add_nc_u32_e32 v86, -1, v86
	v_cndmask_b32_e64 v86, 0, v86, s16
	s_mov_b32 s16, exec_lo
	v_add_nc_u32_e32 v86, v86, v60
	v_and_b32_e32 v86, 0xfffff, v86
	v_add_nc_u32_e32 v60, v86, v60
	v_cmpx_ne_u32_e64 v22, v46
	s_xor_b32 s16, exec_lo, s16
; %bb.3918:                             ;   in Loop: Header=BB6_3887 Depth=4
	v_cmp_lt_u32_e32 vcc_lo, 0xffffff, v60
	v_sub_nc_u32_e32 v22, v22, v46
	v_cndmask_b32_e64 v86, 0, 1, vcc_lo
	v_add_co_ci_u32_e64 v105, null, 0, v22, vcc_lo
	v_lshrrev_b32_e32 v60, v86, v60
; %bb.3919:                             ;   in Loop: Header=BB6_3887 Depth=4
	s_andn2_saveexec_b32 s16, s16
; %bb.3920:                             ;   in Loop: Header=BB6_3887 Depth=4
	v_bfe_u32 v105, v60, 23, 1
; %bb.3921:                             ;   in Loop: Header=BB6_3887 Depth=4
	s_or_b32 exec_lo, exec_lo, s16
	v_lshrrev_b32_e32 v86, 20, v60
	v_cmp_gt_i32_e32 vcc_lo, 16, v105
	v_min_i32_e32 v87, 15, v105
	v_and_b32_sdwa v22, v126, v62 dst_sel:DWORD dst_unused:UNUSED_PAD src0_sel:BYTE_3 src1_sel:DWORD
	v_cndmask_b32_e32 v86, 7, v86, vcc_lo
	v_lshlrev_b32_e32 v87, 3, v87
	v_or_b32_e32 v46, v105, v86
	v_and_b32_e32 v86, 7, v86
	v_cmp_ne_u32_e32 vcc_lo, 0, v46
	v_or3_b32 v22, v87, v22, v86
	v_cndmask_b32_e32 v22, 0, v22, vcc_lo
.LBB6_3922:                             ;   in Loop: Header=BB6_3887 Depth=4
	s_or_b32 exec_lo, exec_lo, s74
.LBB6_3923:                             ;   in Loop: Header=BB6_3887 Depth=4
	s_or_b32 exec_lo, exec_lo, s73
	v_cmp_gt_i16_sdwa s73, v74, v61 src0_sel:BYTE_0 src1_sel:DWORD
	s_andn2_b32 vcc_lo, exec_lo, s63
	s_mov_b32 s16, -1
                                        ; implicit-def: $vgpr46
	s_cbranch_vccnz .LBB6_3937
; %bb.3924:                             ;   in Loop: Header=BB6_3887 Depth=4
	s_mov_b32 s16, 0
	s_and_saveexec_b32 s74, s73
	s_xor_b32 s73, exec_lo, s74
	s_cbranch_execz .LBB6_5045
; %bb.3925:                             ;   in Loop: Header=BB6_3887 Depth=4
	v_cmp_eq_u16_sdwa s75, v74, v62 src0_sel:BYTE_0 src1_sel:DWORD
	s_mov_b32 s16, -1
	s_and_saveexec_b32 s74, s75
; %bb.3926:                             ;   in Loop: Header=BB6_3887 Depth=4
	s_xor_b32 s16, exec_lo, -1
; %bb.3927:                             ;   in Loop: Header=BB6_3887 Depth=4
	s_or_b32 exec_lo, exec_lo, s74
	s_and_b32 s16, s16, exec_lo
	s_or_saveexec_b32 s73, s73
	v_mov_b32_e32 v46, 0x7f800001
	s_xor_b32 exec_lo, exec_lo, s73
	s_cbranch_execnz .LBB6_5046
.LBB6_3928:                             ;   in Loop: Header=BB6_3887 Depth=4
	s_or_b32 exec_lo, exec_lo, s73
	s_and_saveexec_b32 s73, s16
	s_cbranch_execz .LBB6_3930
.LBB6_3929:                             ;   in Loop: Header=BB6_3887 Depth=4
	v_and_b32_e32 v86, 7, v74
	v_lshrrev_b16 v46, 3, v74
	v_lshlrev_b32_e32 v105, 24, v74
	v_ffbh_u32_e32 v87, v86
	v_and_b32_e32 v46, 15, v46
	v_min_u32_e32 v87, 32, v87
	v_cmp_eq_u32_e32 vcc_lo, 0, v46
	v_subrev_nc_u32_e32 v60, 28, v87
	v_sub_nc_u32_e32 v87, 29, v87
	v_lshlrev_b32_e32 v60, v60, v74
	v_cndmask_b32_e32 v87, v46, v87, vcc_lo
	v_and_b32_e32 v46, 0x80000000, v105
	v_and_b32_e32 v60, 7, v60
	v_lshl_add_u32 v87, v87, 23, 0x3b800000
	v_cndmask_b32_e32 v86, v86, v60, vcc_lo
	v_lshlrev_b32_e32 v86, 20, v86
	v_or3_b32 v46, v46, v87, v86
.LBB6_3930:                             ;   in Loop: Header=BB6_3887 Depth=4
	s_or_b32 exec_lo, exec_lo, s73
	s_waitcnt vmcnt(30) lgkmcnt(30)
	v_cmp_gt_i16_sdwa s73, v25, v61 src0_sel:BYTE_0 src1_sel:DWORD
	s_mov_b32 s16, 0
	s_and_saveexec_b32 s74, s73
	s_xor_b32 s73, exec_lo, s74
	s_cbranch_execz .LBB6_5047
; %bb.3931:                             ;   in Loop: Header=BB6_3887 Depth=4
	v_cmp_eq_u16_sdwa s75, v25, v62 src0_sel:BYTE_0 src1_sel:DWORD
	s_mov_b32 s16, -1
	s_and_saveexec_b32 s74, s75
; %bb.3932:                             ;   in Loop: Header=BB6_3887 Depth=4
	s_xor_b32 s16, exec_lo, -1
; %bb.3933:                             ;   in Loop: Header=BB6_3887 Depth=4
	s_or_b32 exec_lo, exec_lo, s74
	s_and_b32 s16, s16, exec_lo
	s_or_saveexec_b32 s73, s73
	v_mov_b32_e32 v86, 0x7f800001
	s_xor_b32 exec_lo, exec_lo, s73
	s_cbranch_execnz .LBB6_5048
.LBB6_3934:                             ;   in Loop: Header=BB6_3887 Depth=4
	s_or_b32 exec_lo, exec_lo, s73
	s_and_saveexec_b32 s73, s16
	s_cbranch_execz .LBB6_3936
.LBB6_3935:                             ;   in Loop: Header=BB6_3887 Depth=4
	v_and_b32_e32 v86, 7, v25
	v_lshrrev_b16 v60, 3, v25
	v_lshlrev_b32_e32 v106, 24, v25
	v_ffbh_u32_e32 v87, v86
	v_and_b32_e32 v60, 15, v60
	v_min_u32_e32 v87, 32, v87
	v_cmp_eq_u32_e32 vcc_lo, 0, v60
	v_subrev_nc_u32_e32 v105, 28, v87
	v_sub_nc_u32_e32 v87, 29, v87
	v_lshlrev_b32_e32 v105, v105, v25
	v_cndmask_b32_e32 v87, v60, v87, vcc_lo
	v_and_b32_e32 v60, 0x80000000, v106
	v_and_b32_e32 v105, 7, v105
	v_lshl_add_u32 v87, v87, 23, 0x3b800000
	v_cndmask_b32_e32 v86, v86, v105, vcc_lo
	v_lshlrev_b32_e32 v86, 20, v86
	v_or3_b32 v86, v60, v87, v86
.LBB6_3936:                             ;   in Loop: Header=BB6_3887 Depth=4
	s_or_b32 exec_lo, exec_lo, s73
	v_max_f32_e32 v86, v86, v86
	v_max_f32_e32 v87, v46, v46
	s_mov_b32 s16, 0
	v_max_f32_e32 v46, v87, v86
.LBB6_3937:                             ;   in Loop: Header=BB6_3887 Depth=4
	s_and_b32 vcc_lo, exec_lo, s16
	s_cbranch_vccz .LBB6_3951
; %bb.3938:                             ;   in Loop: Header=BB6_3887 Depth=4
	v_cmp_gt_i16_sdwa s73, v74, v61 src0_sel:BYTE_0 src1_sel:DWORD
	s_mov_b32 s16, 0
	s_and_saveexec_b32 s74, s73
	s_xor_b32 s73, exec_lo, s74
	s_cbranch_execz .LBB6_5049
; %bb.3939:                             ;   in Loop: Header=BB6_3887 Depth=4
	v_cmp_eq_u16_sdwa s75, v74, v62 src0_sel:BYTE_0 src1_sel:DWORD
	s_mov_b32 s16, -1
	s_and_saveexec_b32 s74, s75
; %bb.3940:                             ;   in Loop: Header=BB6_3887 Depth=4
	s_xor_b32 s16, exec_lo, -1
; %bb.3941:                             ;   in Loop: Header=BB6_3887 Depth=4
	s_or_b32 exec_lo, exec_lo, s74
	s_and_b32 s16, s16, exec_lo
	s_or_saveexec_b32 s73, s73
	v_mov_b32_e32 v46, 0x7f800001
	s_xor_b32 exec_lo, exec_lo, s73
	s_cbranch_execnz .LBB6_5050
.LBB6_3942:                             ;   in Loop: Header=BB6_3887 Depth=4
	s_or_b32 exec_lo, exec_lo, s73
	s_and_saveexec_b32 s73, s16
	s_cbranch_execz .LBB6_3944
.LBB6_3943:                             ;   in Loop: Header=BB6_3887 Depth=4
	v_and_b32_e32 v86, 7, v74
	v_lshrrev_b16 v46, 3, v74
	v_ffbh_u32_e32 v87, v86
	v_and_b32_e32 v46, 15, v46
	v_min_u32_e32 v87, 32, v87
	v_cmp_eq_u32_e32 vcc_lo, 0, v46
	v_subrev_nc_u32_e32 v60, 28, v87
	v_sub_nc_u32_e32 v87, 29, v87
	v_lshlrev_b32_e32 v60, v60, v74
	v_lshlrev_b32_e32 v74, 24, v74
	v_cndmask_b32_e32 v87, v46, v87, vcc_lo
	v_and_b32_e32 v60, 7, v60
	v_and_b32_e32 v46, 0x80000000, v74
	v_lshl_add_u32 v87, v87, 23, 0x3b800000
	v_cndmask_b32_e32 v86, v86, v60, vcc_lo
	v_lshlrev_b32_e32 v86, 20, v86
	v_or3_b32 v46, v46, v87, v86
.LBB6_3944:                             ;   in Loop: Header=BB6_3887 Depth=4
	s_or_b32 exec_lo, exec_lo, s73
	s_waitcnt vmcnt(30) lgkmcnt(30)
	v_cmp_gt_i16_sdwa s73, v25, v61 src0_sel:BYTE_0 src1_sel:DWORD
	s_mov_b32 s16, 0
	s_and_saveexec_b32 s74, s73
	s_xor_b32 s73, exec_lo, s74
	s_cbranch_execz .LBB6_5051
; %bb.3945:                             ;   in Loop: Header=BB6_3887 Depth=4
	v_cmp_eq_u16_sdwa s75, v25, v62 src0_sel:BYTE_0 src1_sel:DWORD
	s_mov_b32 s16, -1
	s_and_saveexec_b32 s74, s75
; %bb.3946:                             ;   in Loop: Header=BB6_3887 Depth=4
	s_xor_b32 s16, exec_lo, -1
; %bb.3947:                             ;   in Loop: Header=BB6_3887 Depth=4
	s_or_b32 exec_lo, exec_lo, s74
	s_and_b32 s16, s16, exec_lo
	s_or_saveexec_b32 s73, s73
	v_mov_b32_e32 v86, 0x7f800001
	s_xor_b32 exec_lo, exec_lo, s73
	s_cbranch_execnz .LBB6_5052
.LBB6_3948:                             ;   in Loop: Header=BB6_3887 Depth=4
	s_or_b32 exec_lo, exec_lo, s73
	s_and_saveexec_b32 s73, s16
	s_cbranch_execz .LBB6_3950
.LBB6_3949:                             ;   in Loop: Header=BB6_3887 Depth=4
	v_and_b32_e32 v86, 7, v25
	v_lshrrev_b16 v60, 3, v25
	v_ffbh_u32_e32 v87, v86
	v_and_b32_e32 v60, 15, v60
	v_min_u32_e32 v87, 32, v87
	v_cmp_eq_u32_e32 vcc_lo, 0, v60
	v_subrev_nc_u32_e32 v74, 28, v87
	v_sub_nc_u32_e32 v87, 29, v87
	v_lshlrev_b32_e32 v74, v74, v25
	v_lshlrev_b32_e32 v25, 24, v25
	v_cndmask_b32_e32 v87, v60, v87, vcc_lo
	v_and_b32_e32 v74, 7, v74
	v_and_b32_e32 v25, 0x80000000, v25
	v_lshl_add_u32 v87, v87, 23, 0x3b800000
	v_cndmask_b32_e32 v86, v86, v74, vcc_lo
	v_lshlrev_b32_e32 v86, 20, v86
	v_or3_b32 v86, v25, v87, v86
.LBB6_3950:                             ;   in Loop: Header=BB6_3887 Depth=4
	s_or_b32 exec_lo, exec_lo, s73
	v_max_f32_e32 v25, v86, v86
	v_max_f32_e32 v86, v46, v46
	v_min_f32_e32 v46, v86, v25
.LBB6_3951:                             ;   in Loop: Header=BB6_3887 Depth=4
	s_waitcnt vmcnt(30) lgkmcnt(30)
	v_and_b32_e32 v25, 0x7f800000, v46
	v_cmp_ne_u32_e32 vcc_lo, 0x7f800000, v25
	v_mov_b32_e32 v25, 0x80
	s_and_saveexec_b32 s73, vcc_lo
	s_cbranch_execz .LBB6_3959
; %bb.3952:                             ;   in Loop: Header=BB6_3887 Depth=4
	v_mov_b32_e32 v25, 0
	s_mov_b32 s74, exec_lo
	v_cmpx_ne_u32_e32 0, v46
	s_cbranch_execz .LBB6_3958
; %bb.3953:                             ;   in Loop: Header=BB6_3887 Depth=4
	v_bfe_u32 v86, v46, 23, 8
	v_and_b32_e32 v25, 0x7fffff, v46
                                        ; implicit-def: $vgpr105
	v_cmp_gt_u32_e64 s16, 0x79, v86
	v_sub_nc_u32_e32 v87, 0x78, v86
	v_cmp_eq_u32_e32 vcc_lo, 0, v86
	v_or_b32_e32 v60, 0x800000, v25
	v_cndmask_b32_e64 v87, 0, v87, s16
	v_cndmask_b32_e32 v25, v60, v25, vcc_lo
	v_cndmask_b32_e64 v87, v87, 0x77, vcc_lo
	v_lshl_add_u32 v60, 0x100000, v87, -1
	v_lshlrev_b32_e64 v74, v87, 0x80000
	v_and_b32_e32 v60, v60, v25
	v_cmp_eq_u32_e64 s16, v60, v74
	v_lshrrev_b32_e32 v74, v87, v25
	v_add_nc_u32_e32 v25, 0xffffff89, v86
	v_lshrrev_b32_e32 v86, 23, v74
	v_cndmask_b32_e64 v25, v25, 0xffffff8a, vcc_lo
	v_xor_b32_e32 v60, 1, v86
	v_bfe_u32 v86, v74, 20, 1
	v_add_nc_u32_e32 v25, v87, v25
	v_add_nc_u32_e32 v86, -1, v86
	v_cndmask_b32_e64 v86, 0, v86, s16
	s_mov_b32 s16, exec_lo
	v_add_nc_u32_e32 v86, v86, v74
	v_and_b32_e32 v86, 0xfffff, v86
	v_add_nc_u32_e32 v74, v86, v74
	v_cmpx_ne_u32_e64 v25, v60
	s_xor_b32 s16, exec_lo, s16
; %bb.3954:                             ;   in Loop: Header=BB6_3887 Depth=4
	v_cmp_lt_u32_e32 vcc_lo, 0xffffff, v74
	v_sub_nc_u32_e32 v25, v25, v60
	v_cndmask_b32_e64 v86, 0, 1, vcc_lo
	v_add_co_ci_u32_e64 v105, null, 0, v25, vcc_lo
	v_lshrrev_b32_e32 v74, v86, v74
; %bb.3955:                             ;   in Loop: Header=BB6_3887 Depth=4
	s_andn2_saveexec_b32 s16, s16
; %bb.3956:                             ;   in Loop: Header=BB6_3887 Depth=4
	v_bfe_u32 v105, v74, 23, 1
; %bb.3957:                             ;   in Loop: Header=BB6_3887 Depth=4
	s_or_b32 exec_lo, exec_lo, s16
	v_lshrrev_b32_e32 v86, 20, v74
	v_cmp_gt_i32_e32 vcc_lo, 16, v105
	v_min_i32_e32 v87, 15, v105
	v_and_b32_sdwa v25, v46, v62 dst_sel:DWORD dst_unused:UNUSED_PAD src0_sel:BYTE_3 src1_sel:DWORD
	v_cndmask_b32_e32 v86, 7, v86, vcc_lo
	v_lshlrev_b32_e32 v87, 3, v87
	v_or_b32_e32 v46, v105, v86
	v_and_b32_e32 v86, 7, v86
	v_cmp_ne_u32_e32 vcc_lo, 0, v46
	v_or3_b32 v25, v87, v25, v86
	v_cndmask_b32_e32 v25, 0, v25, vcc_lo
.LBB6_3958:                             ;   in Loop: Header=BB6_3887 Depth=4
	s_or_b32 exec_lo, exec_lo, s74
.LBB6_3959:                             ;   in Loop: Header=BB6_3887 Depth=4
	s_or_b32 exec_lo, exec_lo, s73
	v_cmp_gt_i16_sdwa s73, v125, v61 src0_sel:BYTE_0 src1_sel:DWORD
	s_andn2_b32 vcc_lo, exec_lo, s63
	s_mov_b32 s16, -1
                                        ; implicit-def: $vgpr46
	s_cbranch_vccnz .LBB6_3973
; %bb.3960:                             ;   in Loop: Header=BB6_3887 Depth=4
	s_mov_b32 s16, 0
	s_and_saveexec_b32 s74, s73
	s_xor_b32 s73, exec_lo, s74
	s_cbranch_execz .LBB6_5053
; %bb.3961:                             ;   in Loop: Header=BB6_3887 Depth=4
	v_cmp_eq_u16_sdwa s75, v125, v62 src0_sel:BYTE_0 src1_sel:DWORD
	s_mov_b32 s16, -1
	s_and_saveexec_b32 s74, s75
; %bb.3962:                             ;   in Loop: Header=BB6_3887 Depth=4
	s_xor_b32 s16, exec_lo, -1
; %bb.3963:                             ;   in Loop: Header=BB6_3887 Depth=4
	s_or_b32 exec_lo, exec_lo, s74
	s_and_b32 s16, s16, exec_lo
	s_or_saveexec_b32 s73, s73
	v_mov_b32_e32 v46, 0x7f800001
	s_xor_b32 exec_lo, exec_lo, s73
	s_cbranch_execnz .LBB6_5054
.LBB6_3964:                             ;   in Loop: Header=BB6_3887 Depth=4
	s_or_b32 exec_lo, exec_lo, s73
	s_and_saveexec_b32 s73, s16
	s_cbranch_execz .LBB6_3966
.LBB6_3965:                             ;   in Loop: Header=BB6_3887 Depth=4
	v_and_b32_e32 v86, 7, v125
	v_lshrrev_b16 v46, 3, v125
	v_lshlrev_b32_e32 v74, 24, v125
	v_ffbh_u32_e32 v87, v86
	v_and_b32_e32 v46, 15, v46
	v_min_u32_e32 v87, 32, v87
	v_cmp_eq_u32_e32 vcc_lo, 0, v46
	v_subrev_nc_u32_e32 v60, 28, v87
	v_sub_nc_u32_e32 v87, 29, v87
	v_lshlrev_b32_e32 v60, v60, v125
	v_cndmask_b32_e32 v87, v46, v87, vcc_lo
	v_and_b32_e32 v46, 0x80000000, v74
	v_and_b32_e32 v60, 7, v60
	v_lshl_add_u32 v87, v87, 23, 0x3b800000
	v_cndmask_b32_e32 v86, v86, v60, vcc_lo
	v_lshlrev_b32_e32 v86, 20, v86
	v_or3_b32 v46, v46, v87, v86
.LBB6_3966:                             ;   in Loop: Header=BB6_3887 Depth=4
	s_or_b32 exec_lo, exec_lo, s73
	s_waitcnt vmcnt(29) lgkmcnt(29)
	v_cmp_gt_i16_sdwa s73, v28, v61 src0_sel:BYTE_0 src1_sel:DWORD
	s_mov_b32 s16, 0
	s_and_saveexec_b32 s74, s73
	s_xor_b32 s73, exec_lo, s74
	s_cbranch_execz .LBB6_5055
; %bb.3967:                             ;   in Loop: Header=BB6_3887 Depth=4
	v_cmp_eq_u16_sdwa s75, v28, v62 src0_sel:BYTE_0 src1_sel:DWORD
	s_mov_b32 s16, -1
	s_and_saveexec_b32 s74, s75
; %bb.3968:                             ;   in Loop: Header=BB6_3887 Depth=4
	s_xor_b32 s16, exec_lo, -1
; %bb.3969:                             ;   in Loop: Header=BB6_3887 Depth=4
	s_or_b32 exec_lo, exec_lo, s74
	s_and_b32 s16, s16, exec_lo
	s_or_saveexec_b32 s73, s73
	v_mov_b32_e32 v86, 0x7f800001
	s_xor_b32 exec_lo, exec_lo, s73
	s_cbranch_execnz .LBB6_5056
.LBB6_3970:                             ;   in Loop: Header=BB6_3887 Depth=4
	s_or_b32 exec_lo, exec_lo, s73
	s_and_saveexec_b32 s73, s16
	s_cbranch_execz .LBB6_3972
.LBB6_3971:                             ;   in Loop: Header=BB6_3887 Depth=4
	v_and_b32_e32 v86, 7, v28
	v_lshrrev_b16 v60, 3, v28
	v_lshlrev_b32_e32 v105, 24, v28
	v_ffbh_u32_e32 v87, v86
	v_and_b32_e32 v60, 15, v60
	v_min_u32_e32 v87, 32, v87
	v_cmp_eq_u32_e32 vcc_lo, 0, v60
	v_subrev_nc_u32_e32 v74, 28, v87
	v_sub_nc_u32_e32 v87, 29, v87
	v_lshlrev_b32_e32 v74, v74, v28
	v_cndmask_b32_e32 v87, v60, v87, vcc_lo
	v_and_b32_e32 v60, 0x80000000, v105
	v_and_b32_e32 v74, 7, v74
	v_lshl_add_u32 v87, v87, 23, 0x3b800000
	v_cndmask_b32_e32 v86, v86, v74, vcc_lo
	v_lshlrev_b32_e32 v86, 20, v86
	v_or3_b32 v86, v60, v87, v86
.LBB6_3972:                             ;   in Loop: Header=BB6_3887 Depth=4
	s_or_b32 exec_lo, exec_lo, s73
	v_max_f32_e32 v86, v86, v86
	v_max_f32_e32 v87, v46, v46
	s_mov_b32 s16, 0
	v_max_f32_e32 v46, v87, v86
.LBB6_3973:                             ;   in Loop: Header=BB6_3887 Depth=4
	s_and_b32 vcc_lo, exec_lo, s16
	s_cbranch_vccz .LBB6_3987
; %bb.3974:                             ;   in Loop: Header=BB6_3887 Depth=4
	v_cmp_gt_i16_sdwa s73, v125, v61 src0_sel:BYTE_0 src1_sel:DWORD
	s_mov_b32 s16, 0
	s_and_saveexec_b32 s74, s73
	s_xor_b32 s73, exec_lo, s74
	s_cbranch_execz .LBB6_5057
; %bb.3975:                             ;   in Loop: Header=BB6_3887 Depth=4
	v_cmp_eq_u16_sdwa s75, v125, v62 src0_sel:BYTE_0 src1_sel:DWORD
	s_mov_b32 s16, -1
	s_and_saveexec_b32 s74, s75
; %bb.3976:                             ;   in Loop: Header=BB6_3887 Depth=4
	s_xor_b32 s16, exec_lo, -1
; %bb.3977:                             ;   in Loop: Header=BB6_3887 Depth=4
	s_or_b32 exec_lo, exec_lo, s74
	s_and_b32 s16, s16, exec_lo
	s_or_saveexec_b32 s73, s73
	v_mov_b32_e32 v46, 0x7f800001
	s_xor_b32 exec_lo, exec_lo, s73
	s_cbranch_execnz .LBB6_5058
.LBB6_3978:                             ;   in Loop: Header=BB6_3887 Depth=4
	s_or_b32 exec_lo, exec_lo, s73
	s_and_saveexec_b32 s73, s16
	s_cbranch_execz .LBB6_3980
.LBB6_3979:                             ;   in Loop: Header=BB6_3887 Depth=4
	v_and_b32_e32 v86, 7, v125
	v_lshrrev_b16 v46, 3, v125
	v_lshlrev_b32_e32 v74, 24, v125
	v_ffbh_u32_e32 v87, v86
	v_and_b32_e32 v46, 15, v46
	v_min_u32_e32 v87, 32, v87
	v_cmp_eq_u32_e32 vcc_lo, 0, v46
	v_subrev_nc_u32_e32 v60, 28, v87
	v_sub_nc_u32_e32 v87, 29, v87
	v_lshlrev_b32_e32 v60, v60, v125
	v_cndmask_b32_e32 v87, v46, v87, vcc_lo
	v_and_b32_e32 v46, 0x80000000, v74
	v_and_b32_e32 v60, 7, v60
	v_lshl_add_u32 v87, v87, 23, 0x3b800000
	v_cndmask_b32_e32 v86, v86, v60, vcc_lo
	v_lshlrev_b32_e32 v86, 20, v86
	v_or3_b32 v46, v46, v87, v86
.LBB6_3980:                             ;   in Loop: Header=BB6_3887 Depth=4
	s_or_b32 exec_lo, exec_lo, s73
	s_waitcnt vmcnt(29) lgkmcnt(29)
	v_cmp_gt_i16_sdwa s73, v28, v61 src0_sel:BYTE_0 src1_sel:DWORD
	s_mov_b32 s16, 0
	s_and_saveexec_b32 s74, s73
	s_xor_b32 s73, exec_lo, s74
	s_cbranch_execz .LBB6_5059
; %bb.3981:                             ;   in Loop: Header=BB6_3887 Depth=4
	v_cmp_eq_u16_sdwa s75, v28, v62 src0_sel:BYTE_0 src1_sel:DWORD
	s_mov_b32 s16, -1
	s_and_saveexec_b32 s74, s75
; %bb.3982:                             ;   in Loop: Header=BB6_3887 Depth=4
	s_xor_b32 s16, exec_lo, -1
; %bb.3983:                             ;   in Loop: Header=BB6_3887 Depth=4
	s_or_b32 exec_lo, exec_lo, s74
	s_and_b32 s16, s16, exec_lo
	s_or_saveexec_b32 s73, s73
	v_mov_b32_e32 v86, 0x7f800001
	s_xor_b32 exec_lo, exec_lo, s73
	s_cbranch_execnz .LBB6_5060
.LBB6_3984:                             ;   in Loop: Header=BB6_3887 Depth=4
	s_or_b32 exec_lo, exec_lo, s73
	s_and_saveexec_b32 s73, s16
	s_cbranch_execz .LBB6_3986
.LBB6_3985:                             ;   in Loop: Header=BB6_3887 Depth=4
	v_and_b32_e32 v86, 7, v28
	v_lshrrev_b16 v60, 3, v28
	v_ffbh_u32_e32 v87, v86
	v_and_b32_e32 v60, 15, v60
	v_min_u32_e32 v87, 32, v87
	v_cmp_eq_u32_e32 vcc_lo, 0, v60
	v_subrev_nc_u32_e32 v74, 28, v87
	v_sub_nc_u32_e32 v87, 29, v87
	v_lshlrev_b32_e32 v74, v74, v28
	v_lshlrev_b32_e32 v28, 24, v28
	v_cndmask_b32_e32 v87, v60, v87, vcc_lo
	v_and_b32_e32 v74, 7, v74
	v_and_b32_e32 v28, 0x80000000, v28
	v_lshl_add_u32 v87, v87, 23, 0x3b800000
	v_cndmask_b32_e32 v86, v86, v74, vcc_lo
	v_lshlrev_b32_e32 v86, 20, v86
	v_or3_b32 v86, v28, v87, v86
.LBB6_3986:                             ;   in Loop: Header=BB6_3887 Depth=4
	s_or_b32 exec_lo, exec_lo, s73
	v_max_f32_e32 v28, v86, v86
	v_max_f32_e32 v86, v46, v46
	v_min_f32_e32 v46, v86, v28
.LBB6_3987:                             ;   in Loop: Header=BB6_3887 Depth=4
	s_waitcnt vmcnt(29) lgkmcnt(29)
	v_and_b32_e32 v28, 0x7f800000, v46
	v_cmp_ne_u32_e32 vcc_lo, 0x7f800000, v28
	v_mov_b32_e32 v28, 0x80
	s_and_saveexec_b32 s73, vcc_lo
	s_cbranch_execz .LBB6_3995
; %bb.3988:                             ;   in Loop: Header=BB6_3887 Depth=4
	v_mov_b32_e32 v28, 0
	s_mov_b32 s74, exec_lo
	v_cmpx_ne_u32_e32 0, v46
	s_cbranch_execz .LBB6_3994
; %bb.3989:                             ;   in Loop: Header=BB6_3887 Depth=4
	v_bfe_u32 v86, v46, 23, 8
	v_and_b32_e32 v28, 0x7fffff, v46
                                        ; implicit-def: $vgpr105
	v_cmp_gt_u32_e64 s16, 0x79, v86
	v_sub_nc_u32_e32 v87, 0x78, v86
	v_cmp_eq_u32_e32 vcc_lo, 0, v86
	v_or_b32_e32 v60, 0x800000, v28
	v_cndmask_b32_e64 v87, 0, v87, s16
	v_cndmask_b32_e32 v28, v60, v28, vcc_lo
	v_cndmask_b32_e64 v87, v87, 0x77, vcc_lo
	v_lshl_add_u32 v60, 0x100000, v87, -1
	v_lshlrev_b32_e64 v74, v87, 0x80000
	v_and_b32_e32 v60, v60, v28
	v_cmp_eq_u32_e64 s16, v60, v74
	v_lshrrev_b32_e32 v74, v87, v28
	v_add_nc_u32_e32 v28, 0xffffff89, v86
	v_lshrrev_b32_e32 v86, 23, v74
	v_cndmask_b32_e64 v28, v28, 0xffffff8a, vcc_lo
	v_xor_b32_e32 v60, 1, v86
	v_bfe_u32 v86, v74, 20, 1
	v_add_nc_u32_e32 v28, v87, v28
	v_add_nc_u32_e32 v86, -1, v86
	v_cndmask_b32_e64 v86, 0, v86, s16
	s_mov_b32 s16, exec_lo
	v_add_nc_u32_e32 v86, v86, v74
	v_and_b32_e32 v86, 0xfffff, v86
	v_add_nc_u32_e32 v74, v86, v74
	v_cmpx_ne_u32_e64 v28, v60
	s_xor_b32 s16, exec_lo, s16
; %bb.3990:                             ;   in Loop: Header=BB6_3887 Depth=4
	v_cmp_lt_u32_e32 vcc_lo, 0xffffff, v74
	v_sub_nc_u32_e32 v28, v28, v60
	v_cndmask_b32_e64 v86, 0, 1, vcc_lo
	v_add_co_ci_u32_e64 v105, null, 0, v28, vcc_lo
	v_lshrrev_b32_e32 v74, v86, v74
; %bb.3991:                             ;   in Loop: Header=BB6_3887 Depth=4
	s_andn2_saveexec_b32 s16, s16
; %bb.3992:                             ;   in Loop: Header=BB6_3887 Depth=4
	v_bfe_u32 v105, v74, 23, 1
; %bb.3993:                             ;   in Loop: Header=BB6_3887 Depth=4
	s_or_b32 exec_lo, exec_lo, s16
	v_lshrrev_b32_e32 v86, 20, v74
	v_cmp_gt_i32_e32 vcc_lo, 16, v105
	v_min_i32_e32 v87, 15, v105
	v_and_b32_sdwa v28, v46, v62 dst_sel:DWORD dst_unused:UNUSED_PAD src0_sel:BYTE_3 src1_sel:DWORD
	v_cndmask_b32_e32 v86, 7, v86, vcc_lo
	v_lshlrev_b32_e32 v87, 3, v87
	v_or_b32_e32 v46, v105, v86
	v_and_b32_e32 v86, 7, v86
	v_cmp_ne_u32_e32 vcc_lo, 0, v46
	v_or3_b32 v28, v87, v28, v86
	v_cndmask_b32_e32 v28, 0, v28, vcc_lo
.LBB6_3994:                             ;   in Loop: Header=BB6_3887 Depth=4
	s_or_b32 exec_lo, exec_lo, s74
.LBB6_3995:                             ;   in Loop: Header=BB6_3887 Depth=4
	s_or_b32 exec_lo, exec_lo, s73
	v_cmp_gt_i16_sdwa s73, v124, v61 src0_sel:BYTE_0 src1_sel:DWORD
	s_andn2_b32 vcc_lo, exec_lo, s63
	s_mov_b32 s16, -1
                                        ; implicit-def: $vgpr46
	s_cbranch_vccnz .LBB6_4009
; %bb.3996:                             ;   in Loop: Header=BB6_3887 Depth=4
	s_mov_b32 s16, 0
	s_and_saveexec_b32 s74, s73
	s_xor_b32 s73, exec_lo, s74
	s_cbranch_execz .LBB6_5061
; %bb.3997:                             ;   in Loop: Header=BB6_3887 Depth=4
	v_cmp_eq_u16_sdwa s75, v124, v62 src0_sel:BYTE_0 src1_sel:DWORD
	s_mov_b32 s16, -1
	s_and_saveexec_b32 s74, s75
; %bb.3998:                             ;   in Loop: Header=BB6_3887 Depth=4
	s_xor_b32 s16, exec_lo, -1
; %bb.3999:                             ;   in Loop: Header=BB6_3887 Depth=4
	s_or_b32 exec_lo, exec_lo, s74
	s_and_b32 s16, s16, exec_lo
	s_or_saveexec_b32 s73, s73
	v_mov_b32_e32 v46, 0x7f800001
	s_xor_b32 exec_lo, exec_lo, s73
	s_cbranch_execnz .LBB6_5062
.LBB6_4000:                             ;   in Loop: Header=BB6_3887 Depth=4
	s_or_b32 exec_lo, exec_lo, s73
	s_and_saveexec_b32 s73, s16
	s_cbranch_execz .LBB6_4002
.LBB6_4001:                             ;   in Loop: Header=BB6_3887 Depth=4
	v_and_b32_e32 v86, 7, v124
	v_lshrrev_b16 v46, 3, v124
	v_lshlrev_b32_e32 v74, 24, v124
	v_ffbh_u32_e32 v87, v86
	v_and_b32_e32 v46, 15, v46
	v_min_u32_e32 v87, 32, v87
	v_cmp_eq_u32_e32 vcc_lo, 0, v46
	v_subrev_nc_u32_e32 v60, 28, v87
	v_sub_nc_u32_e32 v87, 29, v87
	v_lshlrev_b32_e32 v60, v60, v124
	v_cndmask_b32_e32 v87, v46, v87, vcc_lo
	v_and_b32_e32 v46, 0x80000000, v74
	v_and_b32_e32 v60, 7, v60
	v_lshl_add_u32 v87, v87, 23, 0x3b800000
	v_cndmask_b32_e32 v86, v86, v60, vcc_lo
	v_lshlrev_b32_e32 v86, 20, v86
	v_or3_b32 v46, v46, v87, v86
.LBB6_4002:                             ;   in Loop: Header=BB6_3887 Depth=4
	s_or_b32 exec_lo, exec_lo, s73
	s_waitcnt vmcnt(28) lgkmcnt(28)
	v_cmp_gt_i16_sdwa s73, v32, v61 src0_sel:BYTE_0 src1_sel:DWORD
	s_mov_b32 s16, 0
	s_and_saveexec_b32 s74, s73
	s_xor_b32 s73, exec_lo, s74
	s_cbranch_execz .LBB6_5063
; %bb.4003:                             ;   in Loop: Header=BB6_3887 Depth=4
	v_cmp_eq_u16_sdwa s75, v32, v62 src0_sel:BYTE_0 src1_sel:DWORD
	s_mov_b32 s16, -1
	s_and_saveexec_b32 s74, s75
; %bb.4004:                             ;   in Loop: Header=BB6_3887 Depth=4
	s_xor_b32 s16, exec_lo, -1
; %bb.4005:                             ;   in Loop: Header=BB6_3887 Depth=4
	s_or_b32 exec_lo, exec_lo, s74
	s_and_b32 s16, s16, exec_lo
	s_or_saveexec_b32 s73, s73
	v_mov_b32_e32 v86, 0x7f800001
	s_xor_b32 exec_lo, exec_lo, s73
	s_cbranch_execnz .LBB6_5064
.LBB6_4006:                             ;   in Loop: Header=BB6_3887 Depth=4
	s_or_b32 exec_lo, exec_lo, s73
	s_and_saveexec_b32 s73, s16
	s_cbranch_execz .LBB6_4008
.LBB6_4007:                             ;   in Loop: Header=BB6_3887 Depth=4
	v_and_b32_e32 v86, 7, v32
	v_lshrrev_b16 v60, 3, v32
	v_lshlrev_b32_e32 v105, 24, v32
	v_ffbh_u32_e32 v87, v86
	v_and_b32_e32 v60, 15, v60
	v_min_u32_e32 v87, 32, v87
	v_cmp_eq_u32_e32 vcc_lo, 0, v60
	v_subrev_nc_u32_e32 v74, 28, v87
	v_sub_nc_u32_e32 v87, 29, v87
	v_lshlrev_b32_e32 v74, v74, v32
	v_cndmask_b32_e32 v87, v60, v87, vcc_lo
	v_and_b32_e32 v60, 0x80000000, v105
	v_and_b32_e32 v74, 7, v74
	v_lshl_add_u32 v87, v87, 23, 0x3b800000
	v_cndmask_b32_e32 v86, v86, v74, vcc_lo
	v_lshlrev_b32_e32 v86, 20, v86
	v_or3_b32 v86, v60, v87, v86
.LBB6_4008:                             ;   in Loop: Header=BB6_3887 Depth=4
	s_or_b32 exec_lo, exec_lo, s73
	v_max_f32_e32 v86, v86, v86
	v_max_f32_e32 v87, v46, v46
	s_mov_b32 s16, 0
	v_max_f32_e32 v46, v87, v86
.LBB6_4009:                             ;   in Loop: Header=BB6_3887 Depth=4
	s_and_b32 vcc_lo, exec_lo, s16
	s_cbranch_vccz .LBB6_4023
; %bb.4010:                             ;   in Loop: Header=BB6_3887 Depth=4
	v_cmp_gt_i16_sdwa s73, v124, v61 src0_sel:BYTE_0 src1_sel:DWORD
	s_mov_b32 s16, 0
	s_and_saveexec_b32 s74, s73
	s_xor_b32 s73, exec_lo, s74
	s_cbranch_execz .LBB6_5065
; %bb.4011:                             ;   in Loop: Header=BB6_3887 Depth=4
	v_cmp_eq_u16_sdwa s75, v124, v62 src0_sel:BYTE_0 src1_sel:DWORD
	s_mov_b32 s16, -1
	s_and_saveexec_b32 s74, s75
; %bb.4012:                             ;   in Loop: Header=BB6_3887 Depth=4
	s_xor_b32 s16, exec_lo, -1
; %bb.4013:                             ;   in Loop: Header=BB6_3887 Depth=4
	s_or_b32 exec_lo, exec_lo, s74
	s_and_b32 s16, s16, exec_lo
	s_or_saveexec_b32 s73, s73
	v_mov_b32_e32 v46, 0x7f800001
	s_xor_b32 exec_lo, exec_lo, s73
	s_cbranch_execnz .LBB6_5066
.LBB6_4014:                             ;   in Loop: Header=BB6_3887 Depth=4
	s_or_b32 exec_lo, exec_lo, s73
	s_and_saveexec_b32 s73, s16
	s_cbranch_execz .LBB6_4016
.LBB6_4015:                             ;   in Loop: Header=BB6_3887 Depth=4
	v_and_b32_e32 v86, 7, v124
	v_lshrrev_b16 v46, 3, v124
	v_lshlrev_b32_e32 v74, 24, v124
	v_ffbh_u32_e32 v87, v86
	v_and_b32_e32 v46, 15, v46
	v_min_u32_e32 v87, 32, v87
	v_cmp_eq_u32_e32 vcc_lo, 0, v46
	v_subrev_nc_u32_e32 v60, 28, v87
	v_sub_nc_u32_e32 v87, 29, v87
	v_lshlrev_b32_e32 v60, v60, v124
	v_cndmask_b32_e32 v87, v46, v87, vcc_lo
	v_and_b32_e32 v46, 0x80000000, v74
	v_and_b32_e32 v60, 7, v60
	v_lshl_add_u32 v87, v87, 23, 0x3b800000
	v_cndmask_b32_e32 v86, v86, v60, vcc_lo
	v_lshlrev_b32_e32 v86, 20, v86
	v_or3_b32 v46, v46, v87, v86
.LBB6_4016:                             ;   in Loop: Header=BB6_3887 Depth=4
	s_or_b32 exec_lo, exec_lo, s73
	s_waitcnt vmcnt(28) lgkmcnt(28)
	v_cmp_gt_i16_sdwa s73, v32, v61 src0_sel:BYTE_0 src1_sel:DWORD
	s_mov_b32 s16, 0
	s_and_saveexec_b32 s74, s73
	s_xor_b32 s73, exec_lo, s74
	s_cbranch_execz .LBB6_5067
; %bb.4017:                             ;   in Loop: Header=BB6_3887 Depth=4
	v_cmp_eq_u16_sdwa s75, v32, v62 src0_sel:BYTE_0 src1_sel:DWORD
	s_mov_b32 s16, -1
	s_and_saveexec_b32 s74, s75
; %bb.4018:                             ;   in Loop: Header=BB6_3887 Depth=4
	s_xor_b32 s16, exec_lo, -1
; %bb.4019:                             ;   in Loop: Header=BB6_3887 Depth=4
	s_or_b32 exec_lo, exec_lo, s74
	s_and_b32 s16, s16, exec_lo
	s_or_saveexec_b32 s73, s73
	v_mov_b32_e32 v86, 0x7f800001
	s_xor_b32 exec_lo, exec_lo, s73
	s_cbranch_execnz .LBB6_5068
.LBB6_4020:                             ;   in Loop: Header=BB6_3887 Depth=4
	s_or_b32 exec_lo, exec_lo, s73
	s_and_saveexec_b32 s73, s16
	s_cbranch_execz .LBB6_4022
.LBB6_4021:                             ;   in Loop: Header=BB6_3887 Depth=4
	v_and_b32_e32 v86, 7, v32
	v_lshrrev_b16 v60, 3, v32
	v_ffbh_u32_e32 v87, v86
	v_and_b32_e32 v60, 15, v60
	v_min_u32_e32 v87, 32, v87
	v_cmp_eq_u32_e32 vcc_lo, 0, v60
	v_subrev_nc_u32_e32 v74, 28, v87
	v_sub_nc_u32_e32 v87, 29, v87
	v_lshlrev_b32_e32 v74, v74, v32
	v_lshlrev_b32_e32 v32, 24, v32
	v_cndmask_b32_e32 v87, v60, v87, vcc_lo
	v_and_b32_e32 v74, 7, v74
	v_and_b32_e32 v32, 0x80000000, v32
	v_lshl_add_u32 v87, v87, 23, 0x3b800000
	v_cndmask_b32_e32 v86, v86, v74, vcc_lo
	v_lshlrev_b32_e32 v86, 20, v86
	v_or3_b32 v86, v32, v87, v86
.LBB6_4022:                             ;   in Loop: Header=BB6_3887 Depth=4
	s_or_b32 exec_lo, exec_lo, s73
	v_max_f32_e32 v32, v86, v86
	v_max_f32_e32 v86, v46, v46
	v_min_f32_e32 v46, v86, v32
.LBB6_4023:                             ;   in Loop: Header=BB6_3887 Depth=4
	s_waitcnt vmcnt(28) lgkmcnt(28)
	v_and_b32_e32 v32, 0x7f800000, v46
	v_cmp_ne_u32_e32 vcc_lo, 0x7f800000, v32
	v_mov_b32_e32 v32, 0x80
	s_and_saveexec_b32 s73, vcc_lo
	s_cbranch_execz .LBB6_4031
; %bb.4024:                             ;   in Loop: Header=BB6_3887 Depth=4
	v_mov_b32_e32 v32, 0
	s_mov_b32 s74, exec_lo
	v_cmpx_ne_u32_e32 0, v46
	s_cbranch_execz .LBB6_4030
; %bb.4025:                             ;   in Loop: Header=BB6_3887 Depth=4
	v_bfe_u32 v86, v46, 23, 8
	v_and_b32_e32 v32, 0x7fffff, v46
                                        ; implicit-def: $vgpr105
	v_cmp_gt_u32_e64 s16, 0x79, v86
	v_sub_nc_u32_e32 v87, 0x78, v86
	v_cmp_eq_u32_e32 vcc_lo, 0, v86
	v_or_b32_e32 v60, 0x800000, v32
	v_cndmask_b32_e64 v87, 0, v87, s16
	v_cndmask_b32_e32 v32, v60, v32, vcc_lo
	v_cndmask_b32_e64 v87, v87, 0x77, vcc_lo
	v_lshl_add_u32 v60, 0x100000, v87, -1
	v_lshlrev_b32_e64 v74, v87, 0x80000
	v_and_b32_e32 v60, v60, v32
	v_cmp_eq_u32_e64 s16, v60, v74
	v_lshrrev_b32_e32 v74, v87, v32
	v_add_nc_u32_e32 v32, 0xffffff89, v86
	v_lshrrev_b32_e32 v86, 23, v74
	v_cndmask_b32_e64 v32, v32, 0xffffff8a, vcc_lo
	v_xor_b32_e32 v60, 1, v86
	v_bfe_u32 v86, v74, 20, 1
	v_add_nc_u32_e32 v32, v87, v32
	v_add_nc_u32_e32 v86, -1, v86
	v_cndmask_b32_e64 v86, 0, v86, s16
	s_mov_b32 s16, exec_lo
	v_add_nc_u32_e32 v86, v86, v74
	v_and_b32_e32 v86, 0xfffff, v86
	v_add_nc_u32_e32 v74, v86, v74
	v_cmpx_ne_u32_e64 v32, v60
	s_xor_b32 s16, exec_lo, s16
; %bb.4026:                             ;   in Loop: Header=BB6_3887 Depth=4
	v_cmp_lt_u32_e32 vcc_lo, 0xffffff, v74
	v_sub_nc_u32_e32 v32, v32, v60
	v_cndmask_b32_e64 v86, 0, 1, vcc_lo
	v_add_co_ci_u32_e64 v105, null, 0, v32, vcc_lo
	v_lshrrev_b32_e32 v74, v86, v74
; %bb.4027:                             ;   in Loop: Header=BB6_3887 Depth=4
	s_andn2_saveexec_b32 s16, s16
; %bb.4028:                             ;   in Loop: Header=BB6_3887 Depth=4
	v_bfe_u32 v105, v74, 23, 1
; %bb.4029:                             ;   in Loop: Header=BB6_3887 Depth=4
	s_or_b32 exec_lo, exec_lo, s16
	v_lshrrev_b32_e32 v86, 20, v74
	v_cmp_gt_i32_e32 vcc_lo, 16, v105
	v_min_i32_e32 v87, 15, v105
	v_and_b32_sdwa v32, v46, v62 dst_sel:DWORD dst_unused:UNUSED_PAD src0_sel:BYTE_3 src1_sel:DWORD
	v_cndmask_b32_e32 v86, 7, v86, vcc_lo
	v_lshlrev_b32_e32 v87, 3, v87
	v_or_b32_e32 v46, v105, v86
	v_and_b32_e32 v86, 7, v86
	v_cmp_ne_u32_e32 vcc_lo, 0, v46
	v_or3_b32 v32, v87, v32, v86
	v_cndmask_b32_e32 v32, 0, v32, vcc_lo
.LBB6_4030:                             ;   in Loop: Header=BB6_3887 Depth=4
	s_or_b32 exec_lo, exec_lo, s74
.LBB6_4031:                             ;   in Loop: Header=BB6_3887 Depth=4
	s_or_b32 exec_lo, exec_lo, s73
	v_cmp_gt_i16_sdwa s73, v88, v61 src0_sel:BYTE_0 src1_sel:DWORD
	s_andn2_b32 vcc_lo, exec_lo, s63
	s_mov_b32 s16, -1
                                        ; implicit-def: $vgpr46
	s_cbranch_vccnz .LBB6_4045
; %bb.4032:                             ;   in Loop: Header=BB6_3887 Depth=4
	s_mov_b32 s16, 0
	s_and_saveexec_b32 s74, s73
	s_xor_b32 s73, exec_lo, s74
	s_cbranch_execz .LBB6_5069
; %bb.4033:                             ;   in Loop: Header=BB6_3887 Depth=4
	v_cmp_eq_u16_sdwa s75, v88, v62 src0_sel:BYTE_0 src1_sel:DWORD
	s_mov_b32 s16, -1
	s_and_saveexec_b32 s74, s75
; %bb.4034:                             ;   in Loop: Header=BB6_3887 Depth=4
	s_xor_b32 s16, exec_lo, -1
; %bb.4035:                             ;   in Loop: Header=BB6_3887 Depth=4
	s_or_b32 exec_lo, exec_lo, s74
	s_and_b32 s16, s16, exec_lo
	s_or_saveexec_b32 s73, s73
	v_mov_b32_e32 v46, 0x7f800001
	s_xor_b32 exec_lo, exec_lo, s73
	s_cbranch_execnz .LBB6_5070
.LBB6_4036:                             ;   in Loop: Header=BB6_3887 Depth=4
	s_or_b32 exec_lo, exec_lo, s73
	s_and_saveexec_b32 s73, s16
	s_cbranch_execz .LBB6_4038
.LBB6_4037:                             ;   in Loop: Header=BB6_3887 Depth=4
	v_and_b32_e32 v86, 7, v88
	v_lshrrev_b16 v46, 3, v88
	v_lshlrev_b32_e32 v74, 24, v88
	v_ffbh_u32_e32 v87, v86
	v_and_b32_e32 v46, 15, v46
	v_min_u32_e32 v87, 32, v87
	v_cmp_eq_u32_e32 vcc_lo, 0, v46
	v_subrev_nc_u32_e32 v60, 28, v87
	v_sub_nc_u32_e32 v87, 29, v87
	v_lshlrev_b32_e32 v60, v60, v88
	v_cndmask_b32_e32 v87, v46, v87, vcc_lo
	v_and_b32_e32 v46, 0x80000000, v74
	v_and_b32_e32 v60, 7, v60
	v_lshl_add_u32 v87, v87, 23, 0x3b800000
	v_cndmask_b32_e32 v86, v86, v60, vcc_lo
	v_lshlrev_b32_e32 v86, 20, v86
	v_or3_b32 v46, v46, v87, v86
.LBB6_4038:                             ;   in Loop: Header=BB6_3887 Depth=4
	s_or_b32 exec_lo, exec_lo, s73
	s_waitcnt vmcnt(27) lgkmcnt(27)
	v_cmp_gt_i16_sdwa s73, v35, v61 src0_sel:BYTE_0 src1_sel:DWORD
	s_mov_b32 s16, 0
	s_and_saveexec_b32 s74, s73
	s_xor_b32 s73, exec_lo, s74
	s_cbranch_execz .LBB6_5071
; %bb.4039:                             ;   in Loop: Header=BB6_3887 Depth=4
	v_cmp_eq_u16_sdwa s75, v35, v62 src0_sel:BYTE_0 src1_sel:DWORD
	s_mov_b32 s16, -1
	s_and_saveexec_b32 s74, s75
; %bb.4040:                             ;   in Loop: Header=BB6_3887 Depth=4
	s_xor_b32 s16, exec_lo, -1
; %bb.4041:                             ;   in Loop: Header=BB6_3887 Depth=4
	s_or_b32 exec_lo, exec_lo, s74
	s_and_b32 s16, s16, exec_lo
	s_or_saveexec_b32 s73, s73
	v_mov_b32_e32 v86, 0x7f800001
	s_xor_b32 exec_lo, exec_lo, s73
	s_cbranch_execnz .LBB6_5072
.LBB6_4042:                             ;   in Loop: Header=BB6_3887 Depth=4
	s_or_b32 exec_lo, exec_lo, s73
	s_and_saveexec_b32 s73, s16
	s_cbranch_execz .LBB6_4044
.LBB6_4043:                             ;   in Loop: Header=BB6_3887 Depth=4
	v_and_b32_e32 v86, 7, v35
	v_lshrrev_b16 v60, 3, v35
	v_lshlrev_b32_e32 v105, 24, v35
	v_ffbh_u32_e32 v87, v86
	v_and_b32_e32 v60, 15, v60
	v_min_u32_e32 v87, 32, v87
	v_cmp_eq_u32_e32 vcc_lo, 0, v60
	v_subrev_nc_u32_e32 v74, 28, v87
	v_sub_nc_u32_e32 v87, 29, v87
	v_lshlrev_b32_e32 v74, v74, v35
	v_cndmask_b32_e32 v87, v60, v87, vcc_lo
	v_and_b32_e32 v60, 0x80000000, v105
	v_and_b32_e32 v74, 7, v74
	v_lshl_add_u32 v87, v87, 23, 0x3b800000
	v_cndmask_b32_e32 v86, v86, v74, vcc_lo
	v_lshlrev_b32_e32 v86, 20, v86
	v_or3_b32 v86, v60, v87, v86
.LBB6_4044:                             ;   in Loop: Header=BB6_3887 Depth=4
	s_or_b32 exec_lo, exec_lo, s73
	v_max_f32_e32 v86, v86, v86
	v_max_f32_e32 v87, v46, v46
	s_mov_b32 s16, 0
	v_max_f32_e32 v46, v87, v86
.LBB6_4045:                             ;   in Loop: Header=BB6_3887 Depth=4
	s_and_b32 vcc_lo, exec_lo, s16
	s_cbranch_vccz .LBB6_4059
; %bb.4046:                             ;   in Loop: Header=BB6_3887 Depth=4
	v_cmp_gt_i16_sdwa s73, v88, v61 src0_sel:BYTE_0 src1_sel:DWORD
	s_mov_b32 s16, 0
	s_and_saveexec_b32 s74, s73
	s_xor_b32 s73, exec_lo, s74
	s_cbranch_execz .LBB6_5073
; %bb.4047:                             ;   in Loop: Header=BB6_3887 Depth=4
	v_cmp_eq_u16_sdwa s75, v88, v62 src0_sel:BYTE_0 src1_sel:DWORD
	s_mov_b32 s16, -1
	s_and_saveexec_b32 s74, s75
; %bb.4048:                             ;   in Loop: Header=BB6_3887 Depth=4
	s_xor_b32 s16, exec_lo, -1
; %bb.4049:                             ;   in Loop: Header=BB6_3887 Depth=4
	s_or_b32 exec_lo, exec_lo, s74
	s_and_b32 s16, s16, exec_lo
	s_or_saveexec_b32 s73, s73
	v_mov_b32_e32 v46, 0x7f800001
	s_xor_b32 exec_lo, exec_lo, s73
	s_cbranch_execnz .LBB6_5074
.LBB6_4050:                             ;   in Loop: Header=BB6_3887 Depth=4
	s_or_b32 exec_lo, exec_lo, s73
	s_and_saveexec_b32 s73, s16
	s_cbranch_execz .LBB6_4052
.LBB6_4051:                             ;   in Loop: Header=BB6_3887 Depth=4
	v_and_b32_e32 v86, 7, v88
	v_lshrrev_b16 v46, 3, v88
	v_lshlrev_b32_e32 v74, 24, v88
	v_ffbh_u32_e32 v87, v86
	v_and_b32_e32 v46, 15, v46
	v_min_u32_e32 v87, 32, v87
	v_cmp_eq_u32_e32 vcc_lo, 0, v46
	v_subrev_nc_u32_e32 v60, 28, v87
	v_sub_nc_u32_e32 v87, 29, v87
	v_lshlrev_b32_e32 v60, v60, v88
	v_cndmask_b32_e32 v87, v46, v87, vcc_lo
	v_and_b32_e32 v46, 0x80000000, v74
	v_and_b32_e32 v60, 7, v60
	v_lshl_add_u32 v87, v87, 23, 0x3b800000
	v_cndmask_b32_e32 v86, v86, v60, vcc_lo
	v_lshlrev_b32_e32 v86, 20, v86
	v_or3_b32 v46, v46, v87, v86
.LBB6_4052:                             ;   in Loop: Header=BB6_3887 Depth=4
	s_or_b32 exec_lo, exec_lo, s73
	s_waitcnt vmcnt(27) lgkmcnt(27)
	v_cmp_gt_i16_sdwa s73, v35, v61 src0_sel:BYTE_0 src1_sel:DWORD
	s_mov_b32 s16, 0
	s_and_saveexec_b32 s74, s73
	s_xor_b32 s73, exec_lo, s74
	s_cbranch_execz .LBB6_5075
; %bb.4053:                             ;   in Loop: Header=BB6_3887 Depth=4
	v_cmp_eq_u16_sdwa s75, v35, v62 src0_sel:BYTE_0 src1_sel:DWORD
	s_mov_b32 s16, -1
	s_and_saveexec_b32 s74, s75
; %bb.4054:                             ;   in Loop: Header=BB6_3887 Depth=4
	s_xor_b32 s16, exec_lo, -1
; %bb.4055:                             ;   in Loop: Header=BB6_3887 Depth=4
	s_or_b32 exec_lo, exec_lo, s74
	s_and_b32 s16, s16, exec_lo
	s_or_saveexec_b32 s73, s73
	v_mov_b32_e32 v86, 0x7f800001
	s_xor_b32 exec_lo, exec_lo, s73
	s_cbranch_execnz .LBB6_5076
.LBB6_4056:                             ;   in Loop: Header=BB6_3887 Depth=4
	s_or_b32 exec_lo, exec_lo, s73
	s_and_saveexec_b32 s73, s16
	s_cbranch_execz .LBB6_4058
.LBB6_4057:                             ;   in Loop: Header=BB6_3887 Depth=4
	v_and_b32_e32 v86, 7, v35
	v_lshrrev_b16 v60, 3, v35
	v_ffbh_u32_e32 v87, v86
	v_and_b32_e32 v60, 15, v60
	v_min_u32_e32 v87, 32, v87
	v_cmp_eq_u32_e32 vcc_lo, 0, v60
	v_subrev_nc_u32_e32 v74, 28, v87
	v_sub_nc_u32_e32 v87, 29, v87
	v_lshlrev_b32_e32 v74, v74, v35
	v_lshlrev_b32_e32 v35, 24, v35
	v_cndmask_b32_e32 v87, v60, v87, vcc_lo
	v_and_b32_e32 v74, 7, v74
	v_and_b32_e32 v35, 0x80000000, v35
	v_lshl_add_u32 v87, v87, 23, 0x3b800000
	v_cndmask_b32_e32 v86, v86, v74, vcc_lo
	v_lshlrev_b32_e32 v86, 20, v86
	v_or3_b32 v86, v35, v87, v86
.LBB6_4058:                             ;   in Loop: Header=BB6_3887 Depth=4
	s_or_b32 exec_lo, exec_lo, s73
	v_max_f32_e32 v35, v86, v86
	v_max_f32_e32 v86, v46, v46
	v_min_f32_e32 v46, v86, v35
.LBB6_4059:                             ;   in Loop: Header=BB6_3887 Depth=4
	s_waitcnt vmcnt(27) lgkmcnt(27)
	v_and_b32_e32 v35, 0x7f800000, v46
	v_cmp_ne_u32_e32 vcc_lo, 0x7f800000, v35
	v_mov_b32_e32 v35, 0x80
	s_and_saveexec_b32 s73, vcc_lo
	s_cbranch_execz .LBB6_4067
; %bb.4060:                             ;   in Loop: Header=BB6_3887 Depth=4
	v_mov_b32_e32 v35, 0
	s_mov_b32 s74, exec_lo
	v_cmpx_ne_u32_e32 0, v46
	s_cbranch_execz .LBB6_4066
; %bb.4061:                             ;   in Loop: Header=BB6_3887 Depth=4
	v_bfe_u32 v86, v46, 23, 8
	v_and_b32_e32 v35, 0x7fffff, v46
                                        ; implicit-def: $vgpr88
	v_cmp_gt_u32_e64 s16, 0x79, v86
	v_sub_nc_u32_e32 v87, 0x78, v86
	v_cmp_eq_u32_e32 vcc_lo, 0, v86
	v_or_b32_e32 v60, 0x800000, v35
	v_cndmask_b32_e64 v87, 0, v87, s16
	v_cndmask_b32_e32 v35, v60, v35, vcc_lo
	v_cndmask_b32_e64 v87, v87, 0x77, vcc_lo
	v_lshl_add_u32 v60, 0x100000, v87, -1
	v_lshlrev_b32_e64 v74, v87, 0x80000
	v_and_b32_e32 v60, v60, v35
	v_cmp_eq_u32_e64 s16, v60, v74
	v_lshrrev_b32_e32 v74, v87, v35
	v_add_nc_u32_e32 v35, 0xffffff89, v86
	v_lshrrev_b32_e32 v86, 23, v74
	v_cndmask_b32_e64 v35, v35, 0xffffff8a, vcc_lo
	v_xor_b32_e32 v60, 1, v86
	v_bfe_u32 v86, v74, 20, 1
	v_add_nc_u32_e32 v35, v87, v35
	v_add_nc_u32_e32 v86, -1, v86
	v_cndmask_b32_e64 v86, 0, v86, s16
	s_mov_b32 s16, exec_lo
	v_add_nc_u32_e32 v86, v86, v74
	v_and_b32_e32 v86, 0xfffff, v86
	v_add_nc_u32_e32 v74, v86, v74
	v_cmpx_ne_u32_e64 v35, v60
	s_xor_b32 s16, exec_lo, s16
; %bb.4062:                             ;   in Loop: Header=BB6_3887 Depth=4
	v_cmp_lt_u32_e32 vcc_lo, 0xffffff, v74
	v_sub_nc_u32_e32 v35, v35, v60
	v_cndmask_b32_e64 v86, 0, 1, vcc_lo
	v_add_co_ci_u32_e64 v88, null, 0, v35, vcc_lo
	v_lshrrev_b32_e32 v74, v86, v74
; %bb.4063:                             ;   in Loop: Header=BB6_3887 Depth=4
	s_andn2_saveexec_b32 s16, s16
; %bb.4064:                             ;   in Loop: Header=BB6_3887 Depth=4
	v_bfe_u32 v88, v74, 23, 1
; %bb.4065:                             ;   in Loop: Header=BB6_3887 Depth=4
	s_or_b32 exec_lo, exec_lo, s16
	v_lshrrev_b32_e32 v86, 20, v74
	v_cmp_gt_i32_e32 vcc_lo, 16, v88
	v_min_i32_e32 v87, 15, v88
	v_and_b32_sdwa v35, v46, v62 dst_sel:DWORD dst_unused:UNUSED_PAD src0_sel:BYTE_3 src1_sel:DWORD
	v_cndmask_b32_e32 v86, 7, v86, vcc_lo
	v_lshlrev_b32_e32 v87, 3, v87
	v_or_b32_e32 v46, v88, v86
	v_and_b32_e32 v86, 7, v86
	v_cmp_ne_u32_e32 vcc_lo, 0, v46
	v_or3_b32 v35, v87, v35, v86
	v_cndmask_b32_e32 v35, 0, v35, vcc_lo
.LBB6_4066:                             ;   in Loop: Header=BB6_3887 Depth=4
	s_or_b32 exec_lo, exec_lo, s74
.LBB6_4067:                             ;   in Loop: Header=BB6_3887 Depth=4
	s_or_b32 exec_lo, exec_lo, s73
	v_cmp_gt_i16_sdwa s73, v123, v61 src0_sel:BYTE_0 src1_sel:DWORD
	s_andn2_b32 vcc_lo, exec_lo, s63
	s_mov_b32 s16, -1
                                        ; implicit-def: $vgpr46
	s_cbranch_vccnz .LBB6_4081
; %bb.4068:                             ;   in Loop: Header=BB6_3887 Depth=4
	s_mov_b32 s16, 0
	s_and_saveexec_b32 s74, s73
	s_xor_b32 s73, exec_lo, s74
	s_cbranch_execz .LBB6_5077
; %bb.4069:                             ;   in Loop: Header=BB6_3887 Depth=4
	v_cmp_eq_u16_sdwa s75, v123, v62 src0_sel:BYTE_0 src1_sel:DWORD
	s_mov_b32 s16, -1
	s_and_saveexec_b32 s74, s75
; %bb.4070:                             ;   in Loop: Header=BB6_3887 Depth=4
	s_xor_b32 s16, exec_lo, -1
; %bb.4071:                             ;   in Loop: Header=BB6_3887 Depth=4
	s_or_b32 exec_lo, exec_lo, s74
	s_and_b32 s16, s16, exec_lo
	s_or_saveexec_b32 s73, s73
	v_mov_b32_e32 v46, 0x7f800001
	s_xor_b32 exec_lo, exec_lo, s73
	s_cbranch_execnz .LBB6_5078
.LBB6_4072:                             ;   in Loop: Header=BB6_3887 Depth=4
	s_or_b32 exec_lo, exec_lo, s73
	s_and_saveexec_b32 s73, s16
	s_cbranch_execz .LBB6_4074
.LBB6_4073:                             ;   in Loop: Header=BB6_3887 Depth=4
	v_and_b32_e32 v86, 7, v123
	v_lshrrev_b16 v46, 3, v123
	v_lshlrev_b32_e32 v74, 24, v123
	v_ffbh_u32_e32 v87, v86
	v_and_b32_e32 v46, 15, v46
	v_min_u32_e32 v87, 32, v87
	v_cmp_eq_u32_e32 vcc_lo, 0, v46
	v_subrev_nc_u32_e32 v60, 28, v87
	v_sub_nc_u32_e32 v87, 29, v87
	v_lshlrev_b32_e32 v60, v60, v123
	v_cndmask_b32_e32 v87, v46, v87, vcc_lo
	v_and_b32_e32 v46, 0x80000000, v74
	v_and_b32_e32 v60, 7, v60
	v_lshl_add_u32 v87, v87, 23, 0x3b800000
	v_cndmask_b32_e32 v86, v86, v60, vcc_lo
	v_lshlrev_b32_e32 v86, 20, v86
	v_or3_b32 v46, v46, v87, v86
.LBB6_4074:                             ;   in Loop: Header=BB6_3887 Depth=4
	s_or_b32 exec_lo, exec_lo, s73
	s_waitcnt vmcnt(26) lgkmcnt(26)
	v_cmp_gt_i16_sdwa s73, v38, v61 src0_sel:BYTE_0 src1_sel:DWORD
	s_mov_b32 s16, 0
	s_and_saveexec_b32 s74, s73
	s_xor_b32 s73, exec_lo, s74
	s_cbranch_execz .LBB6_5079
; %bb.4075:                             ;   in Loop: Header=BB6_3887 Depth=4
	v_cmp_eq_u16_sdwa s75, v38, v62 src0_sel:BYTE_0 src1_sel:DWORD
	s_mov_b32 s16, -1
	s_and_saveexec_b32 s74, s75
; %bb.4076:                             ;   in Loop: Header=BB6_3887 Depth=4
	s_xor_b32 s16, exec_lo, -1
; %bb.4077:                             ;   in Loop: Header=BB6_3887 Depth=4
	s_or_b32 exec_lo, exec_lo, s74
	s_and_b32 s16, s16, exec_lo
	s_or_saveexec_b32 s73, s73
	v_mov_b32_e32 v86, 0x7f800001
	s_xor_b32 exec_lo, exec_lo, s73
	s_cbranch_execnz .LBB6_5080
.LBB6_4078:                             ;   in Loop: Header=BB6_3887 Depth=4
	s_or_b32 exec_lo, exec_lo, s73
	s_and_saveexec_b32 s73, s16
	s_cbranch_execz .LBB6_4080
.LBB6_4079:                             ;   in Loop: Header=BB6_3887 Depth=4
	v_and_b32_e32 v86, 7, v38
	v_lshrrev_b16 v60, 3, v38
	v_lshlrev_b32_e32 v88, 24, v38
	v_ffbh_u32_e32 v87, v86
	v_and_b32_e32 v60, 15, v60
	v_min_u32_e32 v87, 32, v87
	v_cmp_eq_u32_e32 vcc_lo, 0, v60
	v_subrev_nc_u32_e32 v74, 28, v87
	v_sub_nc_u32_e32 v87, 29, v87
	v_lshlrev_b32_e32 v74, v74, v38
	v_cndmask_b32_e32 v87, v60, v87, vcc_lo
	v_and_b32_e32 v60, 0x80000000, v88
	v_and_b32_e32 v74, 7, v74
	v_lshl_add_u32 v87, v87, 23, 0x3b800000
	v_cndmask_b32_e32 v86, v86, v74, vcc_lo
	v_lshlrev_b32_e32 v86, 20, v86
	v_or3_b32 v86, v60, v87, v86
.LBB6_4080:                             ;   in Loop: Header=BB6_3887 Depth=4
	s_or_b32 exec_lo, exec_lo, s73
	v_max_f32_e32 v86, v86, v86
	v_max_f32_e32 v87, v46, v46
	s_mov_b32 s16, 0
	v_max_f32_e32 v46, v87, v86
.LBB6_4081:                             ;   in Loop: Header=BB6_3887 Depth=4
	s_and_b32 vcc_lo, exec_lo, s16
	s_cbranch_vccz .LBB6_4095
; %bb.4082:                             ;   in Loop: Header=BB6_3887 Depth=4
	v_cmp_gt_i16_sdwa s73, v123, v61 src0_sel:BYTE_0 src1_sel:DWORD
	s_mov_b32 s16, 0
	s_and_saveexec_b32 s74, s73
	s_xor_b32 s73, exec_lo, s74
	s_cbranch_execz .LBB6_5081
; %bb.4083:                             ;   in Loop: Header=BB6_3887 Depth=4
	v_cmp_eq_u16_sdwa s75, v123, v62 src0_sel:BYTE_0 src1_sel:DWORD
	s_mov_b32 s16, -1
	s_and_saveexec_b32 s74, s75
; %bb.4084:                             ;   in Loop: Header=BB6_3887 Depth=4
	s_xor_b32 s16, exec_lo, -1
; %bb.4085:                             ;   in Loop: Header=BB6_3887 Depth=4
	s_or_b32 exec_lo, exec_lo, s74
	s_and_b32 s16, s16, exec_lo
	s_or_saveexec_b32 s73, s73
	v_mov_b32_e32 v46, 0x7f800001
	s_xor_b32 exec_lo, exec_lo, s73
	s_cbranch_execnz .LBB6_5082
.LBB6_4086:                             ;   in Loop: Header=BB6_3887 Depth=4
	s_or_b32 exec_lo, exec_lo, s73
	s_and_saveexec_b32 s73, s16
	s_cbranch_execz .LBB6_4088
.LBB6_4087:                             ;   in Loop: Header=BB6_3887 Depth=4
	v_and_b32_e32 v86, 7, v123
	v_lshrrev_b16 v46, 3, v123
	v_lshlrev_b32_e32 v74, 24, v123
	v_ffbh_u32_e32 v87, v86
	v_and_b32_e32 v46, 15, v46
	v_min_u32_e32 v87, 32, v87
	v_cmp_eq_u32_e32 vcc_lo, 0, v46
	v_subrev_nc_u32_e32 v60, 28, v87
	v_sub_nc_u32_e32 v87, 29, v87
	v_lshlrev_b32_e32 v60, v60, v123
	v_cndmask_b32_e32 v87, v46, v87, vcc_lo
	v_and_b32_e32 v46, 0x80000000, v74
	v_and_b32_e32 v60, 7, v60
	v_lshl_add_u32 v87, v87, 23, 0x3b800000
	v_cndmask_b32_e32 v86, v86, v60, vcc_lo
	v_lshlrev_b32_e32 v86, 20, v86
	v_or3_b32 v46, v46, v87, v86
.LBB6_4088:                             ;   in Loop: Header=BB6_3887 Depth=4
	s_or_b32 exec_lo, exec_lo, s73
	s_waitcnt vmcnt(26) lgkmcnt(26)
	v_cmp_gt_i16_sdwa s73, v38, v61 src0_sel:BYTE_0 src1_sel:DWORD
	s_mov_b32 s16, 0
	s_and_saveexec_b32 s74, s73
	s_xor_b32 s73, exec_lo, s74
	s_cbranch_execz .LBB6_5083
; %bb.4089:                             ;   in Loop: Header=BB6_3887 Depth=4
	v_cmp_eq_u16_sdwa s75, v38, v62 src0_sel:BYTE_0 src1_sel:DWORD
	s_mov_b32 s16, -1
	s_and_saveexec_b32 s74, s75
; %bb.4090:                             ;   in Loop: Header=BB6_3887 Depth=4
	s_xor_b32 s16, exec_lo, -1
; %bb.4091:                             ;   in Loop: Header=BB6_3887 Depth=4
	s_or_b32 exec_lo, exec_lo, s74
	s_and_b32 s16, s16, exec_lo
	s_or_saveexec_b32 s73, s73
	v_mov_b32_e32 v86, 0x7f800001
	s_xor_b32 exec_lo, exec_lo, s73
	s_cbranch_execnz .LBB6_5084
.LBB6_4092:                             ;   in Loop: Header=BB6_3887 Depth=4
	s_or_b32 exec_lo, exec_lo, s73
	s_and_saveexec_b32 s73, s16
	s_cbranch_execz .LBB6_4094
.LBB6_4093:                             ;   in Loop: Header=BB6_3887 Depth=4
	v_and_b32_e32 v86, 7, v38
	v_lshrrev_b16 v60, 3, v38
	v_ffbh_u32_e32 v87, v86
	v_and_b32_e32 v60, 15, v60
	v_min_u32_e32 v87, 32, v87
	v_cmp_eq_u32_e32 vcc_lo, 0, v60
	v_subrev_nc_u32_e32 v74, 28, v87
	v_sub_nc_u32_e32 v87, 29, v87
	v_lshlrev_b32_e32 v74, v74, v38
	v_lshlrev_b32_e32 v38, 24, v38
	v_cndmask_b32_e32 v87, v60, v87, vcc_lo
	v_and_b32_e32 v74, 7, v74
	v_and_b32_e32 v38, 0x80000000, v38
	v_lshl_add_u32 v87, v87, 23, 0x3b800000
	v_cndmask_b32_e32 v86, v86, v74, vcc_lo
	v_lshlrev_b32_e32 v86, 20, v86
	v_or3_b32 v86, v38, v87, v86
.LBB6_4094:                             ;   in Loop: Header=BB6_3887 Depth=4
	s_or_b32 exec_lo, exec_lo, s73
	v_max_f32_e32 v38, v86, v86
	v_max_f32_e32 v86, v46, v46
	v_min_f32_e32 v46, v86, v38
.LBB6_4095:                             ;   in Loop: Header=BB6_3887 Depth=4
	s_waitcnt vmcnt(26) lgkmcnt(26)
	v_and_b32_e32 v38, 0x7f800000, v46
	v_cmp_ne_u32_e32 vcc_lo, 0x7f800000, v38
	v_mov_b32_e32 v38, 0x80
	s_and_saveexec_b32 s73, vcc_lo
	s_cbranch_execz .LBB6_4103
; %bb.4096:                             ;   in Loop: Header=BB6_3887 Depth=4
	v_mov_b32_e32 v38, 0
	s_mov_b32 s74, exec_lo
	v_cmpx_ne_u32_e32 0, v46
	s_cbranch_execz .LBB6_4102
; %bb.4097:                             ;   in Loop: Header=BB6_3887 Depth=4
	v_bfe_u32 v86, v46, 23, 8
	v_and_b32_e32 v38, 0x7fffff, v46
                                        ; implicit-def: $vgpr88
	v_cmp_gt_u32_e64 s16, 0x79, v86
	v_sub_nc_u32_e32 v87, 0x78, v86
	v_cmp_eq_u32_e32 vcc_lo, 0, v86
	v_or_b32_e32 v60, 0x800000, v38
	v_cndmask_b32_e64 v87, 0, v87, s16
	v_cndmask_b32_e32 v38, v60, v38, vcc_lo
	v_cndmask_b32_e64 v87, v87, 0x77, vcc_lo
	v_lshl_add_u32 v60, 0x100000, v87, -1
	v_lshlrev_b32_e64 v74, v87, 0x80000
	v_and_b32_e32 v60, v60, v38
	v_cmp_eq_u32_e64 s16, v60, v74
	v_lshrrev_b32_e32 v74, v87, v38
	v_add_nc_u32_e32 v38, 0xffffff89, v86
	v_lshrrev_b32_e32 v86, 23, v74
	v_cndmask_b32_e64 v38, v38, 0xffffff8a, vcc_lo
	v_xor_b32_e32 v60, 1, v86
	v_bfe_u32 v86, v74, 20, 1
	v_add_nc_u32_e32 v38, v87, v38
	v_add_nc_u32_e32 v86, -1, v86
	v_cndmask_b32_e64 v86, 0, v86, s16
	s_mov_b32 s16, exec_lo
	v_add_nc_u32_e32 v86, v86, v74
	v_and_b32_e32 v86, 0xfffff, v86
	v_add_nc_u32_e32 v74, v86, v74
	v_cmpx_ne_u32_e64 v38, v60
	s_xor_b32 s16, exec_lo, s16
; %bb.4098:                             ;   in Loop: Header=BB6_3887 Depth=4
	v_cmp_lt_u32_e32 vcc_lo, 0xffffff, v74
	v_sub_nc_u32_e32 v38, v38, v60
	v_cndmask_b32_e64 v86, 0, 1, vcc_lo
	v_add_co_ci_u32_e64 v88, null, 0, v38, vcc_lo
	v_lshrrev_b32_e32 v74, v86, v74
; %bb.4099:                             ;   in Loop: Header=BB6_3887 Depth=4
	s_andn2_saveexec_b32 s16, s16
; %bb.4100:                             ;   in Loop: Header=BB6_3887 Depth=4
	v_bfe_u32 v88, v74, 23, 1
; %bb.4101:                             ;   in Loop: Header=BB6_3887 Depth=4
	s_or_b32 exec_lo, exec_lo, s16
	v_lshrrev_b32_e32 v86, 20, v74
	v_cmp_gt_i32_e32 vcc_lo, 16, v88
	v_min_i32_e32 v87, 15, v88
	v_and_b32_sdwa v38, v46, v62 dst_sel:DWORD dst_unused:UNUSED_PAD src0_sel:BYTE_3 src1_sel:DWORD
	v_cndmask_b32_e32 v86, 7, v86, vcc_lo
	v_lshlrev_b32_e32 v87, 3, v87
	v_or_b32_e32 v46, v88, v86
	v_and_b32_e32 v86, 7, v86
	v_cmp_ne_u32_e32 vcc_lo, 0, v46
	v_or3_b32 v38, v87, v38, v86
	v_cndmask_b32_e32 v38, 0, v38, vcc_lo
.LBB6_4102:                             ;   in Loop: Header=BB6_3887 Depth=4
	s_or_b32 exec_lo, exec_lo, s74
.LBB6_4103:                             ;   in Loop: Header=BB6_3887 Depth=4
	s_or_b32 exec_lo, exec_lo, s73
	v_cmp_gt_i16_sdwa s73, v122, v61 src0_sel:BYTE_0 src1_sel:DWORD
	s_andn2_b32 vcc_lo, exec_lo, s63
	s_mov_b32 s16, -1
                                        ; implicit-def: $vgpr46
	s_cbranch_vccnz .LBB6_4117
; %bb.4104:                             ;   in Loop: Header=BB6_3887 Depth=4
	s_mov_b32 s16, 0
	s_and_saveexec_b32 s74, s73
	s_xor_b32 s73, exec_lo, s74
	s_cbranch_execz .LBB6_5085
; %bb.4105:                             ;   in Loop: Header=BB6_3887 Depth=4
	v_cmp_eq_u16_sdwa s75, v122, v62 src0_sel:BYTE_0 src1_sel:DWORD
	s_mov_b32 s16, -1
	s_and_saveexec_b32 s74, s75
; %bb.4106:                             ;   in Loop: Header=BB6_3887 Depth=4
	s_xor_b32 s16, exec_lo, -1
; %bb.4107:                             ;   in Loop: Header=BB6_3887 Depth=4
	s_or_b32 exec_lo, exec_lo, s74
	s_and_b32 s16, s16, exec_lo
	s_or_saveexec_b32 s73, s73
	v_mov_b32_e32 v46, 0x7f800001
	s_xor_b32 exec_lo, exec_lo, s73
	s_cbranch_execnz .LBB6_5086
.LBB6_4108:                             ;   in Loop: Header=BB6_3887 Depth=4
	s_or_b32 exec_lo, exec_lo, s73
	s_and_saveexec_b32 s73, s16
	s_cbranch_execz .LBB6_4110
.LBB6_4109:                             ;   in Loop: Header=BB6_3887 Depth=4
	v_and_b32_e32 v86, 7, v122
	v_lshrrev_b16 v46, 3, v122
	v_lshlrev_b32_e32 v74, 24, v122
	v_ffbh_u32_e32 v87, v86
	v_and_b32_e32 v46, 15, v46
	v_min_u32_e32 v87, 32, v87
	v_cmp_eq_u32_e32 vcc_lo, 0, v46
	v_subrev_nc_u32_e32 v60, 28, v87
	v_sub_nc_u32_e32 v87, 29, v87
	v_lshlrev_b32_e32 v60, v60, v122
	v_cndmask_b32_e32 v87, v46, v87, vcc_lo
	v_and_b32_e32 v46, 0x80000000, v74
	v_and_b32_e32 v60, 7, v60
	v_lshl_add_u32 v87, v87, 23, 0x3b800000
	v_cndmask_b32_e32 v86, v86, v60, vcc_lo
	v_lshlrev_b32_e32 v86, 20, v86
	v_or3_b32 v46, v46, v87, v86
.LBB6_4110:                             ;   in Loop: Header=BB6_3887 Depth=4
	s_or_b32 exec_lo, exec_lo, s73
	s_waitcnt vmcnt(25) lgkmcnt(25)
	v_cmp_gt_i16_sdwa s73, v49, v61 src0_sel:BYTE_0 src1_sel:DWORD
	s_mov_b32 s16, 0
	s_and_saveexec_b32 s74, s73
	s_xor_b32 s73, exec_lo, s74
	s_cbranch_execz .LBB6_5087
; %bb.4111:                             ;   in Loop: Header=BB6_3887 Depth=4
	v_cmp_eq_u16_sdwa s75, v49, v62 src0_sel:BYTE_0 src1_sel:DWORD
	s_mov_b32 s16, -1
	s_and_saveexec_b32 s74, s75
; %bb.4112:                             ;   in Loop: Header=BB6_3887 Depth=4
	s_xor_b32 s16, exec_lo, -1
; %bb.4113:                             ;   in Loop: Header=BB6_3887 Depth=4
	s_or_b32 exec_lo, exec_lo, s74
	s_and_b32 s16, s16, exec_lo
	s_or_saveexec_b32 s73, s73
	v_mov_b32_e32 v86, 0x7f800001
	s_xor_b32 exec_lo, exec_lo, s73
	s_cbranch_execnz .LBB6_5088
.LBB6_4114:                             ;   in Loop: Header=BB6_3887 Depth=4
	s_or_b32 exec_lo, exec_lo, s73
	s_and_saveexec_b32 s73, s16
	s_cbranch_execz .LBB6_4116
.LBB6_4115:                             ;   in Loop: Header=BB6_3887 Depth=4
	v_and_b32_e32 v86, 7, v49
	v_lshrrev_b16 v60, 3, v49
	v_lshlrev_b32_e32 v88, 24, v49
	v_ffbh_u32_e32 v87, v86
	v_and_b32_e32 v60, 15, v60
	v_min_u32_e32 v87, 32, v87
	v_cmp_eq_u32_e32 vcc_lo, 0, v60
	v_subrev_nc_u32_e32 v74, 28, v87
	v_sub_nc_u32_e32 v87, 29, v87
	v_lshlrev_b32_e32 v74, v74, v49
	v_cndmask_b32_e32 v87, v60, v87, vcc_lo
	v_and_b32_e32 v60, 0x80000000, v88
	v_and_b32_e32 v74, 7, v74
	v_lshl_add_u32 v87, v87, 23, 0x3b800000
	v_cndmask_b32_e32 v86, v86, v74, vcc_lo
	v_lshlrev_b32_e32 v86, 20, v86
	v_or3_b32 v86, v60, v87, v86
.LBB6_4116:                             ;   in Loop: Header=BB6_3887 Depth=4
	s_or_b32 exec_lo, exec_lo, s73
	v_max_f32_e32 v86, v86, v86
	v_max_f32_e32 v87, v46, v46
	s_mov_b32 s16, 0
	v_max_f32_e32 v46, v87, v86
.LBB6_4117:                             ;   in Loop: Header=BB6_3887 Depth=4
	s_and_b32 vcc_lo, exec_lo, s16
	s_cbranch_vccz .LBB6_4131
; %bb.4118:                             ;   in Loop: Header=BB6_3887 Depth=4
	v_cmp_gt_i16_sdwa s73, v122, v61 src0_sel:BYTE_0 src1_sel:DWORD
	s_mov_b32 s16, 0
	s_and_saveexec_b32 s74, s73
	s_xor_b32 s73, exec_lo, s74
	s_cbranch_execz .LBB6_5089
; %bb.4119:                             ;   in Loop: Header=BB6_3887 Depth=4
	v_cmp_eq_u16_sdwa s75, v122, v62 src0_sel:BYTE_0 src1_sel:DWORD
	s_mov_b32 s16, -1
	s_and_saveexec_b32 s74, s75
; %bb.4120:                             ;   in Loop: Header=BB6_3887 Depth=4
	s_xor_b32 s16, exec_lo, -1
; %bb.4121:                             ;   in Loop: Header=BB6_3887 Depth=4
	s_or_b32 exec_lo, exec_lo, s74
	s_and_b32 s16, s16, exec_lo
	s_or_saveexec_b32 s73, s73
	v_mov_b32_e32 v46, 0x7f800001
	s_xor_b32 exec_lo, exec_lo, s73
	s_cbranch_execnz .LBB6_5090
.LBB6_4122:                             ;   in Loop: Header=BB6_3887 Depth=4
	s_or_b32 exec_lo, exec_lo, s73
	s_and_saveexec_b32 s73, s16
	s_cbranch_execz .LBB6_4124
.LBB6_4123:                             ;   in Loop: Header=BB6_3887 Depth=4
	v_and_b32_e32 v86, 7, v122
	v_lshrrev_b16 v46, 3, v122
	v_lshlrev_b32_e32 v74, 24, v122
	v_ffbh_u32_e32 v87, v86
	v_and_b32_e32 v46, 15, v46
	v_min_u32_e32 v87, 32, v87
	v_cmp_eq_u32_e32 vcc_lo, 0, v46
	v_subrev_nc_u32_e32 v60, 28, v87
	v_sub_nc_u32_e32 v87, 29, v87
	v_lshlrev_b32_e32 v60, v60, v122
	v_cndmask_b32_e32 v87, v46, v87, vcc_lo
	v_and_b32_e32 v46, 0x80000000, v74
	v_and_b32_e32 v60, 7, v60
	v_lshl_add_u32 v87, v87, 23, 0x3b800000
	v_cndmask_b32_e32 v86, v86, v60, vcc_lo
	v_lshlrev_b32_e32 v86, 20, v86
	v_or3_b32 v46, v46, v87, v86
.LBB6_4124:                             ;   in Loop: Header=BB6_3887 Depth=4
	s_or_b32 exec_lo, exec_lo, s73
	s_waitcnt vmcnt(25) lgkmcnt(25)
	v_cmp_gt_i16_sdwa s73, v49, v61 src0_sel:BYTE_0 src1_sel:DWORD
	s_mov_b32 s16, 0
	s_and_saveexec_b32 s74, s73
	s_xor_b32 s73, exec_lo, s74
	s_cbranch_execz .LBB6_5091
; %bb.4125:                             ;   in Loop: Header=BB6_3887 Depth=4
	v_cmp_eq_u16_sdwa s75, v49, v62 src0_sel:BYTE_0 src1_sel:DWORD
	s_mov_b32 s16, -1
	s_and_saveexec_b32 s74, s75
; %bb.4126:                             ;   in Loop: Header=BB6_3887 Depth=4
	s_xor_b32 s16, exec_lo, -1
; %bb.4127:                             ;   in Loop: Header=BB6_3887 Depth=4
	s_or_b32 exec_lo, exec_lo, s74
	s_and_b32 s16, s16, exec_lo
	s_or_saveexec_b32 s73, s73
	v_mov_b32_e32 v86, 0x7f800001
	s_xor_b32 exec_lo, exec_lo, s73
	s_cbranch_execnz .LBB6_5092
.LBB6_4128:                             ;   in Loop: Header=BB6_3887 Depth=4
	s_or_b32 exec_lo, exec_lo, s73
	s_and_saveexec_b32 s73, s16
	s_cbranch_execz .LBB6_4130
.LBB6_4129:                             ;   in Loop: Header=BB6_3887 Depth=4
	v_and_b32_e32 v86, 7, v49
	v_lshrrev_b16 v60, 3, v49
	v_ffbh_u32_e32 v87, v86
	v_and_b32_e32 v60, 15, v60
	v_min_u32_e32 v87, 32, v87
	v_cmp_eq_u32_e32 vcc_lo, 0, v60
	v_subrev_nc_u32_e32 v74, 28, v87
	v_sub_nc_u32_e32 v87, 29, v87
	v_lshlrev_b32_e32 v74, v74, v49
	v_lshlrev_b32_e32 v49, 24, v49
	v_cndmask_b32_e32 v87, v60, v87, vcc_lo
	v_and_b32_e32 v74, 7, v74
	v_and_b32_e32 v49, 0x80000000, v49
	v_lshl_add_u32 v87, v87, 23, 0x3b800000
	v_cndmask_b32_e32 v86, v86, v74, vcc_lo
	v_lshlrev_b32_e32 v86, 20, v86
	v_or3_b32 v86, v49, v87, v86
.LBB6_4130:                             ;   in Loop: Header=BB6_3887 Depth=4
	s_or_b32 exec_lo, exec_lo, s73
	v_max_f32_e32 v49, v86, v86
	v_max_f32_e32 v86, v46, v46
	v_min_f32_e32 v46, v86, v49
.LBB6_4131:                             ;   in Loop: Header=BB6_3887 Depth=4
	s_waitcnt vmcnt(25) lgkmcnt(25)
	v_and_b32_e32 v49, 0x7f800000, v46
	v_cmp_ne_u32_e32 vcc_lo, 0x7f800000, v49
	v_mov_b32_e32 v49, 0x80
	s_and_saveexec_b32 s73, vcc_lo
	s_cbranch_execz .LBB6_4139
; %bb.4132:                             ;   in Loop: Header=BB6_3887 Depth=4
	v_mov_b32_e32 v49, 0
	s_mov_b32 s74, exec_lo
	v_cmpx_ne_u32_e32 0, v46
	s_cbranch_execz .LBB6_4138
; %bb.4133:                             ;   in Loop: Header=BB6_3887 Depth=4
	v_bfe_u32 v86, v46, 23, 8
	v_and_b32_e32 v49, 0x7fffff, v46
                                        ; implicit-def: $vgpr88
	v_cmp_gt_u32_e64 s16, 0x79, v86
	v_sub_nc_u32_e32 v87, 0x78, v86
	v_cmp_eq_u32_e32 vcc_lo, 0, v86
	v_or_b32_e32 v60, 0x800000, v49
	v_cndmask_b32_e64 v87, 0, v87, s16
	v_cndmask_b32_e32 v49, v60, v49, vcc_lo
	v_cndmask_b32_e64 v87, v87, 0x77, vcc_lo
	v_lshl_add_u32 v60, 0x100000, v87, -1
	v_lshlrev_b32_e64 v74, v87, 0x80000
	v_and_b32_e32 v60, v60, v49
	v_cmp_eq_u32_e64 s16, v60, v74
	v_lshrrev_b32_e32 v74, v87, v49
	v_add_nc_u32_e32 v49, 0xffffff89, v86
	v_lshrrev_b32_e32 v86, 23, v74
	v_cndmask_b32_e64 v49, v49, 0xffffff8a, vcc_lo
	v_xor_b32_e32 v60, 1, v86
	v_bfe_u32 v86, v74, 20, 1
	v_add_nc_u32_e32 v49, v87, v49
	v_add_nc_u32_e32 v86, -1, v86
	v_cndmask_b32_e64 v86, 0, v86, s16
	s_mov_b32 s16, exec_lo
	v_add_nc_u32_e32 v86, v86, v74
	v_and_b32_e32 v86, 0xfffff, v86
	v_add_nc_u32_e32 v74, v86, v74
	v_cmpx_ne_u32_e64 v49, v60
	s_xor_b32 s16, exec_lo, s16
; %bb.4134:                             ;   in Loop: Header=BB6_3887 Depth=4
	v_cmp_lt_u32_e32 vcc_lo, 0xffffff, v74
	v_sub_nc_u32_e32 v49, v49, v60
	v_cndmask_b32_e64 v86, 0, 1, vcc_lo
	v_add_co_ci_u32_e64 v88, null, 0, v49, vcc_lo
	v_lshrrev_b32_e32 v74, v86, v74
; %bb.4135:                             ;   in Loop: Header=BB6_3887 Depth=4
	s_andn2_saveexec_b32 s16, s16
; %bb.4136:                             ;   in Loop: Header=BB6_3887 Depth=4
	v_bfe_u32 v88, v74, 23, 1
; %bb.4137:                             ;   in Loop: Header=BB6_3887 Depth=4
	s_or_b32 exec_lo, exec_lo, s16
	v_lshrrev_b32_e32 v86, 20, v74
	v_cmp_gt_i32_e32 vcc_lo, 16, v88
	v_min_i32_e32 v87, 15, v88
	v_and_b32_sdwa v49, v46, v62 dst_sel:DWORD dst_unused:UNUSED_PAD src0_sel:BYTE_3 src1_sel:DWORD
	v_cndmask_b32_e32 v86, 7, v86, vcc_lo
	v_lshlrev_b32_e32 v87, 3, v87
	v_or_b32_e32 v46, v88, v86
	v_and_b32_e32 v86, 7, v86
	v_cmp_ne_u32_e32 vcc_lo, 0, v46
	v_or3_b32 v49, v87, v49, v86
	v_cndmask_b32_e32 v49, 0, v49, vcc_lo
.LBB6_4138:                             ;   in Loop: Header=BB6_3887 Depth=4
	s_or_b32 exec_lo, exec_lo, s74
.LBB6_4139:                             ;   in Loop: Header=BB6_3887 Depth=4
	s_or_b32 exec_lo, exec_lo, s73
	v_cmp_gt_i16_sdwa s73, v121, v61 src0_sel:BYTE_0 src1_sel:DWORD
	s_andn2_b32 vcc_lo, exec_lo, s63
	s_mov_b32 s16, -1
                                        ; implicit-def: $vgpr46
	s_cbranch_vccnz .LBB6_4153
; %bb.4140:                             ;   in Loop: Header=BB6_3887 Depth=4
	s_mov_b32 s16, 0
	s_and_saveexec_b32 s74, s73
	s_xor_b32 s73, exec_lo, s74
	s_cbranch_execz .LBB6_5093
; %bb.4141:                             ;   in Loop: Header=BB6_3887 Depth=4
	v_cmp_eq_u16_sdwa s75, v121, v62 src0_sel:BYTE_0 src1_sel:DWORD
	s_mov_b32 s16, -1
	s_and_saveexec_b32 s74, s75
; %bb.4142:                             ;   in Loop: Header=BB6_3887 Depth=4
	s_xor_b32 s16, exec_lo, -1
; %bb.4143:                             ;   in Loop: Header=BB6_3887 Depth=4
	s_or_b32 exec_lo, exec_lo, s74
	s_and_b32 s16, s16, exec_lo
	s_or_saveexec_b32 s73, s73
	v_mov_b32_e32 v46, 0x7f800001
	s_xor_b32 exec_lo, exec_lo, s73
	s_cbranch_execnz .LBB6_5094
.LBB6_4144:                             ;   in Loop: Header=BB6_3887 Depth=4
	s_or_b32 exec_lo, exec_lo, s73
	s_and_saveexec_b32 s73, s16
	s_cbranch_execz .LBB6_4146
.LBB6_4145:                             ;   in Loop: Header=BB6_3887 Depth=4
	v_and_b32_e32 v86, 7, v121
	v_lshrrev_b16 v46, 3, v121
	v_lshlrev_b32_e32 v74, 24, v121
	v_ffbh_u32_e32 v87, v86
	v_and_b32_e32 v46, 15, v46
	v_min_u32_e32 v87, 32, v87
	v_cmp_eq_u32_e32 vcc_lo, 0, v46
	v_subrev_nc_u32_e32 v60, 28, v87
	v_sub_nc_u32_e32 v87, 29, v87
	v_lshlrev_b32_e32 v60, v60, v121
	v_cndmask_b32_e32 v87, v46, v87, vcc_lo
	v_and_b32_e32 v46, 0x80000000, v74
	v_and_b32_e32 v60, 7, v60
	v_lshl_add_u32 v87, v87, 23, 0x3b800000
	v_cndmask_b32_e32 v86, v86, v60, vcc_lo
	v_lshlrev_b32_e32 v86, 20, v86
	v_or3_b32 v46, v46, v87, v86
.LBB6_4146:                             ;   in Loop: Header=BB6_3887 Depth=4
	s_or_b32 exec_lo, exec_lo, s73
	s_waitcnt vmcnt(24) lgkmcnt(24)
	v_cmp_gt_i16_sdwa s73, v51, v61 src0_sel:BYTE_0 src1_sel:DWORD
	s_mov_b32 s16, 0
	s_and_saveexec_b32 s74, s73
	s_xor_b32 s73, exec_lo, s74
	s_cbranch_execz .LBB6_5095
; %bb.4147:                             ;   in Loop: Header=BB6_3887 Depth=4
	v_cmp_eq_u16_sdwa s75, v51, v62 src0_sel:BYTE_0 src1_sel:DWORD
	s_mov_b32 s16, -1
	s_and_saveexec_b32 s74, s75
; %bb.4148:                             ;   in Loop: Header=BB6_3887 Depth=4
	s_xor_b32 s16, exec_lo, -1
; %bb.4149:                             ;   in Loop: Header=BB6_3887 Depth=4
	s_or_b32 exec_lo, exec_lo, s74
	s_and_b32 s16, s16, exec_lo
	s_or_saveexec_b32 s73, s73
	v_mov_b32_e32 v86, 0x7f800001
	s_xor_b32 exec_lo, exec_lo, s73
	s_cbranch_execnz .LBB6_5096
.LBB6_4150:                             ;   in Loop: Header=BB6_3887 Depth=4
	s_or_b32 exec_lo, exec_lo, s73
	s_and_saveexec_b32 s73, s16
	s_cbranch_execz .LBB6_4152
.LBB6_4151:                             ;   in Loop: Header=BB6_3887 Depth=4
	v_and_b32_e32 v86, 7, v51
	v_lshrrev_b16 v60, 3, v51
	v_lshlrev_b32_e32 v88, 24, v51
	v_ffbh_u32_e32 v87, v86
	v_and_b32_e32 v60, 15, v60
	v_min_u32_e32 v87, 32, v87
	v_cmp_eq_u32_e32 vcc_lo, 0, v60
	v_subrev_nc_u32_e32 v74, 28, v87
	v_sub_nc_u32_e32 v87, 29, v87
	v_lshlrev_b32_e32 v74, v74, v51
	v_cndmask_b32_e32 v87, v60, v87, vcc_lo
	v_and_b32_e32 v60, 0x80000000, v88
	v_and_b32_e32 v74, 7, v74
	v_lshl_add_u32 v87, v87, 23, 0x3b800000
	v_cndmask_b32_e32 v86, v86, v74, vcc_lo
	v_lshlrev_b32_e32 v86, 20, v86
	v_or3_b32 v86, v60, v87, v86
.LBB6_4152:                             ;   in Loop: Header=BB6_3887 Depth=4
	s_or_b32 exec_lo, exec_lo, s73
	v_max_f32_e32 v86, v86, v86
	v_max_f32_e32 v87, v46, v46
	s_mov_b32 s16, 0
	v_max_f32_e32 v46, v87, v86
.LBB6_4153:                             ;   in Loop: Header=BB6_3887 Depth=4
	s_and_b32 vcc_lo, exec_lo, s16
	s_cbranch_vccz .LBB6_4167
; %bb.4154:                             ;   in Loop: Header=BB6_3887 Depth=4
	v_cmp_gt_i16_sdwa s73, v121, v61 src0_sel:BYTE_0 src1_sel:DWORD
	s_mov_b32 s16, 0
	s_and_saveexec_b32 s74, s73
	s_xor_b32 s73, exec_lo, s74
	s_cbranch_execz .LBB6_5097
; %bb.4155:                             ;   in Loop: Header=BB6_3887 Depth=4
	v_cmp_eq_u16_sdwa s75, v121, v62 src0_sel:BYTE_0 src1_sel:DWORD
	s_mov_b32 s16, -1
	s_and_saveexec_b32 s74, s75
; %bb.4156:                             ;   in Loop: Header=BB6_3887 Depth=4
	s_xor_b32 s16, exec_lo, -1
; %bb.4157:                             ;   in Loop: Header=BB6_3887 Depth=4
	s_or_b32 exec_lo, exec_lo, s74
	s_and_b32 s16, s16, exec_lo
	s_or_saveexec_b32 s73, s73
	v_mov_b32_e32 v46, 0x7f800001
	s_xor_b32 exec_lo, exec_lo, s73
	s_cbranch_execnz .LBB6_5098
.LBB6_4158:                             ;   in Loop: Header=BB6_3887 Depth=4
	s_or_b32 exec_lo, exec_lo, s73
	s_and_saveexec_b32 s73, s16
	s_cbranch_execz .LBB6_4160
.LBB6_4159:                             ;   in Loop: Header=BB6_3887 Depth=4
	v_and_b32_e32 v86, 7, v121
	v_lshrrev_b16 v46, 3, v121
	v_lshlrev_b32_e32 v74, 24, v121
	v_ffbh_u32_e32 v87, v86
	v_and_b32_e32 v46, 15, v46
	v_min_u32_e32 v87, 32, v87
	v_cmp_eq_u32_e32 vcc_lo, 0, v46
	v_subrev_nc_u32_e32 v60, 28, v87
	v_sub_nc_u32_e32 v87, 29, v87
	v_lshlrev_b32_e32 v60, v60, v121
	v_cndmask_b32_e32 v87, v46, v87, vcc_lo
	v_and_b32_e32 v46, 0x80000000, v74
	v_and_b32_e32 v60, 7, v60
	v_lshl_add_u32 v87, v87, 23, 0x3b800000
	v_cndmask_b32_e32 v86, v86, v60, vcc_lo
	v_lshlrev_b32_e32 v86, 20, v86
	v_or3_b32 v46, v46, v87, v86
.LBB6_4160:                             ;   in Loop: Header=BB6_3887 Depth=4
	s_or_b32 exec_lo, exec_lo, s73
	s_waitcnt vmcnt(24) lgkmcnt(24)
	v_cmp_gt_i16_sdwa s73, v51, v61 src0_sel:BYTE_0 src1_sel:DWORD
	s_mov_b32 s16, 0
	s_and_saveexec_b32 s74, s73
	s_xor_b32 s73, exec_lo, s74
	s_cbranch_execz .LBB6_5099
; %bb.4161:                             ;   in Loop: Header=BB6_3887 Depth=4
	v_cmp_eq_u16_sdwa s75, v51, v62 src0_sel:BYTE_0 src1_sel:DWORD
	s_mov_b32 s16, -1
	s_and_saveexec_b32 s74, s75
; %bb.4162:                             ;   in Loop: Header=BB6_3887 Depth=4
	s_xor_b32 s16, exec_lo, -1
; %bb.4163:                             ;   in Loop: Header=BB6_3887 Depth=4
	s_or_b32 exec_lo, exec_lo, s74
	s_and_b32 s16, s16, exec_lo
	s_or_saveexec_b32 s73, s73
	v_mov_b32_e32 v86, 0x7f800001
	s_xor_b32 exec_lo, exec_lo, s73
	s_cbranch_execnz .LBB6_5100
.LBB6_4164:                             ;   in Loop: Header=BB6_3887 Depth=4
	s_or_b32 exec_lo, exec_lo, s73
	s_and_saveexec_b32 s73, s16
	s_cbranch_execz .LBB6_4166
.LBB6_4165:                             ;   in Loop: Header=BB6_3887 Depth=4
	v_and_b32_e32 v86, 7, v51
	v_lshrrev_b16 v60, 3, v51
	v_ffbh_u32_e32 v87, v86
	v_and_b32_e32 v60, 15, v60
	v_min_u32_e32 v87, 32, v87
	v_cmp_eq_u32_e32 vcc_lo, 0, v60
	v_subrev_nc_u32_e32 v74, 28, v87
	v_sub_nc_u32_e32 v87, 29, v87
	v_lshlrev_b32_e32 v74, v74, v51
	v_lshlrev_b32_e32 v51, 24, v51
	v_cndmask_b32_e32 v87, v60, v87, vcc_lo
	v_and_b32_e32 v74, 7, v74
	v_and_b32_e32 v51, 0x80000000, v51
	v_lshl_add_u32 v87, v87, 23, 0x3b800000
	v_cndmask_b32_e32 v86, v86, v74, vcc_lo
	v_lshlrev_b32_e32 v86, 20, v86
	v_or3_b32 v86, v51, v87, v86
.LBB6_4166:                             ;   in Loop: Header=BB6_3887 Depth=4
	s_or_b32 exec_lo, exec_lo, s73
	v_max_f32_e32 v51, v86, v86
	v_max_f32_e32 v86, v46, v46
	v_min_f32_e32 v46, v86, v51
.LBB6_4167:                             ;   in Loop: Header=BB6_3887 Depth=4
	s_waitcnt vmcnt(24) lgkmcnt(24)
	v_and_b32_e32 v51, 0x7f800000, v46
	v_cmp_ne_u32_e32 vcc_lo, 0x7f800000, v51
	v_mov_b32_e32 v51, 0x80
	s_and_saveexec_b32 s73, vcc_lo
	s_cbranch_execz .LBB6_4175
; %bb.4168:                             ;   in Loop: Header=BB6_3887 Depth=4
	v_mov_b32_e32 v51, 0
	s_mov_b32 s74, exec_lo
	v_cmpx_ne_u32_e32 0, v46
	s_cbranch_execz .LBB6_4174
; %bb.4169:                             ;   in Loop: Header=BB6_3887 Depth=4
	v_bfe_u32 v86, v46, 23, 8
	v_and_b32_e32 v51, 0x7fffff, v46
                                        ; implicit-def: $vgpr88
	v_cmp_gt_u32_e64 s16, 0x79, v86
	v_sub_nc_u32_e32 v87, 0x78, v86
	v_cmp_eq_u32_e32 vcc_lo, 0, v86
	v_or_b32_e32 v60, 0x800000, v51
	v_cndmask_b32_e64 v87, 0, v87, s16
	v_cndmask_b32_e32 v51, v60, v51, vcc_lo
	v_cndmask_b32_e64 v87, v87, 0x77, vcc_lo
	v_lshl_add_u32 v60, 0x100000, v87, -1
	v_lshlrev_b32_e64 v74, v87, 0x80000
	v_and_b32_e32 v60, v60, v51
	v_cmp_eq_u32_e64 s16, v60, v74
	v_lshrrev_b32_e32 v74, v87, v51
	v_add_nc_u32_e32 v51, 0xffffff89, v86
	v_lshrrev_b32_e32 v86, 23, v74
	v_cndmask_b32_e64 v51, v51, 0xffffff8a, vcc_lo
	v_xor_b32_e32 v60, 1, v86
	v_bfe_u32 v86, v74, 20, 1
	v_add_nc_u32_e32 v51, v87, v51
	v_add_nc_u32_e32 v86, -1, v86
	v_cndmask_b32_e64 v86, 0, v86, s16
	s_mov_b32 s16, exec_lo
	v_add_nc_u32_e32 v86, v86, v74
	v_and_b32_e32 v86, 0xfffff, v86
	v_add_nc_u32_e32 v74, v86, v74
	v_cmpx_ne_u32_e64 v51, v60
	s_xor_b32 s16, exec_lo, s16
; %bb.4170:                             ;   in Loop: Header=BB6_3887 Depth=4
	v_cmp_lt_u32_e32 vcc_lo, 0xffffff, v74
	v_sub_nc_u32_e32 v51, v51, v60
	v_cndmask_b32_e64 v86, 0, 1, vcc_lo
	v_add_co_ci_u32_e64 v88, null, 0, v51, vcc_lo
	v_lshrrev_b32_e32 v74, v86, v74
; %bb.4171:                             ;   in Loop: Header=BB6_3887 Depth=4
	s_andn2_saveexec_b32 s16, s16
; %bb.4172:                             ;   in Loop: Header=BB6_3887 Depth=4
	v_bfe_u32 v88, v74, 23, 1
; %bb.4173:                             ;   in Loop: Header=BB6_3887 Depth=4
	s_or_b32 exec_lo, exec_lo, s16
	v_lshrrev_b32_e32 v86, 20, v74
	v_cmp_gt_i32_e32 vcc_lo, 16, v88
	v_min_i32_e32 v87, 15, v88
	v_and_b32_sdwa v51, v46, v62 dst_sel:DWORD dst_unused:UNUSED_PAD src0_sel:BYTE_3 src1_sel:DWORD
	v_cndmask_b32_e32 v86, 7, v86, vcc_lo
	v_lshlrev_b32_e32 v87, 3, v87
	v_or_b32_e32 v46, v88, v86
	v_and_b32_e32 v86, 7, v86
	v_cmp_ne_u32_e32 vcc_lo, 0, v46
	v_or3_b32 v51, v87, v51, v86
	v_cndmask_b32_e32 v51, 0, v51, vcc_lo
.LBB6_4174:                             ;   in Loop: Header=BB6_3887 Depth=4
	s_or_b32 exec_lo, exec_lo, s74
.LBB6_4175:                             ;   in Loop: Header=BB6_3887 Depth=4
	s_or_b32 exec_lo, exec_lo, s73
	v_cmp_gt_i16_sdwa s73, v99, v61 src0_sel:BYTE_0 src1_sel:DWORD
	s_andn2_b32 vcc_lo, exec_lo, s63
	s_mov_b32 s16, -1
                                        ; implicit-def: $vgpr46
	s_cbranch_vccnz .LBB6_4189
; %bb.4176:                             ;   in Loop: Header=BB6_3887 Depth=4
	s_mov_b32 s16, 0
	s_and_saveexec_b32 s74, s73
	s_xor_b32 s73, exec_lo, s74
	s_cbranch_execz .LBB6_5101
; %bb.4177:                             ;   in Loop: Header=BB6_3887 Depth=4
	v_cmp_eq_u16_sdwa s75, v99, v62 src0_sel:BYTE_0 src1_sel:DWORD
	s_mov_b32 s16, -1
	s_and_saveexec_b32 s74, s75
; %bb.4178:                             ;   in Loop: Header=BB6_3887 Depth=4
	s_xor_b32 s16, exec_lo, -1
; %bb.4179:                             ;   in Loop: Header=BB6_3887 Depth=4
	s_or_b32 exec_lo, exec_lo, s74
	s_and_b32 s16, s16, exec_lo
	s_or_saveexec_b32 s73, s73
	v_mov_b32_e32 v46, 0x7f800001
	s_xor_b32 exec_lo, exec_lo, s73
	s_cbranch_execnz .LBB6_5102
.LBB6_4180:                             ;   in Loop: Header=BB6_3887 Depth=4
	s_or_b32 exec_lo, exec_lo, s73
	s_and_saveexec_b32 s73, s16
	s_cbranch_execz .LBB6_4182
.LBB6_4181:                             ;   in Loop: Header=BB6_3887 Depth=4
	v_and_b32_e32 v86, 7, v99
	v_lshrrev_b16 v46, 3, v99
	v_lshlrev_b32_e32 v74, 24, v99
	v_ffbh_u32_e32 v87, v86
	v_and_b32_e32 v46, 15, v46
	v_min_u32_e32 v87, 32, v87
	v_cmp_eq_u32_e32 vcc_lo, 0, v46
	v_subrev_nc_u32_e32 v60, 28, v87
	v_sub_nc_u32_e32 v87, 29, v87
	v_lshlrev_b32_e32 v60, v60, v99
	v_cndmask_b32_e32 v87, v46, v87, vcc_lo
	v_and_b32_e32 v46, 0x80000000, v74
	v_and_b32_e32 v60, 7, v60
	v_lshl_add_u32 v87, v87, 23, 0x3b800000
	v_cndmask_b32_e32 v86, v86, v60, vcc_lo
	v_lshlrev_b32_e32 v86, 20, v86
	v_or3_b32 v46, v46, v87, v86
.LBB6_4182:                             ;   in Loop: Header=BB6_3887 Depth=4
	s_or_b32 exec_lo, exec_lo, s73
	s_waitcnt vmcnt(23) lgkmcnt(23)
	v_cmp_gt_i16_sdwa s73, v1, v61 src0_sel:BYTE_0 src1_sel:DWORD
	s_mov_b32 s16, 0
	s_and_saveexec_b32 s74, s73
	s_xor_b32 s73, exec_lo, s74
	s_cbranch_execz .LBB6_5103
; %bb.4183:                             ;   in Loop: Header=BB6_3887 Depth=4
	v_cmp_eq_u16_sdwa s75, v1, v62 src0_sel:BYTE_0 src1_sel:DWORD
	s_mov_b32 s16, -1
	s_and_saveexec_b32 s74, s75
; %bb.4184:                             ;   in Loop: Header=BB6_3887 Depth=4
	s_xor_b32 s16, exec_lo, -1
; %bb.4185:                             ;   in Loop: Header=BB6_3887 Depth=4
	s_or_b32 exec_lo, exec_lo, s74
	s_and_b32 s16, s16, exec_lo
	s_or_saveexec_b32 s73, s73
	v_mov_b32_e32 v86, 0x7f800001
	s_xor_b32 exec_lo, exec_lo, s73
	s_cbranch_execnz .LBB6_5104
.LBB6_4186:                             ;   in Loop: Header=BB6_3887 Depth=4
	s_or_b32 exec_lo, exec_lo, s73
	s_and_saveexec_b32 s73, s16
	s_cbranch_execz .LBB6_4188
.LBB6_4187:                             ;   in Loop: Header=BB6_3887 Depth=4
	v_and_b32_e32 v86, 7, v1
	v_lshrrev_b16 v60, 3, v1
	v_lshlrev_b32_e32 v88, 24, v1
	v_ffbh_u32_e32 v87, v86
	v_and_b32_e32 v60, 15, v60
	v_min_u32_e32 v87, 32, v87
	v_cmp_eq_u32_e32 vcc_lo, 0, v60
	v_subrev_nc_u32_e32 v74, 28, v87
	v_sub_nc_u32_e32 v87, 29, v87
	v_lshlrev_b32_e32 v74, v74, v1
	v_cndmask_b32_e32 v87, v60, v87, vcc_lo
	v_and_b32_e32 v60, 0x80000000, v88
	v_and_b32_e32 v74, 7, v74
	v_lshl_add_u32 v87, v87, 23, 0x3b800000
	v_cndmask_b32_e32 v86, v86, v74, vcc_lo
	v_lshlrev_b32_e32 v86, 20, v86
	v_or3_b32 v86, v60, v87, v86
.LBB6_4188:                             ;   in Loop: Header=BB6_3887 Depth=4
	s_or_b32 exec_lo, exec_lo, s73
	v_max_f32_e32 v86, v86, v86
	v_max_f32_e32 v87, v46, v46
	s_mov_b32 s16, 0
	v_max_f32_e32 v46, v87, v86
.LBB6_4189:                             ;   in Loop: Header=BB6_3887 Depth=4
	s_and_b32 vcc_lo, exec_lo, s16
	s_cbranch_vccz .LBB6_4203
; %bb.4190:                             ;   in Loop: Header=BB6_3887 Depth=4
	v_cmp_gt_i16_sdwa s73, v99, v61 src0_sel:BYTE_0 src1_sel:DWORD
	s_mov_b32 s16, 0
	s_and_saveexec_b32 s74, s73
	s_xor_b32 s73, exec_lo, s74
	s_cbranch_execz .LBB6_5105
; %bb.4191:                             ;   in Loop: Header=BB6_3887 Depth=4
	v_cmp_eq_u16_sdwa s75, v99, v62 src0_sel:BYTE_0 src1_sel:DWORD
	s_mov_b32 s16, -1
	s_and_saveexec_b32 s74, s75
; %bb.4192:                             ;   in Loop: Header=BB6_3887 Depth=4
	s_xor_b32 s16, exec_lo, -1
; %bb.4193:                             ;   in Loop: Header=BB6_3887 Depth=4
	s_or_b32 exec_lo, exec_lo, s74
	s_and_b32 s16, s16, exec_lo
	s_or_saveexec_b32 s73, s73
	v_mov_b32_e32 v46, 0x7f800001
	s_xor_b32 exec_lo, exec_lo, s73
	s_cbranch_execnz .LBB6_5106
.LBB6_4194:                             ;   in Loop: Header=BB6_3887 Depth=4
	s_or_b32 exec_lo, exec_lo, s73
	s_and_saveexec_b32 s73, s16
	s_cbranch_execz .LBB6_4196
.LBB6_4195:                             ;   in Loop: Header=BB6_3887 Depth=4
	v_and_b32_e32 v86, 7, v99
	v_lshrrev_b16 v46, 3, v99
	v_ffbh_u32_e32 v87, v86
	v_and_b32_e32 v46, 15, v46
	v_min_u32_e32 v87, 32, v87
	v_cmp_eq_u32_e32 vcc_lo, 0, v46
	v_subrev_nc_u32_e32 v60, 28, v87
	v_sub_nc_u32_e32 v87, 29, v87
	v_lshlrev_b32_e32 v60, v60, v99
	v_lshlrev_b32_e32 v99, 24, v99
	v_cndmask_b32_e32 v87, v46, v87, vcc_lo
	v_and_b32_e32 v60, 7, v60
	v_and_b32_e32 v99, 0x80000000, v99
	v_lshl_add_u32 v87, v87, 23, 0x3b800000
	v_cndmask_b32_e32 v86, v86, v60, vcc_lo
	v_lshlrev_b32_e32 v86, 20, v86
	v_or3_b32 v46, v99, v87, v86
.LBB6_4196:                             ;   in Loop: Header=BB6_3887 Depth=4
	s_or_b32 exec_lo, exec_lo, s73
	s_waitcnt vmcnt(23) lgkmcnt(23)
	v_cmp_gt_i16_sdwa s73, v1, v61 src0_sel:BYTE_0 src1_sel:DWORD
	s_mov_b32 s16, 0
	s_and_saveexec_b32 s74, s73
	s_xor_b32 s73, exec_lo, s74
	s_cbranch_execz .LBB6_5107
; %bb.4197:                             ;   in Loop: Header=BB6_3887 Depth=4
	v_cmp_eq_u16_sdwa s75, v1, v62 src0_sel:BYTE_0 src1_sel:DWORD
	s_mov_b32 s16, -1
	s_and_saveexec_b32 s74, s75
; %bb.4198:                             ;   in Loop: Header=BB6_3887 Depth=4
	s_xor_b32 s16, exec_lo, -1
; %bb.4199:                             ;   in Loop: Header=BB6_3887 Depth=4
	s_or_b32 exec_lo, exec_lo, s74
	s_and_b32 s16, s16, exec_lo
	s_or_saveexec_b32 s73, s73
	v_mov_b32_e32 v86, 0x7f800001
	s_xor_b32 exec_lo, exec_lo, s73
	s_cbranch_execnz .LBB6_5108
.LBB6_4200:                             ;   in Loop: Header=BB6_3887 Depth=4
	s_or_b32 exec_lo, exec_lo, s73
	s_and_saveexec_b32 s73, s16
	s_cbranch_execz .LBB6_4202
.LBB6_4201:                             ;   in Loop: Header=BB6_3887 Depth=4
	v_and_b32_e32 v86, 7, v1
	v_lshrrev_b16 v99, 3, v1
	v_ffbh_u32_e32 v87, v86
	v_and_b32_e32 v99, 15, v99
	v_min_u32_e32 v87, 32, v87
	v_cmp_eq_u32_e32 vcc_lo, 0, v99
	v_subrev_nc_u32_e32 v60, 28, v87
	v_sub_nc_u32_e32 v87, 29, v87
	v_lshlrev_b32_e32 v60, v60, v1
	v_lshlrev_b32_e32 v1, 24, v1
	v_cndmask_b32_e32 v87, v99, v87, vcc_lo
	v_and_b32_e32 v60, 7, v60
	v_and_b32_e32 v1, 0x80000000, v1
	v_lshl_add_u32 v87, v87, 23, 0x3b800000
	v_cndmask_b32_e32 v86, v86, v60, vcc_lo
	v_lshlrev_b32_e32 v86, 20, v86
	v_or3_b32 v86, v1, v87, v86
.LBB6_4202:                             ;   in Loop: Header=BB6_3887 Depth=4
	s_or_b32 exec_lo, exec_lo, s73
	v_max_f32_e32 v1, v86, v86
	v_max_f32_e32 v86, v46, v46
	v_min_f32_e32 v46, v86, v1
.LBB6_4203:                             ;   in Loop: Header=BB6_3887 Depth=4
	s_waitcnt vmcnt(23) lgkmcnt(23)
	v_and_b32_e32 v1, 0x7f800000, v46
	v_cmp_ne_u32_e32 vcc_lo, 0x7f800000, v1
	v_mov_b32_e32 v1, 0x80
	s_and_saveexec_b32 s73, vcc_lo
	s_cbranch_execz .LBB6_4211
; %bb.4204:                             ;   in Loop: Header=BB6_3887 Depth=4
	v_mov_b32_e32 v1, 0
	s_mov_b32 s74, exec_lo
	v_cmpx_ne_u32_e32 0, v46
	s_cbranch_execz .LBB6_4210
; %bb.4205:                             ;   in Loop: Header=BB6_3887 Depth=4
	v_bfe_u32 v86, v46, 23, 8
	v_and_b32_e32 v1, 0x7fffff, v46
                                        ; implicit-def: $vgpr74
	v_cmp_gt_u32_e64 s16, 0x79, v86
	v_sub_nc_u32_e32 v87, 0x78, v86
	v_cmp_eq_u32_e32 vcc_lo, 0, v86
	v_or_b32_e32 v99, 0x800000, v1
	v_cndmask_b32_e64 v87, 0, v87, s16
	v_cndmask_b32_e32 v1, v99, v1, vcc_lo
	v_cndmask_b32_e64 v87, v87, 0x77, vcc_lo
	v_lshl_add_u32 v99, 0x100000, v87, -1
	v_lshlrev_b32_e64 v60, v87, 0x80000
	v_and_b32_e32 v99, v99, v1
	v_cmp_eq_u32_e64 s16, v99, v60
	v_lshrrev_b32_e32 v60, v87, v1
	v_add_nc_u32_e32 v1, 0xffffff89, v86
	v_lshrrev_b32_e32 v86, 23, v60
	v_cndmask_b32_e64 v1, v1, 0xffffff8a, vcc_lo
	v_xor_b32_e32 v99, 1, v86
	v_bfe_u32 v86, v60, 20, 1
	v_add_nc_u32_e32 v1, v87, v1
	v_add_nc_u32_e32 v86, -1, v86
	v_cndmask_b32_e64 v86, 0, v86, s16
	s_mov_b32 s16, exec_lo
	v_add_nc_u32_e32 v86, v86, v60
	v_and_b32_e32 v86, 0xfffff, v86
	v_add_nc_u32_e32 v60, v86, v60
	v_cmpx_ne_u32_e64 v1, v99
	s_xor_b32 s16, exec_lo, s16
; %bb.4206:                             ;   in Loop: Header=BB6_3887 Depth=4
	v_cmp_lt_u32_e32 vcc_lo, 0xffffff, v60
	v_sub_nc_u32_e32 v1, v1, v99
	v_cndmask_b32_e64 v86, 0, 1, vcc_lo
	v_add_co_ci_u32_e64 v74, null, 0, v1, vcc_lo
	v_lshrrev_b32_e32 v60, v86, v60
; %bb.4207:                             ;   in Loop: Header=BB6_3887 Depth=4
	s_andn2_saveexec_b32 s16, s16
; %bb.4208:                             ;   in Loop: Header=BB6_3887 Depth=4
	v_bfe_u32 v74, v60, 23, 1
; %bb.4209:                             ;   in Loop: Header=BB6_3887 Depth=4
	s_or_b32 exec_lo, exec_lo, s16
	v_lshrrev_b32_e32 v86, 20, v60
	v_cmp_gt_i32_e32 vcc_lo, 16, v74
	v_min_i32_e32 v87, 15, v74
	v_and_b32_sdwa v1, v46, v62 dst_sel:DWORD dst_unused:UNUSED_PAD src0_sel:BYTE_3 src1_sel:DWORD
	v_cndmask_b32_e32 v86, 7, v86, vcc_lo
	v_lshlrev_b32_e32 v87, 3, v87
	v_or_b32_e32 v99, v74, v86
	v_and_b32_e32 v86, 7, v86
	v_cmp_ne_u32_e32 vcc_lo, 0, v99
	v_or3_b32 v1, v87, v1, v86
	v_cndmask_b32_e32 v1, 0, v1, vcc_lo
.LBB6_4210:                             ;   in Loop: Header=BB6_3887 Depth=4
	s_or_b32 exec_lo, exec_lo, s74
.LBB6_4211:                             ;   in Loop: Header=BB6_3887 Depth=4
	s_or_b32 exec_lo, exec_lo, s73
	v_cmp_gt_i16_sdwa s73, v98, v61 src0_sel:BYTE_0 src1_sel:DWORD
	s_andn2_b32 vcc_lo, exec_lo, s63
	s_mov_b32 s16, -1
                                        ; implicit-def: $vgpr99
	s_cbranch_vccnz .LBB6_4225
; %bb.4212:                             ;   in Loop: Header=BB6_3887 Depth=4
	s_mov_b32 s16, 0
	s_and_saveexec_b32 s74, s73
	s_xor_b32 s73, exec_lo, s74
	s_cbranch_execz .LBB6_5109
; %bb.4213:                             ;   in Loop: Header=BB6_3887 Depth=4
	v_cmp_eq_u16_sdwa s75, v98, v62 src0_sel:BYTE_0 src1_sel:DWORD
	s_mov_b32 s16, -1
	s_and_saveexec_b32 s74, s75
; %bb.4214:                             ;   in Loop: Header=BB6_3887 Depth=4
	s_xor_b32 s16, exec_lo, -1
; %bb.4215:                             ;   in Loop: Header=BB6_3887 Depth=4
	s_or_b32 exec_lo, exec_lo, s74
	s_and_b32 s16, s16, exec_lo
	s_or_saveexec_b32 s73, s73
	v_mov_b32_e32 v99, 0x7f800001
	s_xor_b32 exec_lo, exec_lo, s73
	s_cbranch_execnz .LBB6_5110
.LBB6_4216:                             ;   in Loop: Header=BB6_3887 Depth=4
	s_or_b32 exec_lo, exec_lo, s73
	s_and_saveexec_b32 s73, s16
	s_cbranch_execz .LBB6_4218
.LBB6_4217:                             ;   in Loop: Header=BB6_3887 Depth=4
	v_and_b32_e32 v86, 7, v98
	v_lshrrev_b16 v99, 3, v98
	v_lshlrev_b32_e32 v60, 24, v98
	v_ffbh_u32_e32 v87, v86
	v_and_b32_e32 v99, 15, v99
	v_min_u32_e32 v87, 32, v87
	v_cmp_eq_u32_e32 vcc_lo, 0, v99
	v_subrev_nc_u32_e32 v46, 28, v87
	v_sub_nc_u32_e32 v87, 29, v87
	v_lshlrev_b32_e32 v46, v46, v98
	v_cndmask_b32_e32 v87, v99, v87, vcc_lo
	v_and_b32_e32 v99, 0x80000000, v60
	v_and_b32_e32 v46, 7, v46
	v_lshl_add_u32 v87, v87, 23, 0x3b800000
	v_cndmask_b32_e32 v86, v86, v46, vcc_lo
	v_lshlrev_b32_e32 v86, 20, v86
	v_or3_b32 v99, v99, v87, v86
.LBB6_4218:                             ;   in Loop: Header=BB6_3887 Depth=4
	s_or_b32 exec_lo, exec_lo, s73
	s_waitcnt vmcnt(22) lgkmcnt(22)
	v_cmp_gt_i16_sdwa s73, v82, v61 src0_sel:BYTE_0 src1_sel:DWORD
	s_mov_b32 s16, 0
	s_and_saveexec_b32 s74, s73
	s_xor_b32 s73, exec_lo, s74
	s_cbranch_execz .LBB6_5111
; %bb.4219:                             ;   in Loop: Header=BB6_3887 Depth=4
	v_cmp_eq_u16_sdwa s75, v82, v62 src0_sel:BYTE_0 src1_sel:DWORD
	s_mov_b32 s16, -1
	s_and_saveexec_b32 s74, s75
; %bb.4220:                             ;   in Loop: Header=BB6_3887 Depth=4
	s_xor_b32 s16, exec_lo, -1
; %bb.4221:                             ;   in Loop: Header=BB6_3887 Depth=4
	s_or_b32 exec_lo, exec_lo, s74
	s_and_b32 s16, s16, exec_lo
	s_or_saveexec_b32 s73, s73
	v_mov_b32_e32 v86, 0x7f800001
	s_xor_b32 exec_lo, exec_lo, s73
	s_cbranch_execnz .LBB6_5112
.LBB6_4222:                             ;   in Loop: Header=BB6_3887 Depth=4
	s_or_b32 exec_lo, exec_lo, s73
	s_and_saveexec_b32 s73, s16
	s_cbranch_execz .LBB6_4224
.LBB6_4223:                             ;   in Loop: Header=BB6_3887 Depth=4
	v_and_b32_e32 v86, 7, v82
	v_lshrrev_b16 v46, 3, v82
	v_lshlrev_b32_e32 v74, 24, v82
	v_ffbh_u32_e32 v87, v86
	v_and_b32_e32 v46, 15, v46
	v_min_u32_e32 v87, 32, v87
	v_cmp_eq_u32_e32 vcc_lo, 0, v46
	v_subrev_nc_u32_e32 v60, 28, v87
	v_sub_nc_u32_e32 v87, 29, v87
	v_lshlrev_b32_e32 v60, v60, v82
	v_cndmask_b32_e32 v87, v46, v87, vcc_lo
	v_and_b32_e32 v46, 0x80000000, v74
	v_and_b32_e32 v60, 7, v60
	v_lshl_add_u32 v87, v87, 23, 0x3b800000
	v_cndmask_b32_e32 v86, v86, v60, vcc_lo
	v_lshlrev_b32_e32 v86, 20, v86
	v_or3_b32 v86, v46, v87, v86
.LBB6_4224:                             ;   in Loop: Header=BB6_3887 Depth=4
	s_or_b32 exec_lo, exec_lo, s73
	v_max_f32_e32 v86, v86, v86
	v_max_f32_e32 v87, v99, v99
	s_mov_b32 s16, 0
	v_max_f32_e32 v99, v87, v86
.LBB6_4225:                             ;   in Loop: Header=BB6_3887 Depth=4
	s_and_b32 vcc_lo, exec_lo, s16
	s_cbranch_vccz .LBB6_4239
; %bb.4226:                             ;   in Loop: Header=BB6_3887 Depth=4
	v_cmp_gt_i16_sdwa s73, v98, v61 src0_sel:BYTE_0 src1_sel:DWORD
	s_mov_b32 s16, 0
	s_and_saveexec_b32 s74, s73
	s_xor_b32 s73, exec_lo, s74
	s_cbranch_execz .LBB6_5113
; %bb.4227:                             ;   in Loop: Header=BB6_3887 Depth=4
	v_cmp_eq_u16_sdwa s75, v98, v62 src0_sel:BYTE_0 src1_sel:DWORD
	s_mov_b32 s16, -1
	s_and_saveexec_b32 s74, s75
; %bb.4228:                             ;   in Loop: Header=BB6_3887 Depth=4
	s_xor_b32 s16, exec_lo, -1
; %bb.4229:                             ;   in Loop: Header=BB6_3887 Depth=4
	s_or_b32 exec_lo, exec_lo, s74
	s_and_b32 s16, s16, exec_lo
	s_or_saveexec_b32 s73, s73
	v_mov_b32_e32 v99, 0x7f800001
	s_xor_b32 exec_lo, exec_lo, s73
	s_cbranch_execnz .LBB6_5114
.LBB6_4230:                             ;   in Loop: Header=BB6_3887 Depth=4
	s_or_b32 exec_lo, exec_lo, s73
	s_and_saveexec_b32 s73, s16
	s_cbranch_execz .LBB6_4232
.LBB6_4231:                             ;   in Loop: Header=BB6_3887 Depth=4
	v_and_b32_e32 v86, 7, v98
	v_lshrrev_b16 v99, 3, v98
	v_ffbh_u32_e32 v87, v86
	v_and_b32_e32 v99, 15, v99
	v_min_u32_e32 v87, 32, v87
	v_cmp_eq_u32_e32 vcc_lo, 0, v99
	v_subrev_nc_u32_e32 v46, 28, v87
	v_sub_nc_u32_e32 v87, 29, v87
	v_lshlrev_b32_e32 v46, v46, v98
	v_lshlrev_b32_e32 v98, 24, v98
	v_cndmask_b32_e32 v87, v99, v87, vcc_lo
	v_and_b32_e32 v46, 7, v46
	v_and_b32_e32 v98, 0x80000000, v98
	v_lshl_add_u32 v87, v87, 23, 0x3b800000
	v_cndmask_b32_e32 v86, v86, v46, vcc_lo
	v_lshlrev_b32_e32 v86, 20, v86
	v_or3_b32 v99, v98, v87, v86
.LBB6_4232:                             ;   in Loop: Header=BB6_3887 Depth=4
	s_or_b32 exec_lo, exec_lo, s73
	s_waitcnt vmcnt(22) lgkmcnt(22)
	v_cmp_gt_i16_sdwa s73, v82, v61 src0_sel:BYTE_0 src1_sel:DWORD
	s_mov_b32 s16, 0
	s_and_saveexec_b32 s74, s73
	s_xor_b32 s73, exec_lo, s74
	s_cbranch_execz .LBB6_5115
; %bb.4233:                             ;   in Loop: Header=BB6_3887 Depth=4
	v_cmp_eq_u16_sdwa s75, v82, v62 src0_sel:BYTE_0 src1_sel:DWORD
	s_mov_b32 s16, -1
	s_and_saveexec_b32 s74, s75
; %bb.4234:                             ;   in Loop: Header=BB6_3887 Depth=4
	s_xor_b32 s16, exec_lo, -1
; %bb.4235:                             ;   in Loop: Header=BB6_3887 Depth=4
	s_or_b32 exec_lo, exec_lo, s74
	s_and_b32 s16, s16, exec_lo
	s_or_saveexec_b32 s73, s73
	v_mov_b32_e32 v86, 0x7f800001
	s_xor_b32 exec_lo, exec_lo, s73
	s_cbranch_execnz .LBB6_5116
.LBB6_4236:                             ;   in Loop: Header=BB6_3887 Depth=4
	s_or_b32 exec_lo, exec_lo, s73
	s_and_saveexec_b32 s73, s16
	s_cbranch_execz .LBB6_4238
.LBB6_4237:                             ;   in Loop: Header=BB6_3887 Depth=4
	v_and_b32_e32 v86, 7, v82
	v_lshrrev_b16 v98, 3, v82
	v_ffbh_u32_e32 v87, v86
	v_and_b32_e32 v98, 15, v98
	v_min_u32_e32 v87, 32, v87
	v_cmp_eq_u32_e32 vcc_lo, 0, v98
	v_subrev_nc_u32_e32 v46, 28, v87
	v_sub_nc_u32_e32 v87, 29, v87
	v_lshlrev_b32_e32 v46, v46, v82
	v_lshlrev_b32_e32 v82, 24, v82
	v_cndmask_b32_e32 v87, v98, v87, vcc_lo
	v_and_b32_e32 v46, 7, v46
	v_and_b32_e32 v82, 0x80000000, v82
	v_lshl_add_u32 v87, v87, 23, 0x3b800000
	v_cndmask_b32_e32 v86, v86, v46, vcc_lo
	v_lshlrev_b32_e32 v86, 20, v86
	v_or3_b32 v86, v82, v87, v86
.LBB6_4238:                             ;   in Loop: Header=BB6_3887 Depth=4
	s_or_b32 exec_lo, exec_lo, s73
	v_max_f32_e32 v82, v86, v86
	v_max_f32_e32 v86, v99, v99
	v_min_f32_e32 v99, v86, v82
.LBB6_4239:                             ;   in Loop: Header=BB6_3887 Depth=4
	s_waitcnt vmcnt(22) lgkmcnt(22)
	v_and_b32_e32 v82, 0x7f800000, v99
	v_cmp_ne_u32_e32 vcc_lo, 0x7f800000, v82
	v_mov_b32_e32 v82, 0x80
	s_and_saveexec_b32 s73, vcc_lo
	s_cbranch_execz .LBB6_4247
; %bb.4240:                             ;   in Loop: Header=BB6_3887 Depth=4
	v_mov_b32_e32 v82, 0
	s_mov_b32 s74, exec_lo
	v_cmpx_ne_u32_e32 0, v99
	s_cbranch_execz .LBB6_4246
; %bb.4241:                             ;   in Loop: Header=BB6_3887 Depth=4
	v_bfe_u32 v86, v99, 23, 8
	v_and_b32_e32 v82, 0x7fffff, v99
                                        ; implicit-def: $vgpr60
	v_cmp_gt_u32_e64 s16, 0x79, v86
	v_sub_nc_u32_e32 v87, 0x78, v86
	v_cmp_eq_u32_e32 vcc_lo, 0, v86
	v_or_b32_e32 v98, 0x800000, v82
	v_cndmask_b32_e64 v87, 0, v87, s16
	v_cndmask_b32_e32 v82, v98, v82, vcc_lo
	v_cndmask_b32_e64 v87, v87, 0x77, vcc_lo
	v_lshl_add_u32 v98, 0x100000, v87, -1
	v_lshlrev_b32_e64 v46, v87, 0x80000
	v_and_b32_e32 v98, v98, v82
	v_cmp_eq_u32_e64 s16, v98, v46
	v_lshrrev_b32_e32 v46, v87, v82
	v_add_nc_u32_e32 v82, 0xffffff89, v86
	v_lshrrev_b32_e32 v86, 23, v46
	v_cndmask_b32_e64 v82, v82, 0xffffff8a, vcc_lo
	v_xor_b32_e32 v98, 1, v86
	v_bfe_u32 v86, v46, 20, 1
	v_add_nc_u32_e32 v82, v87, v82
	v_add_nc_u32_e32 v86, -1, v86
	v_cndmask_b32_e64 v86, 0, v86, s16
	s_mov_b32 s16, exec_lo
	v_add_nc_u32_e32 v86, v86, v46
	v_and_b32_e32 v86, 0xfffff, v86
	v_add_nc_u32_e32 v46, v86, v46
	v_cmpx_ne_u32_e64 v82, v98
	s_xor_b32 s16, exec_lo, s16
; %bb.4242:                             ;   in Loop: Header=BB6_3887 Depth=4
	v_cmp_lt_u32_e32 vcc_lo, 0xffffff, v46
	v_sub_nc_u32_e32 v82, v82, v98
	v_cndmask_b32_e64 v86, 0, 1, vcc_lo
	v_add_co_ci_u32_e64 v60, null, 0, v82, vcc_lo
	v_lshrrev_b32_e32 v46, v86, v46
; %bb.4243:                             ;   in Loop: Header=BB6_3887 Depth=4
	s_andn2_saveexec_b32 s16, s16
; %bb.4244:                             ;   in Loop: Header=BB6_3887 Depth=4
	v_bfe_u32 v60, v46, 23, 1
; %bb.4245:                             ;   in Loop: Header=BB6_3887 Depth=4
	s_or_b32 exec_lo, exec_lo, s16
	v_lshrrev_b32_e32 v86, 20, v46
	v_cmp_gt_i32_e32 vcc_lo, 16, v60
	v_min_i32_e32 v87, 15, v60
	v_and_b32_sdwa v82, v99, v62 dst_sel:DWORD dst_unused:UNUSED_PAD src0_sel:BYTE_3 src1_sel:DWORD
	v_cndmask_b32_e32 v86, 7, v86, vcc_lo
	v_lshlrev_b32_e32 v87, 3, v87
	v_or_b32_e32 v98, v60, v86
	v_and_b32_e32 v86, 7, v86
	v_cmp_ne_u32_e32 vcc_lo, 0, v98
	v_or3_b32 v82, v87, v82, v86
	v_cndmask_b32_e32 v82, 0, v82, vcc_lo
.LBB6_4246:                             ;   in Loop: Header=BB6_3887 Depth=4
	s_or_b32 exec_lo, exec_lo, s74
.LBB6_4247:                             ;   in Loop: Header=BB6_3887 Depth=4
	s_or_b32 exec_lo, exec_lo, s73
	v_cmp_gt_i16_sdwa s73, v120, v61 src0_sel:BYTE_0 src1_sel:DWORD
	s_andn2_b32 vcc_lo, exec_lo, s63
	s_mov_b32 s16, -1
                                        ; implicit-def: $vgpr98
	s_cbranch_vccnz .LBB6_4261
; %bb.4248:                             ;   in Loop: Header=BB6_3887 Depth=4
	s_mov_b32 s16, 0
	s_and_saveexec_b32 s74, s73
	s_xor_b32 s73, exec_lo, s74
	s_cbranch_execz .LBB6_5117
; %bb.4249:                             ;   in Loop: Header=BB6_3887 Depth=4
	v_cmp_eq_u16_sdwa s75, v120, v62 src0_sel:BYTE_0 src1_sel:DWORD
	s_mov_b32 s16, -1
	s_and_saveexec_b32 s74, s75
; %bb.4250:                             ;   in Loop: Header=BB6_3887 Depth=4
	s_xor_b32 s16, exec_lo, -1
; %bb.4251:                             ;   in Loop: Header=BB6_3887 Depth=4
	s_or_b32 exec_lo, exec_lo, s74
	s_and_b32 s16, s16, exec_lo
	s_or_saveexec_b32 s73, s73
	v_mov_b32_e32 v98, 0x7f800001
	s_xor_b32 exec_lo, exec_lo, s73
	s_cbranch_execnz .LBB6_5118
.LBB6_4252:                             ;   in Loop: Header=BB6_3887 Depth=4
	s_or_b32 exec_lo, exec_lo, s73
	s_and_saveexec_b32 s73, s16
	s_cbranch_execz .LBB6_4254
.LBB6_4253:                             ;   in Loop: Header=BB6_3887 Depth=4
	v_and_b32_e32 v86, 7, v120
	v_lshrrev_b16 v98, 3, v120
	v_lshlrev_b32_e32 v46, 24, v120
	v_ffbh_u32_e32 v87, v86
	v_and_b32_e32 v98, 15, v98
	v_min_u32_e32 v87, 32, v87
	v_cmp_eq_u32_e32 vcc_lo, 0, v98
	v_subrev_nc_u32_e32 v99, 28, v87
	v_sub_nc_u32_e32 v87, 29, v87
	v_lshlrev_b32_e32 v99, v99, v120
	v_cndmask_b32_e32 v87, v98, v87, vcc_lo
	v_and_b32_e32 v98, 0x80000000, v46
	v_and_b32_e32 v99, 7, v99
	v_lshl_add_u32 v87, v87, 23, 0x3b800000
	v_cndmask_b32_e32 v86, v86, v99, vcc_lo
	v_lshlrev_b32_e32 v86, 20, v86
	v_or3_b32 v98, v98, v87, v86
.LBB6_4254:                             ;   in Loop: Header=BB6_3887 Depth=4
	s_or_b32 exec_lo, exec_lo, s73
	s_waitcnt vmcnt(21) lgkmcnt(21)
	v_cmp_gt_i16_sdwa s73, v85, v61 src0_sel:BYTE_0 src1_sel:DWORD
	s_mov_b32 s16, 0
	s_and_saveexec_b32 s74, s73
	s_xor_b32 s73, exec_lo, s74
	s_cbranch_execz .LBB6_5119
; %bb.4255:                             ;   in Loop: Header=BB6_3887 Depth=4
	v_cmp_eq_u16_sdwa s75, v85, v62 src0_sel:BYTE_0 src1_sel:DWORD
	s_mov_b32 s16, -1
	s_and_saveexec_b32 s74, s75
; %bb.4256:                             ;   in Loop: Header=BB6_3887 Depth=4
	s_xor_b32 s16, exec_lo, -1
; %bb.4257:                             ;   in Loop: Header=BB6_3887 Depth=4
	s_or_b32 exec_lo, exec_lo, s74
	s_and_b32 s16, s16, exec_lo
	s_or_saveexec_b32 s73, s73
	v_mov_b32_e32 v86, 0x7f800001
	s_xor_b32 exec_lo, exec_lo, s73
	s_cbranch_execnz .LBB6_5120
.LBB6_4258:                             ;   in Loop: Header=BB6_3887 Depth=4
	s_or_b32 exec_lo, exec_lo, s73
	s_and_saveexec_b32 s73, s16
	s_cbranch_execz .LBB6_4260
.LBB6_4259:                             ;   in Loop: Header=BB6_3887 Depth=4
	v_and_b32_e32 v86, 7, v85
	v_lshrrev_b16 v99, 3, v85
	v_lshlrev_b32_e32 v60, 24, v85
	v_ffbh_u32_e32 v87, v86
	v_and_b32_e32 v99, 15, v99
	v_min_u32_e32 v87, 32, v87
	v_cmp_eq_u32_e32 vcc_lo, 0, v99
	v_subrev_nc_u32_e32 v46, 28, v87
	v_sub_nc_u32_e32 v87, 29, v87
	v_lshlrev_b32_e32 v46, v46, v85
	v_cndmask_b32_e32 v87, v99, v87, vcc_lo
	v_and_b32_e32 v99, 0x80000000, v60
	v_and_b32_e32 v46, 7, v46
	v_lshl_add_u32 v87, v87, 23, 0x3b800000
	v_cndmask_b32_e32 v86, v86, v46, vcc_lo
	v_lshlrev_b32_e32 v86, 20, v86
	v_or3_b32 v86, v99, v87, v86
.LBB6_4260:                             ;   in Loop: Header=BB6_3887 Depth=4
	s_or_b32 exec_lo, exec_lo, s73
	v_max_f32_e32 v86, v86, v86
	v_max_f32_e32 v87, v98, v98
	s_mov_b32 s16, 0
	v_max_f32_e32 v98, v87, v86
.LBB6_4261:                             ;   in Loop: Header=BB6_3887 Depth=4
	s_and_b32 vcc_lo, exec_lo, s16
	s_cbranch_vccz .LBB6_4275
; %bb.4262:                             ;   in Loop: Header=BB6_3887 Depth=4
	v_cmp_gt_i16_sdwa s73, v120, v61 src0_sel:BYTE_0 src1_sel:DWORD
	s_mov_b32 s16, 0
	s_and_saveexec_b32 s74, s73
	s_xor_b32 s73, exec_lo, s74
	s_cbranch_execz .LBB6_5121
; %bb.4263:                             ;   in Loop: Header=BB6_3887 Depth=4
	v_cmp_eq_u16_sdwa s75, v120, v62 src0_sel:BYTE_0 src1_sel:DWORD
	s_mov_b32 s16, -1
	s_and_saveexec_b32 s74, s75
; %bb.4264:                             ;   in Loop: Header=BB6_3887 Depth=4
	s_xor_b32 s16, exec_lo, -1
; %bb.4265:                             ;   in Loop: Header=BB6_3887 Depth=4
	s_or_b32 exec_lo, exec_lo, s74
	s_and_b32 s16, s16, exec_lo
	s_or_saveexec_b32 s73, s73
	v_mov_b32_e32 v98, 0x7f800001
	s_xor_b32 exec_lo, exec_lo, s73
	s_cbranch_execnz .LBB6_5122
.LBB6_4266:                             ;   in Loop: Header=BB6_3887 Depth=4
	s_or_b32 exec_lo, exec_lo, s73
	s_and_saveexec_b32 s73, s16
	s_cbranch_execz .LBB6_4268
.LBB6_4267:                             ;   in Loop: Header=BB6_3887 Depth=4
	v_and_b32_e32 v86, 7, v120
	v_lshrrev_b16 v98, 3, v120
	v_lshlrev_b32_e32 v46, 24, v120
	v_ffbh_u32_e32 v87, v86
	v_and_b32_e32 v98, 15, v98
	v_min_u32_e32 v87, 32, v87
	v_cmp_eq_u32_e32 vcc_lo, 0, v98
	v_subrev_nc_u32_e32 v99, 28, v87
	v_sub_nc_u32_e32 v87, 29, v87
	v_lshlrev_b32_e32 v99, v99, v120
	v_cndmask_b32_e32 v87, v98, v87, vcc_lo
	v_and_b32_e32 v98, 0x80000000, v46
	v_and_b32_e32 v99, 7, v99
	v_lshl_add_u32 v87, v87, 23, 0x3b800000
	v_cndmask_b32_e32 v86, v86, v99, vcc_lo
	v_lshlrev_b32_e32 v86, 20, v86
	v_or3_b32 v98, v98, v87, v86
.LBB6_4268:                             ;   in Loop: Header=BB6_3887 Depth=4
	s_or_b32 exec_lo, exec_lo, s73
	s_waitcnt vmcnt(21) lgkmcnt(21)
	v_cmp_gt_i16_sdwa s73, v85, v61 src0_sel:BYTE_0 src1_sel:DWORD
	s_mov_b32 s16, 0
	s_and_saveexec_b32 s74, s73
	s_xor_b32 s73, exec_lo, s74
	s_cbranch_execz .LBB6_5123
; %bb.4269:                             ;   in Loop: Header=BB6_3887 Depth=4
	v_cmp_eq_u16_sdwa s75, v85, v62 src0_sel:BYTE_0 src1_sel:DWORD
	s_mov_b32 s16, -1
	s_and_saveexec_b32 s74, s75
; %bb.4270:                             ;   in Loop: Header=BB6_3887 Depth=4
	s_xor_b32 s16, exec_lo, -1
; %bb.4271:                             ;   in Loop: Header=BB6_3887 Depth=4
	s_or_b32 exec_lo, exec_lo, s74
	s_and_b32 s16, s16, exec_lo
	s_or_saveexec_b32 s73, s73
	v_mov_b32_e32 v86, 0x7f800001
	s_xor_b32 exec_lo, exec_lo, s73
	s_cbranch_execnz .LBB6_5124
.LBB6_4272:                             ;   in Loop: Header=BB6_3887 Depth=4
	s_or_b32 exec_lo, exec_lo, s73
	s_and_saveexec_b32 s73, s16
	s_cbranch_execz .LBB6_4274
.LBB6_4273:                             ;   in Loop: Header=BB6_3887 Depth=4
	v_and_b32_e32 v86, 7, v85
	v_lshrrev_b16 v99, 3, v85
	v_ffbh_u32_e32 v87, v86
	v_and_b32_e32 v99, 15, v99
	v_min_u32_e32 v87, 32, v87
	v_cmp_eq_u32_e32 vcc_lo, 0, v99
	v_subrev_nc_u32_e32 v46, 28, v87
	v_sub_nc_u32_e32 v87, 29, v87
	v_lshlrev_b32_e32 v46, v46, v85
	v_lshlrev_b32_e32 v85, 24, v85
	v_cndmask_b32_e32 v87, v99, v87, vcc_lo
	v_and_b32_e32 v46, 7, v46
	v_and_b32_e32 v85, 0x80000000, v85
	v_lshl_add_u32 v87, v87, 23, 0x3b800000
	v_cndmask_b32_e32 v86, v86, v46, vcc_lo
	v_lshlrev_b32_e32 v86, 20, v86
	v_or3_b32 v86, v85, v87, v86
.LBB6_4274:                             ;   in Loop: Header=BB6_3887 Depth=4
	s_or_b32 exec_lo, exec_lo, s73
	v_max_f32_e32 v85, v86, v86
	v_max_f32_e32 v86, v98, v98
	v_min_f32_e32 v98, v86, v85
.LBB6_4275:                             ;   in Loop: Header=BB6_3887 Depth=4
	s_waitcnt vmcnt(21) lgkmcnt(21)
	v_and_b32_e32 v85, 0x7f800000, v98
	v_cmp_ne_u32_e32 vcc_lo, 0x7f800000, v85
	v_mov_b32_e32 v85, 0x80
	s_and_saveexec_b32 s73, vcc_lo
	s_cbranch_execz .LBB6_4283
; %bb.4276:                             ;   in Loop: Header=BB6_3887 Depth=4
	v_mov_b32_e32 v85, 0
	s_mov_b32 s74, exec_lo
	v_cmpx_ne_u32_e32 0, v98
	s_cbranch_execz .LBB6_4282
; %bb.4277:                             ;   in Loop: Header=BB6_3887 Depth=4
	v_bfe_u32 v86, v98, 23, 8
	v_and_b32_e32 v85, 0x7fffff, v98
                                        ; implicit-def: $vgpr60
	v_cmp_gt_u32_e64 s16, 0x79, v86
	v_sub_nc_u32_e32 v87, 0x78, v86
	v_cmp_eq_u32_e32 vcc_lo, 0, v86
	v_or_b32_e32 v99, 0x800000, v85
	v_cndmask_b32_e64 v87, 0, v87, s16
	v_cndmask_b32_e32 v85, v99, v85, vcc_lo
	v_cndmask_b32_e64 v87, v87, 0x77, vcc_lo
	v_lshl_add_u32 v99, 0x100000, v87, -1
	v_lshlrev_b32_e64 v46, v87, 0x80000
	v_and_b32_e32 v99, v99, v85
	v_cmp_eq_u32_e64 s16, v99, v46
	v_lshrrev_b32_e32 v46, v87, v85
	v_add_nc_u32_e32 v85, 0xffffff89, v86
	v_lshrrev_b32_e32 v86, 23, v46
	v_cndmask_b32_e64 v85, v85, 0xffffff8a, vcc_lo
	v_xor_b32_e32 v99, 1, v86
	v_bfe_u32 v86, v46, 20, 1
	v_add_nc_u32_e32 v85, v87, v85
	v_add_nc_u32_e32 v86, -1, v86
	v_cndmask_b32_e64 v86, 0, v86, s16
	s_mov_b32 s16, exec_lo
	v_add_nc_u32_e32 v86, v86, v46
	v_and_b32_e32 v86, 0xfffff, v86
	v_add_nc_u32_e32 v46, v86, v46
	v_cmpx_ne_u32_e64 v85, v99
	s_xor_b32 s16, exec_lo, s16
; %bb.4278:                             ;   in Loop: Header=BB6_3887 Depth=4
	v_cmp_lt_u32_e32 vcc_lo, 0xffffff, v46
	v_sub_nc_u32_e32 v85, v85, v99
	v_cndmask_b32_e64 v86, 0, 1, vcc_lo
	v_add_co_ci_u32_e64 v60, null, 0, v85, vcc_lo
	v_lshrrev_b32_e32 v46, v86, v46
; %bb.4279:                             ;   in Loop: Header=BB6_3887 Depth=4
	s_andn2_saveexec_b32 s16, s16
; %bb.4280:                             ;   in Loop: Header=BB6_3887 Depth=4
	v_bfe_u32 v60, v46, 23, 1
; %bb.4281:                             ;   in Loop: Header=BB6_3887 Depth=4
	s_or_b32 exec_lo, exec_lo, s16
	v_lshrrev_b32_e32 v86, 20, v46
	v_cmp_gt_i32_e32 vcc_lo, 16, v60
	v_min_i32_e32 v87, 15, v60
	v_and_b32_sdwa v85, v98, v62 dst_sel:DWORD dst_unused:UNUSED_PAD src0_sel:BYTE_3 src1_sel:DWORD
	v_cndmask_b32_e32 v86, 7, v86, vcc_lo
	v_lshlrev_b32_e32 v87, 3, v87
	v_or_b32_e32 v98, v60, v86
	v_and_b32_e32 v86, 7, v86
	v_cmp_ne_u32_e32 vcc_lo, 0, v98
	v_or3_b32 v85, v87, v85, v86
	v_cndmask_b32_e32 v85, 0, v85, vcc_lo
.LBB6_4282:                             ;   in Loop: Header=BB6_3887 Depth=4
	s_or_b32 exec_lo, exec_lo, s74
.LBB6_4283:                             ;   in Loop: Header=BB6_3887 Depth=4
	s_or_b32 exec_lo, exec_lo, s73
	v_cmp_gt_i16_sdwa s73, v111, v61 src0_sel:BYTE_0 src1_sel:DWORD
	s_andn2_b32 vcc_lo, exec_lo, s63
	s_mov_b32 s16, -1
                                        ; implicit-def: $vgpr98
	s_cbranch_vccnz .LBB6_4297
; %bb.4284:                             ;   in Loop: Header=BB6_3887 Depth=4
	s_mov_b32 s16, 0
	s_and_saveexec_b32 s74, s73
	s_xor_b32 s73, exec_lo, s74
	s_cbranch_execz .LBB6_5125
; %bb.4285:                             ;   in Loop: Header=BB6_3887 Depth=4
	v_cmp_eq_u16_sdwa s75, v111, v62 src0_sel:BYTE_0 src1_sel:DWORD
	s_mov_b32 s16, -1
	s_and_saveexec_b32 s74, s75
; %bb.4286:                             ;   in Loop: Header=BB6_3887 Depth=4
	s_xor_b32 s16, exec_lo, -1
; %bb.4287:                             ;   in Loop: Header=BB6_3887 Depth=4
	s_or_b32 exec_lo, exec_lo, s74
	s_and_b32 s16, s16, exec_lo
	s_or_saveexec_b32 s73, s73
	v_mov_b32_e32 v98, 0x7f800001
	s_xor_b32 exec_lo, exec_lo, s73
	s_cbranch_execnz .LBB6_5126
.LBB6_4288:                             ;   in Loop: Header=BB6_3887 Depth=4
	s_or_b32 exec_lo, exec_lo, s73
	s_and_saveexec_b32 s73, s16
	s_cbranch_execz .LBB6_4290
.LBB6_4289:                             ;   in Loop: Header=BB6_3887 Depth=4
	v_and_b32_e32 v86, 7, v111
	v_lshrrev_b16 v98, 3, v111
	v_lshlrev_b32_e32 v46, 24, v111
	v_ffbh_u32_e32 v87, v86
	v_and_b32_e32 v98, 15, v98
	v_min_u32_e32 v87, 32, v87
	v_cmp_eq_u32_e32 vcc_lo, 0, v98
	v_subrev_nc_u32_e32 v99, 28, v87
	v_sub_nc_u32_e32 v87, 29, v87
	v_lshlrev_b32_e32 v99, v99, v111
	v_cndmask_b32_e32 v87, v98, v87, vcc_lo
	v_and_b32_e32 v98, 0x80000000, v46
	v_and_b32_e32 v99, 7, v99
	v_lshl_add_u32 v87, v87, 23, 0x3b800000
	v_cndmask_b32_e32 v86, v86, v99, vcc_lo
	v_lshlrev_b32_e32 v86, 20, v86
	v_or3_b32 v98, v98, v87, v86
.LBB6_4290:                             ;   in Loop: Header=BB6_3887 Depth=4
	s_or_b32 exec_lo, exec_lo, s73
	s_waitcnt vmcnt(20) lgkmcnt(20)
	v_cmp_gt_i16_sdwa s73, v113, v61 src0_sel:BYTE_0 src1_sel:DWORD
	s_mov_b32 s16, 0
	s_and_saveexec_b32 s74, s73
	s_xor_b32 s73, exec_lo, s74
	s_cbranch_execz .LBB6_5127
; %bb.4291:                             ;   in Loop: Header=BB6_3887 Depth=4
	v_cmp_eq_u16_sdwa s75, v113, v62 src0_sel:BYTE_0 src1_sel:DWORD
	s_mov_b32 s16, -1
	s_and_saveexec_b32 s74, s75
; %bb.4292:                             ;   in Loop: Header=BB6_3887 Depth=4
	s_xor_b32 s16, exec_lo, -1
; %bb.4293:                             ;   in Loop: Header=BB6_3887 Depth=4
	s_or_b32 exec_lo, exec_lo, s74
	s_and_b32 s16, s16, exec_lo
	s_or_saveexec_b32 s73, s73
	v_mov_b32_e32 v86, 0x7f800001
	s_xor_b32 exec_lo, exec_lo, s73
	s_cbranch_execnz .LBB6_5128
.LBB6_4294:                             ;   in Loop: Header=BB6_3887 Depth=4
	s_or_b32 exec_lo, exec_lo, s73
	s_and_saveexec_b32 s73, s16
	s_cbranch_execz .LBB6_4296
.LBB6_4295:                             ;   in Loop: Header=BB6_3887 Depth=4
	v_and_b32_e32 v86, 7, v113
	v_lshrrev_b16 v99, 3, v113
	v_lshlrev_b32_e32 v60, 24, v113
	v_ffbh_u32_e32 v87, v86
	v_and_b32_e32 v99, 15, v99
	v_min_u32_e32 v87, 32, v87
	v_cmp_eq_u32_e32 vcc_lo, 0, v99
	v_subrev_nc_u32_e32 v46, 28, v87
	v_sub_nc_u32_e32 v87, 29, v87
	v_lshlrev_b32_e32 v46, v46, v113
	v_cndmask_b32_e32 v87, v99, v87, vcc_lo
	v_and_b32_e32 v99, 0x80000000, v60
	v_and_b32_e32 v46, 7, v46
	v_lshl_add_u32 v87, v87, 23, 0x3b800000
	v_cndmask_b32_e32 v86, v86, v46, vcc_lo
	v_lshlrev_b32_e32 v86, 20, v86
	v_or3_b32 v86, v99, v87, v86
.LBB6_4296:                             ;   in Loop: Header=BB6_3887 Depth=4
	s_or_b32 exec_lo, exec_lo, s73
	v_max_f32_e32 v86, v86, v86
	v_max_f32_e32 v87, v98, v98
	s_mov_b32 s16, 0
	v_max_f32_e32 v98, v87, v86
.LBB6_4297:                             ;   in Loop: Header=BB6_3887 Depth=4
	s_and_b32 vcc_lo, exec_lo, s16
	s_cbranch_vccz .LBB6_4311
; %bb.4298:                             ;   in Loop: Header=BB6_3887 Depth=4
	v_cmp_gt_i16_sdwa s73, v111, v61 src0_sel:BYTE_0 src1_sel:DWORD
	s_mov_b32 s16, 0
	s_and_saveexec_b32 s74, s73
	s_xor_b32 s73, exec_lo, s74
	s_cbranch_execz .LBB6_5129
; %bb.4299:                             ;   in Loop: Header=BB6_3887 Depth=4
	v_cmp_eq_u16_sdwa s75, v111, v62 src0_sel:BYTE_0 src1_sel:DWORD
	s_mov_b32 s16, -1
	s_and_saveexec_b32 s74, s75
; %bb.4300:                             ;   in Loop: Header=BB6_3887 Depth=4
	s_xor_b32 s16, exec_lo, -1
; %bb.4301:                             ;   in Loop: Header=BB6_3887 Depth=4
	s_or_b32 exec_lo, exec_lo, s74
	s_and_b32 s16, s16, exec_lo
	s_or_saveexec_b32 s73, s73
	v_mov_b32_e32 v98, 0x7f800001
	s_xor_b32 exec_lo, exec_lo, s73
	s_cbranch_execnz .LBB6_5130
.LBB6_4302:                             ;   in Loop: Header=BB6_3887 Depth=4
	s_or_b32 exec_lo, exec_lo, s73
	s_and_saveexec_b32 s73, s16
	s_cbranch_execz .LBB6_4304
.LBB6_4303:                             ;   in Loop: Header=BB6_3887 Depth=4
	v_and_b32_e32 v86, 7, v111
	v_lshrrev_b16 v98, 3, v111
	v_lshlrev_b32_e32 v46, 24, v111
	v_ffbh_u32_e32 v87, v86
	v_and_b32_e32 v98, 15, v98
	v_min_u32_e32 v87, 32, v87
	v_cmp_eq_u32_e32 vcc_lo, 0, v98
	v_subrev_nc_u32_e32 v99, 28, v87
	v_sub_nc_u32_e32 v87, 29, v87
	v_lshlrev_b32_e32 v99, v99, v111
	v_cndmask_b32_e32 v87, v98, v87, vcc_lo
	v_and_b32_e32 v98, 0x80000000, v46
	v_and_b32_e32 v99, 7, v99
	v_lshl_add_u32 v87, v87, 23, 0x3b800000
	v_cndmask_b32_e32 v86, v86, v99, vcc_lo
	v_lshlrev_b32_e32 v86, 20, v86
	v_or3_b32 v98, v98, v87, v86
.LBB6_4304:                             ;   in Loop: Header=BB6_3887 Depth=4
	s_or_b32 exec_lo, exec_lo, s73
	s_waitcnt vmcnt(20) lgkmcnt(20)
	v_cmp_gt_i16_sdwa s73, v113, v61 src0_sel:BYTE_0 src1_sel:DWORD
	s_mov_b32 s16, 0
	s_and_saveexec_b32 s74, s73
	s_xor_b32 s73, exec_lo, s74
	s_cbranch_execz .LBB6_5131
; %bb.4305:                             ;   in Loop: Header=BB6_3887 Depth=4
	v_cmp_eq_u16_sdwa s75, v113, v62 src0_sel:BYTE_0 src1_sel:DWORD
	s_mov_b32 s16, -1
	s_and_saveexec_b32 s74, s75
; %bb.4306:                             ;   in Loop: Header=BB6_3887 Depth=4
	s_xor_b32 s16, exec_lo, -1
; %bb.4307:                             ;   in Loop: Header=BB6_3887 Depth=4
	s_or_b32 exec_lo, exec_lo, s74
	s_and_b32 s16, s16, exec_lo
	s_or_saveexec_b32 s73, s73
	v_mov_b32_e32 v86, 0x7f800001
	s_xor_b32 exec_lo, exec_lo, s73
	s_cbranch_execnz .LBB6_5132
.LBB6_4308:                             ;   in Loop: Header=BB6_3887 Depth=4
	s_or_b32 exec_lo, exec_lo, s73
	s_and_saveexec_b32 s73, s16
	s_cbranch_execz .LBB6_4310
.LBB6_4309:                             ;   in Loop: Header=BB6_3887 Depth=4
	v_and_b32_e32 v86, 7, v113
	v_lshrrev_b16 v99, 3, v113
	v_ffbh_u32_e32 v87, v86
	v_and_b32_e32 v99, 15, v99
	v_min_u32_e32 v87, 32, v87
	v_cmp_eq_u32_e32 vcc_lo, 0, v99
	v_subrev_nc_u32_e32 v46, 28, v87
	v_sub_nc_u32_e32 v87, 29, v87
	v_lshlrev_b32_e32 v46, v46, v113
	v_lshlrev_b32_e32 v113, 24, v113
	v_cndmask_b32_e32 v87, v99, v87, vcc_lo
	v_and_b32_e32 v46, 7, v46
	v_and_b32_e32 v99, 0x80000000, v113
	v_lshl_add_u32 v87, v87, 23, 0x3b800000
	v_cndmask_b32_e32 v86, v86, v46, vcc_lo
	v_lshlrev_b32_e32 v86, 20, v86
	v_or3_b32 v86, v99, v87, v86
.LBB6_4310:                             ;   in Loop: Header=BB6_3887 Depth=4
	s_or_b32 exec_lo, exec_lo, s73
	v_max_f32_e32 v86, v86, v86
	v_max_f32_e32 v87, v98, v98
	v_min_f32_e32 v98, v87, v86
.LBB6_4311:                             ;   in Loop: Header=BB6_3887 Depth=4
	v_and_b32_e32 v86, 0x7f800000, v98
	s_waitcnt vmcnt(20) lgkmcnt(20)
	v_mov_b32_e32 v113, 0x80
	s_mov_b32 s73, exec_lo
	v_cmpx_ne_u32_e32 0x7f800000, v86
	s_cbranch_execz .LBB6_4319
; %bb.4312:                             ;   in Loop: Header=BB6_3887 Depth=4
	v_mov_b32_e32 v113, 0
	s_mov_b32 s74, exec_lo
	v_cmpx_ne_u32_e32 0, v98
	s_cbranch_execz .LBB6_4318
; %bb.4313:                             ;   in Loop: Header=BB6_3887 Depth=4
	v_bfe_u32 v87, v98, 23, 8
	v_and_b32_e32 v86, 0x7fffff, v98
                                        ; implicit-def: $vgpr60
	v_cmp_gt_u32_e64 s16, 0x79, v87
	v_sub_nc_u32_e32 v99, 0x78, v87
	v_cmp_eq_u32_e32 vcc_lo, 0, v87
	v_or_b32_e32 v113, 0x800000, v86
	v_add_nc_u32_e32 v87, 0xffffff89, v87
	v_cndmask_b32_e64 v99, 0, v99, s16
	v_cndmask_b32_e32 v86, v113, v86, vcc_lo
	v_cndmask_b32_e64 v87, v87, 0xffffff8a, vcc_lo
	v_cndmask_b32_e64 v99, v99, 0x77, vcc_lo
	v_lshl_add_u32 v113, 0x100000, v99, -1
	v_lshlrev_b32_e64 v46, v99, 0x80000
	v_and_b32_e32 v113, v113, v86
	v_lshrrev_b32_e32 v86, v99, v86
	v_add_nc_u32_e32 v99, v99, v87
	v_cmp_eq_u32_e64 s16, v113, v46
	v_lshrrev_b32_e32 v87, 23, v86
	v_xor_b32_e32 v113, 1, v87
	v_bfe_u32 v87, v86, 20, 1
	v_add_nc_u32_e32 v87, -1, v87
	v_cndmask_b32_e64 v87, 0, v87, s16
	s_mov_b32 s16, exec_lo
	v_add_nc_u32_e32 v87, v87, v86
	v_and_b32_e32 v87, 0xfffff, v87
	v_add_nc_u32_e32 v46, v87, v86
	v_cmpx_ne_u32_e64 v99, v113
	s_xor_b32 s16, exec_lo, s16
; %bb.4314:                             ;   in Loop: Header=BB6_3887 Depth=4
	v_cmp_lt_u32_e32 vcc_lo, 0xffffff, v46
	v_sub_nc_u32_e32 v86, v99, v113
	v_cndmask_b32_e64 v87, 0, 1, vcc_lo
	v_add_co_ci_u32_e64 v60, null, 0, v86, vcc_lo
	v_lshrrev_b32_e32 v46, v87, v46
; %bb.4315:                             ;   in Loop: Header=BB6_3887 Depth=4
	s_andn2_saveexec_b32 s16, s16
; %bb.4316:                             ;   in Loop: Header=BB6_3887 Depth=4
	v_bfe_u32 v60, v46, 23, 1
; %bb.4317:                             ;   in Loop: Header=BB6_3887 Depth=4
	s_or_b32 exec_lo, exec_lo, s16
	v_lshrrev_b32_e32 v87, 20, v46
	v_cmp_gt_i32_e32 vcc_lo, 16, v60
	v_and_b32_sdwa v86, v98, v62 dst_sel:DWORD dst_unused:UNUSED_PAD src0_sel:BYTE_3 src1_sel:DWORD
	v_min_i32_e32 v98, 15, v60
	v_cndmask_b32_e32 v87, 7, v87, vcc_lo
	v_lshlrev_b32_e32 v98, 3, v98
	v_or_b32_e32 v99, v60, v87
	v_and_b32_e32 v87, 7, v87
	v_cmp_ne_u32_e32 vcc_lo, 0, v99
	v_or3_b32 v86, v98, v86, v87
	v_cndmask_b32_e32 v113, 0, v86, vcc_lo
.LBB6_4318:                             ;   in Loop: Header=BB6_3887 Depth=4
	s_or_b32 exec_lo, exec_lo, s74
.LBB6_4319:                             ;   in Loop: Header=BB6_3887 Depth=4
	s_or_b32 exec_lo, exec_lo, s73
	v_cmp_gt_i16_sdwa s73, v110, v61 src0_sel:BYTE_0 src1_sel:DWORD
	s_andn2_b32 vcc_lo, exec_lo, s63
	s_mov_b32 s16, -1
                                        ; implicit-def: $vgpr98
	s_cbranch_vccnz .LBB6_4333
; %bb.4320:                             ;   in Loop: Header=BB6_3887 Depth=4
	s_mov_b32 s16, 0
	s_and_saveexec_b32 s74, s73
	s_xor_b32 s73, exec_lo, s74
	s_cbranch_execz .LBB6_5133
; %bb.4321:                             ;   in Loop: Header=BB6_3887 Depth=4
	v_cmp_eq_u16_sdwa s75, v110, v62 src0_sel:BYTE_0 src1_sel:DWORD
	s_mov_b32 s16, -1
	s_and_saveexec_b32 s74, s75
; %bb.4322:                             ;   in Loop: Header=BB6_3887 Depth=4
	s_xor_b32 s16, exec_lo, -1
; %bb.4323:                             ;   in Loop: Header=BB6_3887 Depth=4
	s_or_b32 exec_lo, exec_lo, s74
	s_and_b32 s16, s16, exec_lo
	s_or_saveexec_b32 s73, s73
	v_mov_b32_e32 v98, 0x7f800001
	s_xor_b32 exec_lo, exec_lo, s73
	s_cbranch_execnz .LBB6_5134
.LBB6_4324:                             ;   in Loop: Header=BB6_3887 Depth=4
	s_or_b32 exec_lo, exec_lo, s73
	s_and_saveexec_b32 s73, s16
	s_cbranch_execz .LBB6_4326
.LBB6_4325:                             ;   in Loop: Header=BB6_3887 Depth=4
	v_and_b32_e32 v86, 7, v110
	v_lshrrev_b16 v98, 3, v110
	v_lshlrev_b32_e32 v46, 24, v110
	v_ffbh_u32_e32 v87, v86
	v_and_b32_e32 v98, 15, v98
	v_min_u32_e32 v87, 32, v87
	v_cmp_eq_u32_e32 vcc_lo, 0, v98
	v_subrev_nc_u32_e32 v99, 28, v87
	v_sub_nc_u32_e32 v87, 29, v87
	v_lshlrev_b32_e32 v99, v99, v110
	v_cndmask_b32_e32 v87, v98, v87, vcc_lo
	v_and_b32_e32 v98, 0x80000000, v46
	v_and_b32_e32 v99, 7, v99
	v_lshl_add_u32 v87, v87, 23, 0x3b800000
	v_cndmask_b32_e32 v86, v86, v99, vcc_lo
	v_lshlrev_b32_e32 v86, 20, v86
	v_or3_b32 v98, v98, v87, v86
.LBB6_4326:                             ;   in Loop: Header=BB6_3887 Depth=4
	s_or_b32 exec_lo, exec_lo, s73
	s_waitcnt vmcnt(19) lgkmcnt(19)
	v_cmp_gt_i16_sdwa s73, v116, v61 src0_sel:BYTE_0 src1_sel:DWORD
	s_mov_b32 s16, 0
	s_and_saveexec_b32 s74, s73
	s_xor_b32 s73, exec_lo, s74
	s_cbranch_execz .LBB6_5135
; %bb.4327:                             ;   in Loop: Header=BB6_3887 Depth=4
	v_cmp_eq_u16_sdwa s75, v116, v62 src0_sel:BYTE_0 src1_sel:DWORD
	s_mov_b32 s16, -1
	s_and_saveexec_b32 s74, s75
; %bb.4328:                             ;   in Loop: Header=BB6_3887 Depth=4
	s_xor_b32 s16, exec_lo, -1
; %bb.4329:                             ;   in Loop: Header=BB6_3887 Depth=4
	s_or_b32 exec_lo, exec_lo, s74
	s_and_b32 s16, s16, exec_lo
	s_or_saveexec_b32 s73, s73
	v_mov_b32_e32 v86, 0x7f800001
	s_xor_b32 exec_lo, exec_lo, s73
	s_cbranch_execnz .LBB6_5136
.LBB6_4330:                             ;   in Loop: Header=BB6_3887 Depth=4
	s_or_b32 exec_lo, exec_lo, s73
	s_and_saveexec_b32 s73, s16
	s_cbranch_execz .LBB6_4332
.LBB6_4331:                             ;   in Loop: Header=BB6_3887 Depth=4
	v_and_b32_e32 v86, 7, v116
	v_lshrrev_b16 v99, 3, v116
	v_lshlrev_b32_e32 v60, 24, v116
	v_ffbh_u32_e32 v87, v86
	v_and_b32_e32 v99, 15, v99
	v_min_u32_e32 v87, 32, v87
	v_cmp_eq_u32_e32 vcc_lo, 0, v99
	v_subrev_nc_u32_e32 v46, 28, v87
	v_sub_nc_u32_e32 v87, 29, v87
	v_lshlrev_b32_e32 v46, v46, v116
	v_cndmask_b32_e32 v87, v99, v87, vcc_lo
	v_and_b32_e32 v99, 0x80000000, v60
	v_and_b32_e32 v46, 7, v46
	v_lshl_add_u32 v87, v87, 23, 0x3b800000
	v_cndmask_b32_e32 v86, v86, v46, vcc_lo
	v_lshlrev_b32_e32 v86, 20, v86
	v_or3_b32 v86, v99, v87, v86
.LBB6_4332:                             ;   in Loop: Header=BB6_3887 Depth=4
	s_or_b32 exec_lo, exec_lo, s73
	v_max_f32_e32 v86, v86, v86
	v_max_f32_e32 v87, v98, v98
	s_mov_b32 s16, 0
	v_max_f32_e32 v98, v87, v86
.LBB6_4333:                             ;   in Loop: Header=BB6_3887 Depth=4
	s_and_b32 vcc_lo, exec_lo, s16
	s_cbranch_vccz .LBB6_4347
; %bb.4334:                             ;   in Loop: Header=BB6_3887 Depth=4
	v_cmp_gt_i16_sdwa s73, v110, v61 src0_sel:BYTE_0 src1_sel:DWORD
	s_mov_b32 s16, 0
	s_and_saveexec_b32 s74, s73
	s_xor_b32 s73, exec_lo, s74
	s_cbranch_execz .LBB6_5137
; %bb.4335:                             ;   in Loop: Header=BB6_3887 Depth=4
	v_cmp_eq_u16_sdwa s75, v110, v62 src0_sel:BYTE_0 src1_sel:DWORD
	s_mov_b32 s16, -1
	s_and_saveexec_b32 s74, s75
; %bb.4336:                             ;   in Loop: Header=BB6_3887 Depth=4
	s_xor_b32 s16, exec_lo, -1
; %bb.4337:                             ;   in Loop: Header=BB6_3887 Depth=4
	s_or_b32 exec_lo, exec_lo, s74
	s_and_b32 s16, s16, exec_lo
	s_or_saveexec_b32 s73, s73
	v_mov_b32_e32 v98, 0x7f800001
	s_xor_b32 exec_lo, exec_lo, s73
	s_cbranch_execnz .LBB6_5138
.LBB6_4338:                             ;   in Loop: Header=BB6_3887 Depth=4
	s_or_b32 exec_lo, exec_lo, s73
	s_and_saveexec_b32 s73, s16
	s_cbranch_execz .LBB6_4340
.LBB6_4339:                             ;   in Loop: Header=BB6_3887 Depth=4
	v_and_b32_e32 v86, 7, v110
	v_lshrrev_b16 v98, 3, v110
	v_lshlrev_b32_e32 v46, 24, v110
	v_ffbh_u32_e32 v87, v86
	v_and_b32_e32 v98, 15, v98
	v_min_u32_e32 v87, 32, v87
	v_cmp_eq_u32_e32 vcc_lo, 0, v98
	v_subrev_nc_u32_e32 v99, 28, v87
	v_sub_nc_u32_e32 v87, 29, v87
	v_lshlrev_b32_e32 v99, v99, v110
	v_cndmask_b32_e32 v87, v98, v87, vcc_lo
	v_and_b32_e32 v98, 0x80000000, v46
	v_and_b32_e32 v99, 7, v99
	v_lshl_add_u32 v87, v87, 23, 0x3b800000
	v_cndmask_b32_e32 v86, v86, v99, vcc_lo
	v_lshlrev_b32_e32 v86, 20, v86
	v_or3_b32 v98, v98, v87, v86
.LBB6_4340:                             ;   in Loop: Header=BB6_3887 Depth=4
	s_or_b32 exec_lo, exec_lo, s73
	s_waitcnt vmcnt(19) lgkmcnt(19)
	v_cmp_gt_i16_sdwa s73, v116, v61 src0_sel:BYTE_0 src1_sel:DWORD
	s_mov_b32 s16, 0
	s_and_saveexec_b32 s74, s73
	s_xor_b32 s73, exec_lo, s74
	s_cbranch_execz .LBB6_5139
; %bb.4341:                             ;   in Loop: Header=BB6_3887 Depth=4
	v_cmp_eq_u16_sdwa s75, v116, v62 src0_sel:BYTE_0 src1_sel:DWORD
	s_mov_b32 s16, -1
	s_and_saveexec_b32 s74, s75
; %bb.4342:                             ;   in Loop: Header=BB6_3887 Depth=4
	s_xor_b32 s16, exec_lo, -1
; %bb.4343:                             ;   in Loop: Header=BB6_3887 Depth=4
	s_or_b32 exec_lo, exec_lo, s74
	s_and_b32 s16, s16, exec_lo
	s_or_saveexec_b32 s73, s73
	v_mov_b32_e32 v86, 0x7f800001
	s_xor_b32 exec_lo, exec_lo, s73
	s_cbranch_execnz .LBB6_5140
.LBB6_4344:                             ;   in Loop: Header=BB6_3887 Depth=4
	s_or_b32 exec_lo, exec_lo, s73
	s_and_saveexec_b32 s73, s16
	s_cbranch_execz .LBB6_4346
.LBB6_4345:                             ;   in Loop: Header=BB6_3887 Depth=4
	v_and_b32_e32 v86, 7, v116
	v_lshrrev_b16 v99, 3, v116
	v_ffbh_u32_e32 v87, v86
	v_and_b32_e32 v99, 15, v99
	v_min_u32_e32 v87, 32, v87
	v_cmp_eq_u32_e32 vcc_lo, 0, v99
	v_subrev_nc_u32_e32 v46, 28, v87
	v_sub_nc_u32_e32 v87, 29, v87
	v_lshlrev_b32_e32 v46, v46, v116
	v_lshlrev_b32_e32 v116, 24, v116
	v_cndmask_b32_e32 v87, v99, v87, vcc_lo
	v_and_b32_e32 v46, 7, v46
	v_and_b32_e32 v99, 0x80000000, v116
	v_lshl_add_u32 v87, v87, 23, 0x3b800000
	v_cndmask_b32_e32 v86, v86, v46, vcc_lo
	v_lshlrev_b32_e32 v86, 20, v86
	v_or3_b32 v86, v99, v87, v86
.LBB6_4346:                             ;   in Loop: Header=BB6_3887 Depth=4
	s_or_b32 exec_lo, exec_lo, s73
	v_max_f32_e32 v86, v86, v86
	v_max_f32_e32 v87, v98, v98
	v_min_f32_e32 v98, v87, v86
.LBB6_4347:                             ;   in Loop: Header=BB6_3887 Depth=4
	v_and_b32_e32 v86, 0x7f800000, v98
	s_waitcnt vmcnt(19) lgkmcnt(19)
	v_mov_b32_e32 v116, 0x80
	s_mov_b32 s73, exec_lo
	v_cmpx_ne_u32_e32 0x7f800000, v86
	s_cbranch_execz .LBB6_4355
; %bb.4348:                             ;   in Loop: Header=BB6_3887 Depth=4
	v_mov_b32_e32 v116, 0
	s_mov_b32 s74, exec_lo
	v_cmpx_ne_u32_e32 0, v98
	s_cbranch_execz .LBB6_4354
; %bb.4349:                             ;   in Loop: Header=BB6_3887 Depth=4
	v_bfe_u32 v87, v98, 23, 8
	v_and_b32_e32 v86, 0x7fffff, v98
                                        ; implicit-def: $vgpr60
	v_cmp_gt_u32_e64 s16, 0x79, v87
	v_sub_nc_u32_e32 v99, 0x78, v87
	v_cmp_eq_u32_e32 vcc_lo, 0, v87
	v_or_b32_e32 v116, 0x800000, v86
	v_add_nc_u32_e32 v87, 0xffffff89, v87
	v_cndmask_b32_e64 v99, 0, v99, s16
	v_cndmask_b32_e32 v86, v116, v86, vcc_lo
	v_cndmask_b32_e64 v87, v87, 0xffffff8a, vcc_lo
	v_cndmask_b32_e64 v99, v99, 0x77, vcc_lo
	v_lshl_add_u32 v116, 0x100000, v99, -1
	v_lshlrev_b32_e64 v46, v99, 0x80000
	v_and_b32_e32 v116, v116, v86
	v_lshrrev_b32_e32 v86, v99, v86
	v_add_nc_u32_e32 v99, v99, v87
	v_cmp_eq_u32_e64 s16, v116, v46
	v_lshrrev_b32_e32 v87, 23, v86
	v_xor_b32_e32 v116, 1, v87
	v_bfe_u32 v87, v86, 20, 1
	v_add_nc_u32_e32 v87, -1, v87
	v_cndmask_b32_e64 v87, 0, v87, s16
	s_mov_b32 s16, exec_lo
	v_add_nc_u32_e32 v87, v87, v86
	v_and_b32_e32 v87, 0xfffff, v87
	v_add_nc_u32_e32 v46, v87, v86
	v_cmpx_ne_u32_e64 v99, v116
	s_xor_b32 s16, exec_lo, s16
; %bb.4350:                             ;   in Loop: Header=BB6_3887 Depth=4
	v_cmp_lt_u32_e32 vcc_lo, 0xffffff, v46
	v_sub_nc_u32_e32 v86, v99, v116
	v_cndmask_b32_e64 v87, 0, 1, vcc_lo
	v_add_co_ci_u32_e64 v60, null, 0, v86, vcc_lo
	v_lshrrev_b32_e32 v46, v87, v46
; %bb.4351:                             ;   in Loop: Header=BB6_3887 Depth=4
	s_andn2_saveexec_b32 s16, s16
; %bb.4352:                             ;   in Loop: Header=BB6_3887 Depth=4
	v_bfe_u32 v60, v46, 23, 1
; %bb.4353:                             ;   in Loop: Header=BB6_3887 Depth=4
	s_or_b32 exec_lo, exec_lo, s16
	v_lshrrev_b32_e32 v87, 20, v46
	v_cmp_gt_i32_e32 vcc_lo, 16, v60
	v_and_b32_sdwa v86, v98, v62 dst_sel:DWORD dst_unused:UNUSED_PAD src0_sel:BYTE_3 src1_sel:DWORD
	v_min_i32_e32 v98, 15, v60
	v_cndmask_b32_e32 v87, 7, v87, vcc_lo
	v_lshlrev_b32_e32 v98, 3, v98
	v_or_b32_e32 v99, v60, v87
	v_and_b32_e32 v87, 7, v87
	v_cmp_ne_u32_e32 vcc_lo, 0, v99
	v_or3_b32 v86, v98, v86, v87
	v_cndmask_b32_e32 v116, 0, v86, vcc_lo
.LBB6_4354:                             ;   in Loop: Header=BB6_3887 Depth=4
	s_or_b32 exec_lo, exec_lo, s74
.LBB6_4355:                             ;   in Loop: Header=BB6_3887 Depth=4
	s_or_b32 exec_lo, exec_lo, s73
	v_cmp_gt_i16_sdwa s73, v57, v61 src0_sel:BYTE_0 src1_sel:DWORD
	s_andn2_b32 vcc_lo, exec_lo, s63
	s_mov_b32 s16, -1
                                        ; implicit-def: $vgpr98
	s_cbranch_vccnz .LBB6_4369
; %bb.4356:                             ;   in Loop: Header=BB6_3887 Depth=4
	s_mov_b32 s16, 0
	s_and_saveexec_b32 s74, s73
	s_xor_b32 s73, exec_lo, s74
	s_cbranch_execz .LBB6_5141
; %bb.4357:                             ;   in Loop: Header=BB6_3887 Depth=4
	v_cmp_eq_u16_sdwa s75, v57, v62 src0_sel:BYTE_0 src1_sel:DWORD
	s_mov_b32 s16, -1
	s_and_saveexec_b32 s74, s75
; %bb.4358:                             ;   in Loop: Header=BB6_3887 Depth=4
	s_xor_b32 s16, exec_lo, -1
; %bb.4359:                             ;   in Loop: Header=BB6_3887 Depth=4
	s_or_b32 exec_lo, exec_lo, s74
	s_and_b32 s16, s16, exec_lo
	s_or_saveexec_b32 s73, s73
	v_mov_b32_e32 v98, 0x7f800001
	s_xor_b32 exec_lo, exec_lo, s73
	s_cbranch_execnz .LBB6_5142
.LBB6_4360:                             ;   in Loop: Header=BB6_3887 Depth=4
	s_or_b32 exec_lo, exec_lo, s73
	s_and_saveexec_b32 s73, s16
	s_cbranch_execz .LBB6_4362
.LBB6_4361:                             ;   in Loop: Header=BB6_3887 Depth=4
	v_and_b32_e32 v86, 7, v57
	v_lshrrev_b16 v98, 3, v57
	v_lshlrev_b32_e32 v46, 24, v57
	v_ffbh_u32_e32 v87, v86
	v_and_b32_e32 v98, 15, v98
	v_min_u32_e32 v87, 32, v87
	v_cmp_eq_u32_e32 vcc_lo, 0, v98
	v_subrev_nc_u32_e32 v99, 28, v87
	v_sub_nc_u32_e32 v87, 29, v87
	v_lshlrev_b32_e32 v99, v99, v57
	v_cndmask_b32_e32 v87, v98, v87, vcc_lo
	v_and_b32_e32 v98, 0x80000000, v46
	v_and_b32_e32 v99, 7, v99
	v_lshl_add_u32 v87, v87, 23, 0x3b800000
	v_cndmask_b32_e32 v86, v86, v99, vcc_lo
	v_lshlrev_b32_e32 v86, 20, v86
	v_or3_b32 v98, v98, v87, v86
.LBB6_4362:                             ;   in Loop: Header=BB6_3887 Depth=4
	s_or_b32 exec_lo, exec_lo, s73
	s_waitcnt vmcnt(18) lgkmcnt(18)
	v_cmp_gt_i16_sdwa s73, v119, v61 src0_sel:BYTE_0 src1_sel:DWORD
	s_mov_b32 s16, 0
	s_and_saveexec_b32 s74, s73
	s_xor_b32 s73, exec_lo, s74
	s_cbranch_execz .LBB6_5143
; %bb.4363:                             ;   in Loop: Header=BB6_3887 Depth=4
	v_cmp_eq_u16_sdwa s75, v119, v62 src0_sel:BYTE_0 src1_sel:DWORD
	s_mov_b32 s16, -1
	s_and_saveexec_b32 s74, s75
; %bb.4364:                             ;   in Loop: Header=BB6_3887 Depth=4
	s_xor_b32 s16, exec_lo, -1
; %bb.4365:                             ;   in Loop: Header=BB6_3887 Depth=4
	s_or_b32 exec_lo, exec_lo, s74
	s_and_b32 s16, s16, exec_lo
	s_or_saveexec_b32 s73, s73
	v_mov_b32_e32 v86, 0x7f800001
	s_xor_b32 exec_lo, exec_lo, s73
	s_cbranch_execnz .LBB6_5144
.LBB6_4366:                             ;   in Loop: Header=BB6_3887 Depth=4
	s_or_b32 exec_lo, exec_lo, s73
	s_and_saveexec_b32 s73, s16
	s_cbranch_execz .LBB6_4368
.LBB6_4367:                             ;   in Loop: Header=BB6_3887 Depth=4
	v_and_b32_e32 v86, 7, v119
	v_lshrrev_b16 v99, 3, v119
	v_lshlrev_b32_e32 v60, 24, v119
	v_ffbh_u32_e32 v87, v86
	v_and_b32_e32 v99, 15, v99
	v_min_u32_e32 v87, 32, v87
	v_cmp_eq_u32_e32 vcc_lo, 0, v99
	v_subrev_nc_u32_e32 v46, 28, v87
	v_sub_nc_u32_e32 v87, 29, v87
	v_lshlrev_b32_e32 v46, v46, v119
	v_cndmask_b32_e32 v87, v99, v87, vcc_lo
	v_and_b32_e32 v99, 0x80000000, v60
	v_and_b32_e32 v46, 7, v46
	v_lshl_add_u32 v87, v87, 23, 0x3b800000
	v_cndmask_b32_e32 v86, v86, v46, vcc_lo
	v_lshlrev_b32_e32 v86, 20, v86
	v_or3_b32 v86, v99, v87, v86
.LBB6_4368:                             ;   in Loop: Header=BB6_3887 Depth=4
	s_or_b32 exec_lo, exec_lo, s73
	v_max_f32_e32 v86, v86, v86
	v_max_f32_e32 v87, v98, v98
	s_mov_b32 s16, 0
	v_max_f32_e32 v98, v87, v86
.LBB6_4369:                             ;   in Loop: Header=BB6_3887 Depth=4
	s_and_b32 vcc_lo, exec_lo, s16
	s_cbranch_vccz .LBB6_4383
; %bb.4370:                             ;   in Loop: Header=BB6_3887 Depth=4
	v_cmp_gt_i16_sdwa s73, v57, v61 src0_sel:BYTE_0 src1_sel:DWORD
	s_mov_b32 s16, 0
	s_and_saveexec_b32 s74, s73
	s_xor_b32 s73, exec_lo, s74
	s_cbranch_execz .LBB6_5145
; %bb.4371:                             ;   in Loop: Header=BB6_3887 Depth=4
	v_cmp_eq_u16_sdwa s75, v57, v62 src0_sel:BYTE_0 src1_sel:DWORD
	s_mov_b32 s16, -1
	s_and_saveexec_b32 s74, s75
; %bb.4372:                             ;   in Loop: Header=BB6_3887 Depth=4
	s_xor_b32 s16, exec_lo, -1
; %bb.4373:                             ;   in Loop: Header=BB6_3887 Depth=4
	s_or_b32 exec_lo, exec_lo, s74
	s_and_b32 s16, s16, exec_lo
	s_or_saveexec_b32 s73, s73
	v_mov_b32_e32 v98, 0x7f800001
	s_xor_b32 exec_lo, exec_lo, s73
	s_cbranch_execnz .LBB6_5146
.LBB6_4374:                             ;   in Loop: Header=BB6_3887 Depth=4
	s_or_b32 exec_lo, exec_lo, s73
	s_and_saveexec_b32 s73, s16
	s_cbranch_execz .LBB6_4376
.LBB6_4375:                             ;   in Loop: Header=BB6_3887 Depth=4
	v_and_b32_e32 v86, 7, v57
	v_lshrrev_b16 v98, 3, v57
	v_lshlrev_b32_e32 v46, 24, v57
	v_ffbh_u32_e32 v87, v86
	v_and_b32_e32 v98, 15, v98
	v_min_u32_e32 v87, 32, v87
	v_cmp_eq_u32_e32 vcc_lo, 0, v98
	v_subrev_nc_u32_e32 v99, 28, v87
	v_sub_nc_u32_e32 v87, 29, v87
	v_lshlrev_b32_e32 v99, v99, v57
	v_cndmask_b32_e32 v87, v98, v87, vcc_lo
	v_and_b32_e32 v98, 0x80000000, v46
	v_and_b32_e32 v99, 7, v99
	v_lshl_add_u32 v87, v87, 23, 0x3b800000
	v_cndmask_b32_e32 v86, v86, v99, vcc_lo
	v_lshlrev_b32_e32 v86, 20, v86
	v_or3_b32 v98, v98, v87, v86
.LBB6_4376:                             ;   in Loop: Header=BB6_3887 Depth=4
	s_or_b32 exec_lo, exec_lo, s73
	s_waitcnt vmcnt(18) lgkmcnt(18)
	v_cmp_gt_i16_sdwa s73, v119, v61 src0_sel:BYTE_0 src1_sel:DWORD
	s_mov_b32 s16, 0
	s_and_saveexec_b32 s74, s73
	s_xor_b32 s73, exec_lo, s74
	s_cbranch_execz .LBB6_5147
; %bb.4377:                             ;   in Loop: Header=BB6_3887 Depth=4
	v_cmp_eq_u16_sdwa s75, v119, v62 src0_sel:BYTE_0 src1_sel:DWORD
	s_mov_b32 s16, -1
	s_and_saveexec_b32 s74, s75
; %bb.4378:                             ;   in Loop: Header=BB6_3887 Depth=4
	s_xor_b32 s16, exec_lo, -1
; %bb.4379:                             ;   in Loop: Header=BB6_3887 Depth=4
	s_or_b32 exec_lo, exec_lo, s74
	s_and_b32 s16, s16, exec_lo
	s_or_saveexec_b32 s73, s73
	v_mov_b32_e32 v86, 0x7f800001
	s_xor_b32 exec_lo, exec_lo, s73
	s_cbranch_execnz .LBB6_5148
.LBB6_4380:                             ;   in Loop: Header=BB6_3887 Depth=4
	s_or_b32 exec_lo, exec_lo, s73
	s_and_saveexec_b32 s73, s16
	s_cbranch_execz .LBB6_4382
.LBB6_4381:                             ;   in Loop: Header=BB6_3887 Depth=4
	v_and_b32_e32 v86, 7, v119
	v_lshrrev_b16 v99, 3, v119
	v_ffbh_u32_e32 v87, v86
	v_and_b32_e32 v99, 15, v99
	v_min_u32_e32 v87, 32, v87
	v_cmp_eq_u32_e32 vcc_lo, 0, v99
	v_subrev_nc_u32_e32 v46, 28, v87
	v_sub_nc_u32_e32 v87, 29, v87
	v_lshlrev_b32_e32 v46, v46, v119
	v_lshlrev_b32_e32 v119, 24, v119
	v_cndmask_b32_e32 v87, v99, v87, vcc_lo
	v_and_b32_e32 v46, 7, v46
	v_and_b32_e32 v99, 0x80000000, v119
	v_lshl_add_u32 v87, v87, 23, 0x3b800000
	v_cndmask_b32_e32 v86, v86, v46, vcc_lo
	v_lshlrev_b32_e32 v86, 20, v86
	v_or3_b32 v86, v99, v87, v86
.LBB6_4382:                             ;   in Loop: Header=BB6_3887 Depth=4
	s_or_b32 exec_lo, exec_lo, s73
	v_max_f32_e32 v86, v86, v86
	v_max_f32_e32 v87, v98, v98
	v_min_f32_e32 v98, v87, v86
.LBB6_4383:                             ;   in Loop: Header=BB6_3887 Depth=4
	v_and_b32_e32 v86, 0x7f800000, v98
	s_waitcnt vmcnt(18) lgkmcnt(18)
	v_mov_b32_e32 v119, 0x80
	s_mov_b32 s73, exec_lo
	v_cmpx_ne_u32_e32 0x7f800000, v86
	s_cbranch_execz .LBB6_4391
; %bb.4384:                             ;   in Loop: Header=BB6_3887 Depth=4
	v_mov_b32_e32 v119, 0
	s_mov_b32 s74, exec_lo
	v_cmpx_ne_u32_e32 0, v98
	s_cbranch_execz .LBB6_4390
; %bb.4385:                             ;   in Loop: Header=BB6_3887 Depth=4
	v_bfe_u32 v87, v98, 23, 8
	v_and_b32_e32 v86, 0x7fffff, v98
                                        ; implicit-def: $vgpr57
	v_cmp_gt_u32_e64 s16, 0x79, v87
	v_sub_nc_u32_e32 v99, 0x78, v87
	v_cmp_eq_u32_e32 vcc_lo, 0, v87
	v_or_b32_e32 v119, 0x800000, v86
	v_add_nc_u32_e32 v87, 0xffffff89, v87
	v_cndmask_b32_e64 v99, 0, v99, s16
	v_cndmask_b32_e32 v86, v119, v86, vcc_lo
	v_cndmask_b32_e64 v87, v87, 0xffffff8a, vcc_lo
	v_cndmask_b32_e64 v99, v99, 0x77, vcc_lo
	v_lshl_add_u32 v119, 0x100000, v99, -1
	v_lshlrev_b32_e64 v46, v99, 0x80000
	v_and_b32_e32 v119, v119, v86
	v_lshrrev_b32_e32 v86, v99, v86
	v_add_nc_u32_e32 v99, v99, v87
	v_cmp_eq_u32_e64 s16, v119, v46
	v_lshrrev_b32_e32 v87, 23, v86
	v_xor_b32_e32 v119, 1, v87
	v_bfe_u32 v87, v86, 20, 1
	v_add_nc_u32_e32 v87, -1, v87
	v_cndmask_b32_e64 v87, 0, v87, s16
	s_mov_b32 s16, exec_lo
	v_add_nc_u32_e32 v87, v87, v86
	v_and_b32_e32 v87, 0xfffff, v87
	v_add_nc_u32_e32 v46, v87, v86
	v_cmpx_ne_u32_e64 v99, v119
	s_xor_b32 s16, exec_lo, s16
; %bb.4386:                             ;   in Loop: Header=BB6_3887 Depth=4
	v_cmp_lt_u32_e32 vcc_lo, 0xffffff, v46
	v_sub_nc_u32_e32 v86, v99, v119
	v_cndmask_b32_e64 v87, 0, 1, vcc_lo
	v_add_co_ci_u32_e64 v57, null, 0, v86, vcc_lo
	v_lshrrev_b32_e32 v46, v87, v46
; %bb.4387:                             ;   in Loop: Header=BB6_3887 Depth=4
	s_andn2_saveexec_b32 s16, s16
; %bb.4388:                             ;   in Loop: Header=BB6_3887 Depth=4
	v_bfe_u32 v57, v46, 23, 1
; %bb.4389:                             ;   in Loop: Header=BB6_3887 Depth=4
	s_or_b32 exec_lo, exec_lo, s16
	v_lshrrev_b32_e32 v87, 20, v46
	v_cmp_gt_i32_e32 vcc_lo, 16, v57
	v_and_b32_sdwa v86, v98, v62 dst_sel:DWORD dst_unused:UNUSED_PAD src0_sel:BYTE_3 src1_sel:DWORD
	v_min_i32_e32 v98, 15, v57
	v_cndmask_b32_e32 v87, 7, v87, vcc_lo
	v_lshlrev_b32_e32 v98, 3, v98
	v_or_b32_e32 v99, v57, v87
	v_and_b32_e32 v87, 7, v87
	v_cmp_ne_u32_e32 vcc_lo, 0, v99
	v_or3_b32 v86, v98, v86, v87
	v_cndmask_b32_e32 v119, 0, v86, vcc_lo
.LBB6_4390:                             ;   in Loop: Header=BB6_3887 Depth=4
	s_or_b32 exec_lo, exec_lo, s74
.LBB6_4391:                             ;   in Loop: Header=BB6_3887 Depth=4
	s_or_b32 exec_lo, exec_lo, s73
	v_cmp_gt_i16_sdwa s73, v109, v61 src0_sel:BYTE_0 src1_sel:DWORD
	s_andn2_b32 vcc_lo, exec_lo, s63
	s_mov_b32 s16, -1
                                        ; implicit-def: $vgpr98
	s_cbranch_vccnz .LBB6_4405
; %bb.4392:                             ;   in Loop: Header=BB6_3887 Depth=4
	s_mov_b32 s16, 0
	s_and_saveexec_b32 s74, s73
	s_xor_b32 s73, exec_lo, s74
	s_cbranch_execz .LBB6_5149
; %bb.4393:                             ;   in Loop: Header=BB6_3887 Depth=4
	v_cmp_eq_u16_sdwa s75, v109, v62 src0_sel:BYTE_0 src1_sel:DWORD
	s_mov_b32 s16, -1
	s_and_saveexec_b32 s74, s75
; %bb.4394:                             ;   in Loop: Header=BB6_3887 Depth=4
	s_xor_b32 s16, exec_lo, -1
; %bb.4395:                             ;   in Loop: Header=BB6_3887 Depth=4
	s_or_b32 exec_lo, exec_lo, s74
	s_and_b32 s16, s16, exec_lo
	s_or_saveexec_b32 s73, s73
	v_mov_b32_e32 v98, 0x7f800001
	s_xor_b32 exec_lo, exec_lo, s73
	s_cbranch_execnz .LBB6_5150
.LBB6_4396:                             ;   in Loop: Header=BB6_3887 Depth=4
	s_or_b32 exec_lo, exec_lo, s73
	s_and_saveexec_b32 s73, s16
	s_cbranch_execz .LBB6_4398
.LBB6_4397:                             ;   in Loop: Header=BB6_3887 Depth=4
	v_and_b32_e32 v86, 7, v109
	v_lshrrev_b16 v98, 3, v109
	v_lshlrev_b32_e32 v46, 24, v109
	v_ffbh_u32_e32 v87, v86
	v_and_b32_e32 v98, 15, v98
	v_min_u32_e32 v87, 32, v87
	v_cmp_eq_u32_e32 vcc_lo, 0, v98
	v_subrev_nc_u32_e32 v99, 28, v87
	v_sub_nc_u32_e32 v87, 29, v87
	v_lshlrev_b32_e32 v99, v99, v109
	v_cndmask_b32_e32 v87, v98, v87, vcc_lo
	v_and_b32_e32 v98, 0x80000000, v46
	v_and_b32_e32 v99, 7, v99
	v_lshl_add_u32 v87, v87, 23, 0x3b800000
	v_cndmask_b32_e32 v86, v86, v99, vcc_lo
	v_lshlrev_b32_e32 v86, 20, v86
	v_or3_b32 v98, v98, v87, v86
.LBB6_4398:                             ;   in Loop: Header=BB6_3887 Depth=4
	s_or_b32 exec_lo, exec_lo, s73
	s_waitcnt vmcnt(17) lgkmcnt(17)
	v_cmp_gt_i16_sdwa s73, v56, v61 src0_sel:BYTE_0 src1_sel:DWORD
	s_mov_b32 s16, 0
	s_and_saveexec_b32 s74, s73
	s_xor_b32 s73, exec_lo, s74
	s_cbranch_execz .LBB6_5151
; %bb.4399:                             ;   in Loop: Header=BB6_3887 Depth=4
	v_cmp_eq_u16_sdwa s75, v56, v62 src0_sel:BYTE_0 src1_sel:DWORD
	s_mov_b32 s16, -1
	s_and_saveexec_b32 s74, s75
; %bb.4400:                             ;   in Loop: Header=BB6_3887 Depth=4
	s_xor_b32 s16, exec_lo, -1
; %bb.4401:                             ;   in Loop: Header=BB6_3887 Depth=4
	s_or_b32 exec_lo, exec_lo, s74
	s_and_b32 s16, s16, exec_lo
	s_or_saveexec_b32 s73, s73
	v_mov_b32_e32 v86, 0x7f800001
	s_xor_b32 exec_lo, exec_lo, s73
	s_cbranch_execnz .LBB6_5152
.LBB6_4402:                             ;   in Loop: Header=BB6_3887 Depth=4
	s_or_b32 exec_lo, exec_lo, s73
	s_and_saveexec_b32 s73, s16
	s_cbranch_execz .LBB6_4404
.LBB6_4403:                             ;   in Loop: Header=BB6_3887 Depth=4
	v_and_b32_e32 v86, 7, v56
	v_lshrrev_b16 v99, 3, v56
	v_lshlrev_b32_e32 v57, 24, v56
	v_ffbh_u32_e32 v87, v86
	v_and_b32_e32 v99, 15, v99
	v_min_u32_e32 v87, 32, v87
	v_cmp_eq_u32_e32 vcc_lo, 0, v99
	v_subrev_nc_u32_e32 v46, 28, v87
	v_sub_nc_u32_e32 v87, 29, v87
	v_lshlrev_b32_e32 v46, v46, v56
	v_cndmask_b32_e32 v87, v99, v87, vcc_lo
	v_and_b32_e32 v99, 0x80000000, v57
	v_and_b32_e32 v46, 7, v46
	v_lshl_add_u32 v87, v87, 23, 0x3b800000
	v_cndmask_b32_e32 v86, v86, v46, vcc_lo
	v_lshlrev_b32_e32 v86, 20, v86
	v_or3_b32 v86, v99, v87, v86
.LBB6_4404:                             ;   in Loop: Header=BB6_3887 Depth=4
	s_or_b32 exec_lo, exec_lo, s73
	v_max_f32_e32 v86, v86, v86
	v_max_f32_e32 v87, v98, v98
	s_mov_b32 s16, 0
	v_max_f32_e32 v98, v87, v86
.LBB6_4405:                             ;   in Loop: Header=BB6_3887 Depth=4
	s_and_b32 vcc_lo, exec_lo, s16
	s_cbranch_vccz .LBB6_4419
; %bb.4406:                             ;   in Loop: Header=BB6_3887 Depth=4
	v_cmp_gt_i16_sdwa s73, v109, v61 src0_sel:BYTE_0 src1_sel:DWORD
	s_mov_b32 s16, 0
	s_and_saveexec_b32 s74, s73
	s_xor_b32 s73, exec_lo, s74
	s_cbranch_execz .LBB6_5153
; %bb.4407:                             ;   in Loop: Header=BB6_3887 Depth=4
	v_cmp_eq_u16_sdwa s75, v109, v62 src0_sel:BYTE_0 src1_sel:DWORD
	s_mov_b32 s16, -1
	s_and_saveexec_b32 s74, s75
; %bb.4408:                             ;   in Loop: Header=BB6_3887 Depth=4
	s_xor_b32 s16, exec_lo, -1
; %bb.4409:                             ;   in Loop: Header=BB6_3887 Depth=4
	s_or_b32 exec_lo, exec_lo, s74
	s_and_b32 s16, s16, exec_lo
	s_or_saveexec_b32 s73, s73
	v_mov_b32_e32 v98, 0x7f800001
	s_xor_b32 exec_lo, exec_lo, s73
	s_cbranch_execnz .LBB6_5154
.LBB6_4410:                             ;   in Loop: Header=BB6_3887 Depth=4
	s_or_b32 exec_lo, exec_lo, s73
	s_and_saveexec_b32 s73, s16
	s_cbranch_execz .LBB6_4412
.LBB6_4411:                             ;   in Loop: Header=BB6_3887 Depth=4
	v_and_b32_e32 v86, 7, v109
	v_lshrrev_b16 v98, 3, v109
	v_lshlrev_b32_e32 v46, 24, v109
	v_ffbh_u32_e32 v87, v86
	v_and_b32_e32 v98, 15, v98
	v_min_u32_e32 v87, 32, v87
	v_cmp_eq_u32_e32 vcc_lo, 0, v98
	v_subrev_nc_u32_e32 v99, 28, v87
	v_sub_nc_u32_e32 v87, 29, v87
	v_lshlrev_b32_e32 v99, v99, v109
	v_cndmask_b32_e32 v87, v98, v87, vcc_lo
	v_and_b32_e32 v98, 0x80000000, v46
	v_and_b32_e32 v99, 7, v99
	v_lshl_add_u32 v87, v87, 23, 0x3b800000
	v_cndmask_b32_e32 v86, v86, v99, vcc_lo
	v_lshlrev_b32_e32 v86, 20, v86
	v_or3_b32 v98, v98, v87, v86
.LBB6_4412:                             ;   in Loop: Header=BB6_3887 Depth=4
	s_or_b32 exec_lo, exec_lo, s73
	s_waitcnt vmcnt(17) lgkmcnt(17)
	v_cmp_gt_i16_sdwa s73, v56, v61 src0_sel:BYTE_0 src1_sel:DWORD
	s_mov_b32 s16, 0
	s_and_saveexec_b32 s74, s73
	s_xor_b32 s73, exec_lo, s74
	s_cbranch_execz .LBB6_5155
; %bb.4413:                             ;   in Loop: Header=BB6_3887 Depth=4
	v_cmp_eq_u16_sdwa s75, v56, v62 src0_sel:BYTE_0 src1_sel:DWORD
	s_mov_b32 s16, -1
	s_and_saveexec_b32 s74, s75
; %bb.4414:                             ;   in Loop: Header=BB6_3887 Depth=4
	s_xor_b32 s16, exec_lo, -1
; %bb.4415:                             ;   in Loop: Header=BB6_3887 Depth=4
	s_or_b32 exec_lo, exec_lo, s74
	s_and_b32 s16, s16, exec_lo
	s_or_saveexec_b32 s73, s73
	v_mov_b32_e32 v86, 0x7f800001
	s_xor_b32 exec_lo, exec_lo, s73
	s_cbranch_execnz .LBB6_5156
.LBB6_4416:                             ;   in Loop: Header=BB6_3887 Depth=4
	s_or_b32 exec_lo, exec_lo, s73
	s_and_saveexec_b32 s73, s16
	s_cbranch_execz .LBB6_4418
.LBB6_4417:                             ;   in Loop: Header=BB6_3887 Depth=4
	v_and_b32_e32 v86, 7, v56
	v_lshrrev_b16 v99, 3, v56
	v_ffbh_u32_e32 v87, v86
	v_and_b32_e32 v99, 15, v99
	v_min_u32_e32 v87, 32, v87
	v_cmp_eq_u32_e32 vcc_lo, 0, v99
	v_subrev_nc_u32_e32 v46, 28, v87
	v_sub_nc_u32_e32 v87, 29, v87
	v_lshlrev_b32_e32 v46, v46, v56
	v_lshlrev_b32_e32 v56, 24, v56
	v_cndmask_b32_e32 v87, v99, v87, vcc_lo
	v_and_b32_e32 v46, 7, v46
	v_and_b32_e32 v99, 0x80000000, v56
	v_lshl_add_u32 v87, v87, 23, 0x3b800000
	v_cndmask_b32_e32 v86, v86, v46, vcc_lo
	v_lshlrev_b32_e32 v86, 20, v86
	v_or3_b32 v86, v99, v87, v86
.LBB6_4418:                             ;   in Loop: Header=BB6_3887 Depth=4
	s_or_b32 exec_lo, exec_lo, s73
	v_max_f32_e32 v86, v86, v86
	v_max_f32_e32 v87, v98, v98
	v_min_f32_e32 v98, v87, v86
.LBB6_4419:                             ;   in Loop: Header=BB6_3887 Depth=4
	v_and_b32_e32 v86, 0x7f800000, v98
	s_waitcnt vmcnt(17) lgkmcnt(17)
	v_mov_b32_e32 v56, 0x80
	s_mov_b32 s73, exec_lo
	v_cmpx_ne_u32_e32 0x7f800000, v86
	s_cbranch_execz .LBB6_4427
; %bb.4420:                             ;   in Loop: Header=BB6_3887 Depth=4
	v_mov_b32_e32 v56, 0
	s_mov_b32 s74, exec_lo
	v_cmpx_ne_u32_e32 0, v98
	s_cbranch_execz .LBB6_4426
; %bb.4421:                             ;   in Loop: Header=BB6_3887 Depth=4
	v_bfe_u32 v87, v98, 23, 8
	v_and_b32_e32 v86, 0x7fffff, v98
                                        ; implicit-def: $vgpr57
	v_cmp_gt_u32_e64 s16, 0x79, v87
	v_sub_nc_u32_e32 v99, 0x78, v87
	v_cmp_eq_u32_e32 vcc_lo, 0, v87
	v_or_b32_e32 v46, 0x800000, v86
	v_add_nc_u32_e32 v87, 0xffffff89, v87
	v_cndmask_b32_e64 v99, 0, v99, s16
	v_cndmask_b32_e32 v86, v46, v86, vcc_lo
	v_cndmask_b32_e64 v87, v87, 0xffffff8a, vcc_lo
	v_cndmask_b32_e64 v99, v99, 0x77, vcc_lo
	v_lshl_add_u32 v46, 0x100000, v99, -1
	v_lshlrev_b32_e64 v56, v99, 0x80000
	v_and_b32_e32 v46, v46, v86
	v_lshrrev_b32_e32 v86, v99, v86
	v_add_nc_u32_e32 v99, v99, v87
	v_cmp_eq_u32_e64 s16, v46, v56
	v_lshrrev_b32_e32 v87, 23, v86
	v_xor_b32_e32 v46, 1, v87
	v_bfe_u32 v87, v86, 20, 1
	v_add_nc_u32_e32 v87, -1, v87
	v_cndmask_b32_e64 v87, 0, v87, s16
	s_mov_b32 s16, exec_lo
	v_add_nc_u32_e32 v87, v87, v86
	v_and_b32_e32 v87, 0xfffff, v87
	v_add_nc_u32_e32 v56, v87, v86
	v_cmpx_ne_u32_e64 v99, v46
	s_xor_b32 s16, exec_lo, s16
; %bb.4422:                             ;   in Loop: Header=BB6_3887 Depth=4
	v_cmp_lt_u32_e32 vcc_lo, 0xffffff, v56
	v_sub_nc_u32_e32 v86, v99, v46
	v_cndmask_b32_e64 v87, 0, 1, vcc_lo
	v_add_co_ci_u32_e64 v57, null, 0, v86, vcc_lo
	v_lshrrev_b32_e32 v56, v87, v56
; %bb.4423:                             ;   in Loop: Header=BB6_3887 Depth=4
	s_andn2_saveexec_b32 s16, s16
; %bb.4424:                             ;   in Loop: Header=BB6_3887 Depth=4
	v_bfe_u32 v57, v56, 23, 1
; %bb.4425:                             ;   in Loop: Header=BB6_3887 Depth=4
	s_or_b32 exec_lo, exec_lo, s16
	v_lshrrev_b32_e32 v87, 20, v56
	v_cmp_gt_i32_e32 vcc_lo, 16, v57
	v_and_b32_sdwa v86, v98, v62 dst_sel:DWORD dst_unused:UNUSED_PAD src0_sel:BYTE_3 src1_sel:DWORD
	v_min_i32_e32 v98, 15, v57
	v_cndmask_b32_e32 v87, 7, v87, vcc_lo
	v_lshlrev_b32_e32 v98, 3, v98
	v_or_b32_e32 v99, v57, v87
	v_and_b32_e32 v87, 7, v87
	v_cmp_ne_u32_e32 vcc_lo, 0, v99
	v_or3_b32 v86, v98, v86, v87
	v_cndmask_b32_e32 v56, 0, v86, vcc_lo
.LBB6_4426:                             ;   in Loop: Header=BB6_3887 Depth=4
	s_or_b32 exec_lo, exec_lo, s74
.LBB6_4427:                             ;   in Loop: Header=BB6_3887 Depth=4
	s_or_b32 exec_lo, exec_lo, s73
	v_cmp_gt_i16_sdwa s73, v108, v61 src0_sel:BYTE_0 src1_sel:DWORD
	s_andn2_b32 vcc_lo, exec_lo, s63
	s_mov_b32 s16, -1
                                        ; implicit-def: $vgpr98
	s_cbranch_vccnz .LBB6_4441
; %bb.4428:                             ;   in Loop: Header=BB6_3887 Depth=4
	s_mov_b32 s16, 0
	s_and_saveexec_b32 s74, s73
	s_xor_b32 s73, exec_lo, s74
	s_cbranch_execz .LBB6_5157
; %bb.4429:                             ;   in Loop: Header=BB6_3887 Depth=4
	v_cmp_eq_u16_sdwa s75, v108, v62 src0_sel:BYTE_0 src1_sel:DWORD
	s_mov_b32 s16, -1
	s_and_saveexec_b32 s74, s75
; %bb.4430:                             ;   in Loop: Header=BB6_3887 Depth=4
	s_xor_b32 s16, exec_lo, -1
; %bb.4431:                             ;   in Loop: Header=BB6_3887 Depth=4
	s_or_b32 exec_lo, exec_lo, s74
	s_and_b32 s16, s16, exec_lo
	s_or_saveexec_b32 s73, s73
	v_mov_b32_e32 v98, 0x7f800001
	s_xor_b32 exec_lo, exec_lo, s73
	s_cbranch_execnz .LBB6_5158
.LBB6_4432:                             ;   in Loop: Header=BB6_3887 Depth=4
	s_or_b32 exec_lo, exec_lo, s73
	s_and_saveexec_b32 s73, s16
	s_cbranch_execz .LBB6_4434
.LBB6_4433:                             ;   in Loop: Header=BB6_3887 Depth=4
	v_and_b32_e32 v86, 7, v108
	v_lshrrev_b16 v98, 3, v108
	v_lshlrev_b32_e32 v46, 24, v108
	v_ffbh_u32_e32 v87, v86
	v_and_b32_e32 v98, 15, v98
	v_min_u32_e32 v87, 32, v87
	v_cmp_eq_u32_e32 vcc_lo, 0, v98
	v_subrev_nc_u32_e32 v99, 28, v87
	v_sub_nc_u32_e32 v87, 29, v87
	v_lshlrev_b32_e32 v99, v99, v108
	v_cndmask_b32_e32 v87, v98, v87, vcc_lo
	v_and_b32_e32 v98, 0x80000000, v46
	v_and_b32_e32 v99, 7, v99
	v_lshl_add_u32 v87, v87, 23, 0x3b800000
	v_cndmask_b32_e32 v86, v86, v99, vcc_lo
	v_lshlrev_b32_e32 v86, 20, v86
	v_or3_b32 v98, v98, v87, v86
.LBB6_4434:                             ;   in Loop: Header=BB6_3887 Depth=4
	s_or_b32 exec_lo, exec_lo, s73
	s_waitcnt vmcnt(16) lgkmcnt(16)
	v_cmp_gt_i16_sdwa s73, v107, v61 src0_sel:BYTE_0 src1_sel:DWORD
	s_mov_b32 s16, 0
	s_and_saveexec_b32 s74, s73
	s_xor_b32 s73, exec_lo, s74
	s_cbranch_execz .LBB6_5159
; %bb.4435:                             ;   in Loop: Header=BB6_3887 Depth=4
	v_cmp_eq_u16_sdwa s75, v107, v62 src0_sel:BYTE_0 src1_sel:DWORD
	s_mov_b32 s16, -1
	s_and_saveexec_b32 s74, s75
; %bb.4436:                             ;   in Loop: Header=BB6_3887 Depth=4
	s_xor_b32 s16, exec_lo, -1
; %bb.4437:                             ;   in Loop: Header=BB6_3887 Depth=4
	s_or_b32 exec_lo, exec_lo, s74
	s_and_b32 s16, s16, exec_lo
	s_or_saveexec_b32 s73, s73
	v_mov_b32_e32 v86, 0x7f800001
	s_xor_b32 exec_lo, exec_lo, s73
	s_cbranch_execnz .LBB6_5160
.LBB6_4438:                             ;   in Loop: Header=BB6_3887 Depth=4
	s_or_b32 exec_lo, exec_lo, s73
	s_and_saveexec_b32 s73, s16
	s_cbranch_execz .LBB6_4440
.LBB6_4439:                             ;   in Loop: Header=BB6_3887 Depth=4
	v_and_b32_e32 v86, 7, v107
	v_lshrrev_b16 v99, 3, v107
	v_lshlrev_b32_e32 v57, 24, v107
	v_ffbh_u32_e32 v87, v86
	v_and_b32_e32 v99, 15, v99
	v_min_u32_e32 v87, 32, v87
	v_cmp_eq_u32_e32 vcc_lo, 0, v99
	v_subrev_nc_u32_e32 v46, 28, v87
	v_sub_nc_u32_e32 v87, 29, v87
	v_lshlrev_b32_e32 v46, v46, v107
	v_cndmask_b32_e32 v87, v99, v87, vcc_lo
	v_and_b32_e32 v99, 0x80000000, v57
	v_and_b32_e32 v46, 7, v46
	v_lshl_add_u32 v87, v87, 23, 0x3b800000
	v_cndmask_b32_e32 v86, v86, v46, vcc_lo
	v_lshlrev_b32_e32 v86, 20, v86
	v_or3_b32 v86, v99, v87, v86
.LBB6_4440:                             ;   in Loop: Header=BB6_3887 Depth=4
	s_or_b32 exec_lo, exec_lo, s73
	v_max_f32_e32 v86, v86, v86
	v_max_f32_e32 v87, v98, v98
	s_mov_b32 s16, 0
	v_max_f32_e32 v98, v87, v86
.LBB6_4441:                             ;   in Loop: Header=BB6_3887 Depth=4
	s_and_b32 vcc_lo, exec_lo, s16
	s_cbranch_vccz .LBB6_4455
; %bb.4442:                             ;   in Loop: Header=BB6_3887 Depth=4
	v_cmp_gt_i16_sdwa s73, v108, v61 src0_sel:BYTE_0 src1_sel:DWORD
	s_mov_b32 s16, 0
	s_and_saveexec_b32 s74, s73
	s_xor_b32 s73, exec_lo, s74
	s_cbranch_execz .LBB6_5161
; %bb.4443:                             ;   in Loop: Header=BB6_3887 Depth=4
	v_cmp_eq_u16_sdwa s75, v108, v62 src0_sel:BYTE_0 src1_sel:DWORD
	s_mov_b32 s16, -1
	s_and_saveexec_b32 s74, s75
; %bb.4444:                             ;   in Loop: Header=BB6_3887 Depth=4
	s_xor_b32 s16, exec_lo, -1
; %bb.4445:                             ;   in Loop: Header=BB6_3887 Depth=4
	s_or_b32 exec_lo, exec_lo, s74
	s_and_b32 s16, s16, exec_lo
	s_or_saveexec_b32 s73, s73
	v_mov_b32_e32 v98, 0x7f800001
	s_xor_b32 exec_lo, exec_lo, s73
	s_cbranch_execnz .LBB6_5162
.LBB6_4446:                             ;   in Loop: Header=BB6_3887 Depth=4
	s_or_b32 exec_lo, exec_lo, s73
	s_and_saveexec_b32 s73, s16
	s_cbranch_execz .LBB6_4448
.LBB6_4447:                             ;   in Loop: Header=BB6_3887 Depth=4
	v_and_b32_e32 v86, 7, v108
	v_lshrrev_b16 v98, 3, v108
	v_lshlrev_b32_e32 v46, 24, v108
	v_ffbh_u32_e32 v87, v86
	v_and_b32_e32 v98, 15, v98
	v_min_u32_e32 v87, 32, v87
	v_cmp_eq_u32_e32 vcc_lo, 0, v98
	v_subrev_nc_u32_e32 v99, 28, v87
	v_sub_nc_u32_e32 v87, 29, v87
	v_lshlrev_b32_e32 v99, v99, v108
	v_cndmask_b32_e32 v87, v98, v87, vcc_lo
	v_and_b32_e32 v98, 0x80000000, v46
	v_and_b32_e32 v99, 7, v99
	v_lshl_add_u32 v87, v87, 23, 0x3b800000
	v_cndmask_b32_e32 v86, v86, v99, vcc_lo
	v_lshlrev_b32_e32 v86, 20, v86
	v_or3_b32 v98, v98, v87, v86
.LBB6_4448:                             ;   in Loop: Header=BB6_3887 Depth=4
	s_or_b32 exec_lo, exec_lo, s73
	s_waitcnt vmcnt(16) lgkmcnt(16)
	v_cmp_gt_i16_sdwa s73, v107, v61 src0_sel:BYTE_0 src1_sel:DWORD
	s_mov_b32 s16, 0
	s_and_saveexec_b32 s74, s73
	s_xor_b32 s73, exec_lo, s74
	s_cbranch_execz .LBB6_5163
; %bb.4449:                             ;   in Loop: Header=BB6_3887 Depth=4
	v_cmp_eq_u16_sdwa s75, v107, v62 src0_sel:BYTE_0 src1_sel:DWORD
	s_mov_b32 s16, -1
	s_and_saveexec_b32 s74, s75
; %bb.4450:                             ;   in Loop: Header=BB6_3887 Depth=4
	s_xor_b32 s16, exec_lo, -1
; %bb.4451:                             ;   in Loop: Header=BB6_3887 Depth=4
	s_or_b32 exec_lo, exec_lo, s74
	s_and_b32 s16, s16, exec_lo
	s_or_saveexec_b32 s73, s73
	v_mov_b32_e32 v86, 0x7f800001
	s_xor_b32 exec_lo, exec_lo, s73
	s_cbranch_execnz .LBB6_5164
.LBB6_4452:                             ;   in Loop: Header=BB6_3887 Depth=4
	s_or_b32 exec_lo, exec_lo, s73
	s_and_saveexec_b32 s73, s16
	s_cbranch_execz .LBB6_4454
.LBB6_4453:                             ;   in Loop: Header=BB6_3887 Depth=4
	v_and_b32_e32 v86, 7, v107
	v_lshrrev_b16 v99, 3, v107
	v_lshlrev_b32_e32 v57, 24, v107
	v_ffbh_u32_e32 v87, v86
	v_and_b32_e32 v99, 15, v99
	v_min_u32_e32 v87, 32, v87
	v_cmp_eq_u32_e32 vcc_lo, 0, v99
	v_subrev_nc_u32_e32 v46, 28, v87
	v_sub_nc_u32_e32 v87, 29, v87
	v_lshlrev_b32_e32 v46, v46, v107
	v_cndmask_b32_e32 v87, v99, v87, vcc_lo
	v_and_b32_e32 v99, 0x80000000, v57
	v_and_b32_e32 v46, 7, v46
	v_lshl_add_u32 v87, v87, 23, 0x3b800000
	v_cndmask_b32_e32 v86, v86, v46, vcc_lo
	v_lshlrev_b32_e32 v86, 20, v86
	v_or3_b32 v86, v99, v87, v86
.LBB6_4454:                             ;   in Loop: Header=BB6_3887 Depth=4
	s_or_b32 exec_lo, exec_lo, s73
	v_max_f32_e32 v86, v86, v86
	v_max_f32_e32 v87, v98, v98
	v_min_f32_e32 v98, v87, v86
.LBB6_4455:                             ;   in Loop: Header=BB6_3887 Depth=4
	v_and_b32_e32 v86, 0x7f800000, v98
	s_waitcnt vmcnt(16) lgkmcnt(16)
	v_mov_b32_e32 v107, 0x80
	s_mov_b32 s73, exec_lo
	v_cmpx_ne_u32_e32 0x7f800000, v86
	s_cbranch_execz .LBB6_4463
; %bb.4456:                             ;   in Loop: Header=BB6_3887 Depth=4
	v_mov_b32_e32 v107, 0
	s_mov_b32 s74, exec_lo
	v_cmpx_ne_u32_e32 0, v98
	s_cbranch_execz .LBB6_4462
; %bb.4457:                             ;   in Loop: Header=BB6_3887 Depth=4
	v_bfe_u32 v87, v98, 23, 8
	v_and_b32_e32 v86, 0x7fffff, v98
                                        ; implicit-def: $vgpr60
	v_cmp_gt_u32_e64 s16, 0x79, v87
	v_sub_nc_u32_e32 v99, 0x78, v87
	v_cmp_eq_u32_e32 vcc_lo, 0, v87
	v_or_b32_e32 v46, 0x800000, v86
	v_add_nc_u32_e32 v87, 0xffffff89, v87
	v_cndmask_b32_e64 v99, 0, v99, s16
	v_cndmask_b32_e32 v86, v46, v86, vcc_lo
	v_cndmask_b32_e64 v87, v87, 0xffffff8a, vcc_lo
	v_cndmask_b32_e64 v99, v99, 0x77, vcc_lo
	v_lshl_add_u32 v46, 0x100000, v99, -1
	v_lshlrev_b32_e64 v57, v99, 0x80000
	v_and_b32_e32 v46, v46, v86
	v_lshrrev_b32_e32 v86, v99, v86
	v_add_nc_u32_e32 v99, v99, v87
	v_cmp_eq_u32_e64 s16, v46, v57
	v_lshrrev_b32_e32 v87, 23, v86
	v_xor_b32_e32 v46, 1, v87
	v_bfe_u32 v87, v86, 20, 1
	v_add_nc_u32_e32 v87, -1, v87
	v_cndmask_b32_e64 v87, 0, v87, s16
	s_mov_b32 s16, exec_lo
	v_add_nc_u32_e32 v87, v87, v86
	v_and_b32_e32 v87, 0xfffff, v87
	v_add_nc_u32_e32 v57, v87, v86
	v_cmpx_ne_u32_e64 v99, v46
	s_xor_b32 s16, exec_lo, s16
; %bb.4458:                             ;   in Loop: Header=BB6_3887 Depth=4
	v_cmp_lt_u32_e32 vcc_lo, 0xffffff, v57
	v_sub_nc_u32_e32 v86, v99, v46
	v_cndmask_b32_e64 v87, 0, 1, vcc_lo
	v_add_co_ci_u32_e64 v60, null, 0, v86, vcc_lo
	v_lshrrev_b32_e32 v57, v87, v57
; %bb.4459:                             ;   in Loop: Header=BB6_3887 Depth=4
	s_andn2_saveexec_b32 s16, s16
; %bb.4460:                             ;   in Loop: Header=BB6_3887 Depth=4
	v_bfe_u32 v60, v57, 23, 1
; %bb.4461:                             ;   in Loop: Header=BB6_3887 Depth=4
	s_or_b32 exec_lo, exec_lo, s16
	v_lshrrev_b32_e32 v87, 20, v57
	v_cmp_gt_i32_e32 vcc_lo, 16, v60
	v_and_b32_sdwa v86, v98, v62 dst_sel:DWORD dst_unused:UNUSED_PAD src0_sel:BYTE_3 src1_sel:DWORD
	v_min_i32_e32 v98, 15, v60
	v_cndmask_b32_e32 v87, 7, v87, vcc_lo
	v_lshlrev_b32_e32 v98, 3, v98
	v_or_b32_e32 v99, v60, v87
	v_and_b32_e32 v87, 7, v87
	v_cmp_ne_u32_e32 vcc_lo, 0, v99
	v_or3_b32 v86, v98, v86, v87
	v_cndmask_b32_e32 v107, 0, v86, vcc_lo
.LBB6_4462:                             ;   in Loop: Header=BB6_3887 Depth=4
	s_or_b32 exec_lo, exec_lo, s74
.LBB6_4463:                             ;   in Loop: Header=BB6_3887 Depth=4
	s_or_b32 exec_lo, exec_lo, s73
	v_cmp_gt_i16_sdwa s73, v41, v61 src0_sel:BYTE_0 src1_sel:DWORD
	s_andn2_b32 vcc_lo, exec_lo, s63
	s_mov_b32 s16, -1
                                        ; implicit-def: $vgpr98
	s_cbranch_vccnz .LBB6_4477
; %bb.4464:                             ;   in Loop: Header=BB6_3887 Depth=4
	s_mov_b32 s16, 0
	s_and_saveexec_b32 s74, s73
	s_xor_b32 s73, exec_lo, s74
	s_cbranch_execz .LBB6_5165
; %bb.4465:                             ;   in Loop: Header=BB6_3887 Depth=4
	v_cmp_eq_u16_sdwa s75, v41, v62 src0_sel:BYTE_0 src1_sel:DWORD
	s_mov_b32 s16, -1
	s_and_saveexec_b32 s74, s75
; %bb.4466:                             ;   in Loop: Header=BB6_3887 Depth=4
	s_xor_b32 s16, exec_lo, -1
; %bb.4467:                             ;   in Loop: Header=BB6_3887 Depth=4
	s_or_b32 exec_lo, exec_lo, s74
	s_and_b32 s16, s16, exec_lo
	s_or_saveexec_b32 s73, s73
	v_mov_b32_e32 v98, 0x7f800001
	s_xor_b32 exec_lo, exec_lo, s73
	s_cbranch_execnz .LBB6_5166
.LBB6_4468:                             ;   in Loop: Header=BB6_3887 Depth=4
	s_or_b32 exec_lo, exec_lo, s73
	s_and_saveexec_b32 s73, s16
	s_cbranch_execz .LBB6_4470
.LBB6_4469:                             ;   in Loop: Header=BB6_3887 Depth=4
	v_and_b32_e32 v86, 7, v41
	v_lshrrev_b16 v98, 3, v41
	v_lshlrev_b32_e32 v46, 24, v41
	v_ffbh_u32_e32 v87, v86
	v_and_b32_e32 v98, 15, v98
	v_min_u32_e32 v87, 32, v87
	v_cmp_eq_u32_e32 vcc_lo, 0, v98
	v_subrev_nc_u32_e32 v99, 28, v87
	v_sub_nc_u32_e32 v87, 29, v87
	v_lshlrev_b32_e32 v99, v99, v41
	v_cndmask_b32_e32 v87, v98, v87, vcc_lo
	v_and_b32_e32 v98, 0x80000000, v46
	v_and_b32_e32 v99, 7, v99
	v_lshl_add_u32 v87, v87, 23, 0x3b800000
	v_cndmask_b32_e32 v86, v86, v99, vcc_lo
	v_lshlrev_b32_e32 v86, 20, v86
	v_or3_b32 v98, v98, v87, v86
.LBB6_4470:                             ;   in Loop: Header=BB6_3887 Depth=4
	s_or_b32 exec_lo, exec_lo, s73
	s_waitcnt vmcnt(15) lgkmcnt(15)
	v_cmp_gt_i16_sdwa s73, v40, v61 src0_sel:BYTE_0 src1_sel:DWORD
	s_mov_b32 s16, 0
	s_and_saveexec_b32 s74, s73
	s_xor_b32 s73, exec_lo, s74
	s_cbranch_execz .LBB6_5167
; %bb.4471:                             ;   in Loop: Header=BB6_3887 Depth=4
	v_cmp_eq_u16_sdwa s75, v40, v62 src0_sel:BYTE_0 src1_sel:DWORD
	s_mov_b32 s16, -1
	s_and_saveexec_b32 s74, s75
; %bb.4472:                             ;   in Loop: Header=BB6_3887 Depth=4
	s_xor_b32 s16, exec_lo, -1
; %bb.4473:                             ;   in Loop: Header=BB6_3887 Depth=4
	s_or_b32 exec_lo, exec_lo, s74
	s_and_b32 s16, s16, exec_lo
	s_or_saveexec_b32 s73, s73
	v_mov_b32_e32 v86, 0x7f800001
	s_xor_b32 exec_lo, exec_lo, s73
	s_cbranch_execnz .LBB6_5168
.LBB6_4474:                             ;   in Loop: Header=BB6_3887 Depth=4
	s_or_b32 exec_lo, exec_lo, s73
	s_and_saveexec_b32 s73, s16
	s_cbranch_execz .LBB6_4476
.LBB6_4475:                             ;   in Loop: Header=BB6_3887 Depth=4
	v_and_b32_e32 v86, 7, v40
	v_lshrrev_b16 v99, 3, v40
	v_lshlrev_b32_e32 v57, 24, v40
	v_ffbh_u32_e32 v87, v86
	v_and_b32_e32 v99, 15, v99
	v_min_u32_e32 v87, 32, v87
	v_cmp_eq_u32_e32 vcc_lo, 0, v99
	v_subrev_nc_u32_e32 v46, 28, v87
	v_sub_nc_u32_e32 v87, 29, v87
	v_lshlrev_b32_e32 v46, v46, v40
	v_cndmask_b32_e32 v87, v99, v87, vcc_lo
	v_and_b32_e32 v99, 0x80000000, v57
	v_and_b32_e32 v46, 7, v46
	v_lshl_add_u32 v87, v87, 23, 0x3b800000
	v_cndmask_b32_e32 v86, v86, v46, vcc_lo
	v_lshlrev_b32_e32 v86, 20, v86
	v_or3_b32 v86, v99, v87, v86
.LBB6_4476:                             ;   in Loop: Header=BB6_3887 Depth=4
	s_or_b32 exec_lo, exec_lo, s73
	v_max_f32_e32 v86, v86, v86
	v_max_f32_e32 v87, v98, v98
	s_mov_b32 s16, 0
	v_max_f32_e32 v98, v87, v86
.LBB6_4477:                             ;   in Loop: Header=BB6_3887 Depth=4
	s_and_b32 vcc_lo, exec_lo, s16
	s_cbranch_vccz .LBB6_4491
; %bb.4478:                             ;   in Loop: Header=BB6_3887 Depth=4
	v_cmp_gt_i16_sdwa s73, v41, v61 src0_sel:BYTE_0 src1_sel:DWORD
	s_mov_b32 s16, 0
	s_and_saveexec_b32 s74, s73
	s_xor_b32 s73, exec_lo, s74
	s_cbranch_execz .LBB6_5169
; %bb.4479:                             ;   in Loop: Header=BB6_3887 Depth=4
	v_cmp_eq_u16_sdwa s75, v41, v62 src0_sel:BYTE_0 src1_sel:DWORD
	s_mov_b32 s16, -1
	s_and_saveexec_b32 s74, s75
; %bb.4480:                             ;   in Loop: Header=BB6_3887 Depth=4
	s_xor_b32 s16, exec_lo, -1
; %bb.4481:                             ;   in Loop: Header=BB6_3887 Depth=4
	s_or_b32 exec_lo, exec_lo, s74
	s_and_b32 s16, s16, exec_lo
	s_or_saveexec_b32 s73, s73
	v_mov_b32_e32 v98, 0x7f800001
	s_xor_b32 exec_lo, exec_lo, s73
	s_cbranch_execnz .LBB6_5170
.LBB6_4482:                             ;   in Loop: Header=BB6_3887 Depth=4
	s_or_b32 exec_lo, exec_lo, s73
	s_and_saveexec_b32 s73, s16
	s_cbranch_execz .LBB6_4484
.LBB6_4483:                             ;   in Loop: Header=BB6_3887 Depth=4
	v_and_b32_e32 v86, 7, v41
	v_lshrrev_b16 v98, 3, v41
	v_ffbh_u32_e32 v87, v86
	v_and_b32_e32 v98, 15, v98
	v_min_u32_e32 v87, 32, v87
	v_cmp_eq_u32_e32 vcc_lo, 0, v98
	v_subrev_nc_u32_e32 v99, 28, v87
	v_sub_nc_u32_e32 v87, 29, v87
	v_lshlrev_b32_e32 v99, v99, v41
	v_lshlrev_b32_e32 v41, 24, v41
	v_cndmask_b32_e32 v87, v98, v87, vcc_lo
	v_and_b32_e32 v99, 7, v99
	v_and_b32_e32 v98, 0x80000000, v41
	v_lshl_add_u32 v87, v87, 23, 0x3b800000
	v_cndmask_b32_e32 v86, v86, v99, vcc_lo
	v_lshlrev_b32_e32 v86, 20, v86
	v_or3_b32 v98, v98, v87, v86
.LBB6_4484:                             ;   in Loop: Header=BB6_3887 Depth=4
	s_or_b32 exec_lo, exec_lo, s73
	s_waitcnt vmcnt(15) lgkmcnt(15)
	v_cmp_gt_i16_sdwa s73, v40, v61 src0_sel:BYTE_0 src1_sel:DWORD
	s_mov_b32 s16, 0
	s_and_saveexec_b32 s74, s73
	s_xor_b32 s73, exec_lo, s74
	s_cbranch_execz .LBB6_5171
; %bb.4485:                             ;   in Loop: Header=BB6_3887 Depth=4
	v_cmp_eq_u16_sdwa s75, v40, v62 src0_sel:BYTE_0 src1_sel:DWORD
	s_mov_b32 s16, -1
	s_and_saveexec_b32 s74, s75
; %bb.4486:                             ;   in Loop: Header=BB6_3887 Depth=4
	s_xor_b32 s16, exec_lo, -1
; %bb.4487:                             ;   in Loop: Header=BB6_3887 Depth=4
	s_or_b32 exec_lo, exec_lo, s74
	s_and_b32 s16, s16, exec_lo
	s_or_saveexec_b32 s73, s73
	v_mov_b32_e32 v86, 0x7f800001
	s_xor_b32 exec_lo, exec_lo, s73
	s_cbranch_execnz .LBB6_5172
.LBB6_4488:                             ;   in Loop: Header=BB6_3887 Depth=4
	s_or_b32 exec_lo, exec_lo, s73
	s_and_saveexec_b32 s73, s16
	s_cbranch_execz .LBB6_4490
.LBB6_4489:                             ;   in Loop: Header=BB6_3887 Depth=4
	v_and_b32_e32 v86, 7, v40
	v_lshrrev_b16 v99, 3, v40
	v_ffbh_u32_e32 v87, v86
	v_and_b32_e32 v99, 15, v99
	v_min_u32_e32 v87, 32, v87
	v_cmp_eq_u32_e32 vcc_lo, 0, v99
	v_subrev_nc_u32_e32 v41, 28, v87
	v_sub_nc_u32_e32 v87, 29, v87
	v_lshlrev_b32_e32 v41, v41, v40
	v_lshlrev_b32_e32 v40, 24, v40
	v_cndmask_b32_e32 v87, v99, v87, vcc_lo
	v_and_b32_e32 v41, 7, v41
	v_and_b32_e32 v99, 0x80000000, v40
	v_lshl_add_u32 v87, v87, 23, 0x3b800000
	v_cndmask_b32_e32 v86, v86, v41, vcc_lo
	v_lshlrev_b32_e32 v86, 20, v86
	v_or3_b32 v86, v99, v87, v86
.LBB6_4490:                             ;   in Loop: Header=BB6_3887 Depth=4
	s_or_b32 exec_lo, exec_lo, s73
	v_max_f32_e32 v86, v86, v86
	v_max_f32_e32 v87, v98, v98
	v_min_f32_e32 v98, v87, v86
.LBB6_4491:                             ;   in Loop: Header=BB6_3887 Depth=4
	v_and_b32_e32 v86, 0x7f800000, v98
	s_waitcnt vmcnt(15) lgkmcnt(15)
	v_mov_b32_e32 v40, 0x80
	s_mov_b32 s73, exec_lo
	v_cmpx_ne_u32_e32 0x7f800000, v86
	s_cbranch_execz .LBB6_4499
; %bb.4492:                             ;   in Loop: Header=BB6_3887 Depth=4
	v_mov_b32_e32 v40, 0
	s_mov_b32 s74, exec_lo
	v_cmpx_ne_u32_e32 0, v98
	s_cbranch_execz .LBB6_4498
; %bb.4493:                             ;   in Loop: Header=BB6_3887 Depth=4
	v_bfe_u32 v87, v98, 23, 8
	v_and_b32_e32 v86, 0x7fffff, v98
                                        ; implicit-def: $vgpr46
	v_cmp_gt_u32_e64 s16, 0x79, v87
	v_sub_nc_u32_e32 v99, 0x78, v87
	v_cmp_eq_u32_e32 vcc_lo, 0, v87
	v_or_b32_e32 v40, 0x800000, v86
	v_add_nc_u32_e32 v87, 0xffffff89, v87
	v_cndmask_b32_e64 v99, 0, v99, s16
	v_cndmask_b32_e32 v86, v40, v86, vcc_lo
	v_cndmask_b32_e64 v87, v87, 0xffffff8a, vcc_lo
	v_cndmask_b32_e64 v99, v99, 0x77, vcc_lo
	v_lshl_add_u32 v40, 0x100000, v99, -1
	v_lshlrev_b32_e64 v41, v99, 0x80000
	v_and_b32_e32 v40, v40, v86
	v_lshrrev_b32_e32 v86, v99, v86
	v_add_nc_u32_e32 v99, v99, v87
	v_cmp_eq_u32_e64 s16, v40, v41
	v_lshrrev_b32_e32 v87, 23, v86
	v_xor_b32_e32 v40, 1, v87
	v_bfe_u32 v87, v86, 20, 1
	v_add_nc_u32_e32 v87, -1, v87
	v_cndmask_b32_e64 v87, 0, v87, s16
	s_mov_b32 s16, exec_lo
	v_add_nc_u32_e32 v87, v87, v86
	v_and_b32_e32 v87, 0xfffff, v87
	v_add_nc_u32_e32 v41, v87, v86
	v_cmpx_ne_u32_e64 v99, v40
	s_xor_b32 s16, exec_lo, s16
; %bb.4494:                             ;   in Loop: Header=BB6_3887 Depth=4
	v_cmp_lt_u32_e32 vcc_lo, 0xffffff, v41
	v_sub_nc_u32_e32 v86, v99, v40
	v_cndmask_b32_e64 v87, 0, 1, vcc_lo
	v_add_co_ci_u32_e64 v46, null, 0, v86, vcc_lo
	v_lshrrev_b32_e32 v41, v87, v41
; %bb.4495:                             ;   in Loop: Header=BB6_3887 Depth=4
	s_andn2_saveexec_b32 s16, s16
; %bb.4496:                             ;   in Loop: Header=BB6_3887 Depth=4
	v_bfe_u32 v46, v41, 23, 1
; %bb.4497:                             ;   in Loop: Header=BB6_3887 Depth=4
	s_or_b32 exec_lo, exec_lo, s16
	v_lshrrev_b32_e32 v87, 20, v41
	v_cmp_gt_i32_e32 vcc_lo, 16, v46
	v_and_b32_sdwa v86, v98, v62 dst_sel:DWORD dst_unused:UNUSED_PAD src0_sel:BYTE_3 src1_sel:DWORD
	v_min_i32_e32 v98, 15, v46
	v_cndmask_b32_e32 v87, 7, v87, vcc_lo
	v_lshlrev_b32_e32 v98, 3, v98
	v_or_b32_e32 v99, v46, v87
	v_and_b32_e32 v87, 7, v87
	v_cmp_ne_u32_e32 vcc_lo, 0, v99
	v_or3_b32 v86, v98, v86, v87
	v_cndmask_b32_e32 v40, 0, v86, vcc_lo
.LBB6_4498:                             ;   in Loop: Header=BB6_3887 Depth=4
	s_or_b32 exec_lo, exec_lo, s74
.LBB6_4499:                             ;   in Loop: Header=BB6_3887 Depth=4
	s_or_b32 exec_lo, exec_lo, s73
	v_cmp_gt_i16_sdwa s73, v118, v61 src0_sel:BYTE_0 src1_sel:DWORD
	s_andn2_b32 vcc_lo, exec_lo, s63
	s_mov_b32 s16, -1
                                        ; implicit-def: $vgpr98
	s_cbranch_vccnz .LBB6_4513
; %bb.4500:                             ;   in Loop: Header=BB6_3887 Depth=4
	s_mov_b32 s16, 0
	s_and_saveexec_b32 s74, s73
	s_xor_b32 s73, exec_lo, s74
	s_cbranch_execz .LBB6_5173
; %bb.4501:                             ;   in Loop: Header=BB6_3887 Depth=4
	v_cmp_eq_u16_sdwa s75, v118, v62 src0_sel:BYTE_0 src1_sel:DWORD
	s_mov_b32 s16, -1
	s_and_saveexec_b32 s74, s75
; %bb.4502:                             ;   in Loop: Header=BB6_3887 Depth=4
	s_xor_b32 s16, exec_lo, -1
; %bb.4503:                             ;   in Loop: Header=BB6_3887 Depth=4
	s_or_b32 exec_lo, exec_lo, s74
	s_and_b32 s16, s16, exec_lo
	s_or_saveexec_b32 s73, s73
	v_mov_b32_e32 v98, 0x7f800001
	s_xor_b32 exec_lo, exec_lo, s73
	s_cbranch_execnz .LBB6_5174
.LBB6_4504:                             ;   in Loop: Header=BB6_3887 Depth=4
	s_or_b32 exec_lo, exec_lo, s73
	s_and_saveexec_b32 s73, s16
	s_cbranch_execz .LBB6_4506
.LBB6_4505:                             ;   in Loop: Header=BB6_3887 Depth=4
	v_and_b32_e32 v86, 7, v118
	v_lshrrev_b16 v98, 3, v118
	v_lshlrev_b32_e32 v41, 24, v118
	v_ffbh_u32_e32 v87, v86
	v_and_b32_e32 v98, 15, v98
	v_min_u32_e32 v87, 32, v87
	v_cmp_eq_u32_e32 vcc_lo, 0, v98
	v_subrev_nc_u32_e32 v99, 28, v87
	v_sub_nc_u32_e32 v87, 29, v87
	v_lshlrev_b32_e32 v99, v99, v118
	v_cndmask_b32_e32 v87, v98, v87, vcc_lo
	v_and_b32_e32 v98, 0x80000000, v41
	v_and_b32_e32 v99, 7, v99
	v_lshl_add_u32 v87, v87, 23, 0x3b800000
	v_cndmask_b32_e32 v86, v86, v99, vcc_lo
	v_lshlrev_b32_e32 v86, 20, v86
	v_or3_b32 v98, v98, v87, v86
.LBB6_4506:                             ;   in Loop: Header=BB6_3887 Depth=4
	s_or_b32 exec_lo, exec_lo, s73
	s_waitcnt vmcnt(14) lgkmcnt(14)
	v_cmp_gt_i16_sdwa s73, v117, v61 src0_sel:BYTE_0 src1_sel:DWORD
	s_mov_b32 s16, 0
	s_and_saveexec_b32 s74, s73
	s_xor_b32 s73, exec_lo, s74
	s_cbranch_execz .LBB6_5175
; %bb.4507:                             ;   in Loop: Header=BB6_3887 Depth=4
	v_cmp_eq_u16_sdwa s75, v117, v62 src0_sel:BYTE_0 src1_sel:DWORD
	s_mov_b32 s16, -1
	s_and_saveexec_b32 s74, s75
; %bb.4508:                             ;   in Loop: Header=BB6_3887 Depth=4
	s_xor_b32 s16, exec_lo, -1
; %bb.4509:                             ;   in Loop: Header=BB6_3887 Depth=4
	s_or_b32 exec_lo, exec_lo, s74
	s_and_b32 s16, s16, exec_lo
	s_or_saveexec_b32 s73, s73
	v_mov_b32_e32 v86, 0x7f800001
	s_xor_b32 exec_lo, exec_lo, s73
	s_cbranch_execnz .LBB6_5176
.LBB6_4510:                             ;   in Loop: Header=BB6_3887 Depth=4
	s_or_b32 exec_lo, exec_lo, s73
	s_and_saveexec_b32 s73, s16
	s_cbranch_execz .LBB6_4512
.LBB6_4511:                             ;   in Loop: Header=BB6_3887 Depth=4
	v_and_b32_e32 v86, 7, v117
	v_lshrrev_b16 v99, 3, v117
	v_lshlrev_b32_e32 v46, 24, v117
	v_ffbh_u32_e32 v87, v86
	v_and_b32_e32 v99, 15, v99
	v_min_u32_e32 v87, 32, v87
	v_cmp_eq_u32_e32 vcc_lo, 0, v99
	v_subrev_nc_u32_e32 v41, 28, v87
	v_sub_nc_u32_e32 v87, 29, v87
	v_lshlrev_b32_e32 v41, v41, v117
	v_cndmask_b32_e32 v87, v99, v87, vcc_lo
	v_and_b32_e32 v99, 0x80000000, v46
	v_and_b32_e32 v41, 7, v41
	v_lshl_add_u32 v87, v87, 23, 0x3b800000
	v_cndmask_b32_e32 v86, v86, v41, vcc_lo
	v_lshlrev_b32_e32 v86, 20, v86
	v_or3_b32 v86, v99, v87, v86
.LBB6_4512:                             ;   in Loop: Header=BB6_3887 Depth=4
	s_or_b32 exec_lo, exec_lo, s73
	v_max_f32_e32 v86, v86, v86
	v_max_f32_e32 v87, v98, v98
	s_mov_b32 s16, 0
	v_max_f32_e32 v98, v87, v86
.LBB6_4513:                             ;   in Loop: Header=BB6_3887 Depth=4
	s_and_b32 vcc_lo, exec_lo, s16
	s_cbranch_vccz .LBB6_4527
; %bb.4514:                             ;   in Loop: Header=BB6_3887 Depth=4
	v_cmp_gt_i16_sdwa s73, v118, v61 src0_sel:BYTE_0 src1_sel:DWORD
	s_mov_b32 s16, 0
	s_and_saveexec_b32 s74, s73
	s_xor_b32 s73, exec_lo, s74
	s_cbranch_execz .LBB6_5177
; %bb.4515:                             ;   in Loop: Header=BB6_3887 Depth=4
	v_cmp_eq_u16_sdwa s75, v118, v62 src0_sel:BYTE_0 src1_sel:DWORD
	s_mov_b32 s16, -1
	s_and_saveexec_b32 s74, s75
; %bb.4516:                             ;   in Loop: Header=BB6_3887 Depth=4
	s_xor_b32 s16, exec_lo, -1
; %bb.4517:                             ;   in Loop: Header=BB6_3887 Depth=4
	s_or_b32 exec_lo, exec_lo, s74
	s_and_b32 s16, s16, exec_lo
	s_or_saveexec_b32 s73, s73
	v_mov_b32_e32 v98, 0x7f800001
	s_xor_b32 exec_lo, exec_lo, s73
	s_cbranch_execnz .LBB6_5178
.LBB6_4518:                             ;   in Loop: Header=BB6_3887 Depth=4
	s_or_b32 exec_lo, exec_lo, s73
	s_and_saveexec_b32 s73, s16
	s_cbranch_execz .LBB6_4520
.LBB6_4519:                             ;   in Loop: Header=BB6_3887 Depth=4
	v_and_b32_e32 v86, 7, v118
	v_lshrrev_b16 v98, 3, v118
	v_ffbh_u32_e32 v87, v86
	v_and_b32_e32 v98, 15, v98
	v_min_u32_e32 v87, 32, v87
	v_cmp_eq_u32_e32 vcc_lo, 0, v98
	v_subrev_nc_u32_e32 v99, 28, v87
	v_sub_nc_u32_e32 v87, 29, v87
	v_lshlrev_b32_e32 v99, v99, v118
	v_lshlrev_b32_e32 v118, 24, v118
	v_cndmask_b32_e32 v87, v98, v87, vcc_lo
	v_and_b32_e32 v99, 7, v99
	v_and_b32_e32 v98, 0x80000000, v118
	v_lshl_add_u32 v87, v87, 23, 0x3b800000
	v_cndmask_b32_e32 v86, v86, v99, vcc_lo
	v_lshlrev_b32_e32 v86, 20, v86
	v_or3_b32 v98, v98, v87, v86
.LBB6_4520:                             ;   in Loop: Header=BB6_3887 Depth=4
	s_or_b32 exec_lo, exec_lo, s73
	s_waitcnt vmcnt(14) lgkmcnt(14)
	v_cmp_gt_i16_sdwa s73, v117, v61 src0_sel:BYTE_0 src1_sel:DWORD
	s_mov_b32 s16, 0
	s_and_saveexec_b32 s74, s73
	s_xor_b32 s73, exec_lo, s74
	s_cbranch_execz .LBB6_5179
; %bb.4521:                             ;   in Loop: Header=BB6_3887 Depth=4
	v_cmp_eq_u16_sdwa s75, v117, v62 src0_sel:BYTE_0 src1_sel:DWORD
	s_mov_b32 s16, -1
	s_and_saveexec_b32 s74, s75
; %bb.4522:                             ;   in Loop: Header=BB6_3887 Depth=4
	s_xor_b32 s16, exec_lo, -1
; %bb.4523:                             ;   in Loop: Header=BB6_3887 Depth=4
	s_or_b32 exec_lo, exec_lo, s74
	s_and_b32 s16, s16, exec_lo
	s_or_saveexec_b32 s73, s73
	v_mov_b32_e32 v86, 0x7f800001
	s_xor_b32 exec_lo, exec_lo, s73
	s_cbranch_execnz .LBB6_5180
.LBB6_4524:                             ;   in Loop: Header=BB6_3887 Depth=4
	s_or_b32 exec_lo, exec_lo, s73
	s_and_saveexec_b32 s73, s16
	s_cbranch_execz .LBB6_4526
.LBB6_4525:                             ;   in Loop: Header=BB6_3887 Depth=4
	v_and_b32_e32 v86, 7, v117
	v_lshrrev_b16 v99, 3, v117
	v_ffbh_u32_e32 v87, v86
	v_and_b32_e32 v99, 15, v99
	v_min_u32_e32 v87, 32, v87
	v_cmp_eq_u32_e32 vcc_lo, 0, v99
	v_subrev_nc_u32_e32 v118, 28, v87
	v_sub_nc_u32_e32 v87, 29, v87
	v_lshlrev_b32_e32 v118, v118, v117
	v_lshlrev_b32_e32 v117, 24, v117
	v_cndmask_b32_e32 v87, v99, v87, vcc_lo
	v_and_b32_e32 v118, 7, v118
	v_and_b32_e32 v99, 0x80000000, v117
	v_lshl_add_u32 v87, v87, 23, 0x3b800000
	v_cndmask_b32_e32 v86, v86, v118, vcc_lo
	v_lshlrev_b32_e32 v86, 20, v86
	v_or3_b32 v86, v99, v87, v86
.LBB6_4526:                             ;   in Loop: Header=BB6_3887 Depth=4
	s_or_b32 exec_lo, exec_lo, s73
	v_max_f32_e32 v86, v86, v86
	v_max_f32_e32 v87, v98, v98
	v_min_f32_e32 v98, v87, v86
.LBB6_4527:                             ;   in Loop: Header=BB6_3887 Depth=4
	v_and_b32_e32 v86, 0x7f800000, v98
	s_waitcnt vmcnt(14) lgkmcnt(14)
	v_mov_b32_e32 v117, 0x80
	s_mov_b32 s73, exec_lo
	v_cmpx_ne_u32_e32 0x7f800000, v86
	s_cbranch_execz .LBB6_4535
; %bb.4528:                             ;   in Loop: Header=BB6_3887 Depth=4
	v_mov_b32_e32 v117, 0
	s_mov_b32 s74, exec_lo
	v_cmpx_ne_u32_e32 0, v98
	s_cbranch_execz .LBB6_4534
; %bb.4529:                             ;   in Loop: Header=BB6_3887 Depth=4
	v_bfe_u32 v87, v98, 23, 8
	v_and_b32_e32 v86, 0x7fffff, v98
                                        ; implicit-def: $vgpr41
	v_cmp_gt_u32_e64 s16, 0x79, v87
	v_sub_nc_u32_e32 v99, 0x78, v87
	v_cmp_eq_u32_e32 vcc_lo, 0, v87
	v_or_b32_e32 v117, 0x800000, v86
	v_add_nc_u32_e32 v87, 0xffffff89, v87
	v_cndmask_b32_e64 v99, 0, v99, s16
	v_cndmask_b32_e32 v86, v117, v86, vcc_lo
	v_cndmask_b32_e64 v87, v87, 0xffffff8a, vcc_lo
	v_cndmask_b32_e64 v99, v99, 0x77, vcc_lo
	v_lshl_add_u32 v117, 0x100000, v99, -1
	v_lshlrev_b32_e64 v118, v99, 0x80000
	v_and_b32_e32 v117, v117, v86
	v_lshrrev_b32_e32 v86, v99, v86
	v_add_nc_u32_e32 v99, v99, v87
	v_cmp_eq_u32_e64 s16, v117, v118
	v_lshrrev_b32_e32 v87, 23, v86
	v_xor_b32_e32 v117, 1, v87
	v_bfe_u32 v87, v86, 20, 1
	v_add_nc_u32_e32 v87, -1, v87
	v_cndmask_b32_e64 v87, 0, v87, s16
	s_mov_b32 s16, exec_lo
	v_add_nc_u32_e32 v87, v87, v86
	v_and_b32_e32 v87, 0xfffff, v87
	v_add_nc_u32_e32 v118, v87, v86
	v_cmpx_ne_u32_e64 v99, v117
	s_xor_b32 s16, exec_lo, s16
; %bb.4530:                             ;   in Loop: Header=BB6_3887 Depth=4
	v_cmp_lt_u32_e32 vcc_lo, 0xffffff, v118
	v_sub_nc_u32_e32 v86, v99, v117
	v_cndmask_b32_e64 v87, 0, 1, vcc_lo
	v_add_co_ci_u32_e64 v41, null, 0, v86, vcc_lo
	v_lshrrev_b32_e32 v118, v87, v118
; %bb.4531:                             ;   in Loop: Header=BB6_3887 Depth=4
	s_andn2_saveexec_b32 s16, s16
; %bb.4532:                             ;   in Loop: Header=BB6_3887 Depth=4
	v_bfe_u32 v41, v118, 23, 1
; %bb.4533:                             ;   in Loop: Header=BB6_3887 Depth=4
	s_or_b32 exec_lo, exec_lo, s16
	v_lshrrev_b32_e32 v87, 20, v118
	v_cmp_gt_i32_e32 vcc_lo, 16, v41
	v_and_b32_sdwa v86, v98, v62 dst_sel:DWORD dst_unused:UNUSED_PAD src0_sel:BYTE_3 src1_sel:DWORD
	v_min_i32_e32 v98, 15, v41
	v_cndmask_b32_e32 v87, 7, v87, vcc_lo
	v_lshlrev_b32_e32 v98, 3, v98
	v_or_b32_e32 v99, v41, v87
	v_and_b32_e32 v87, 7, v87
	v_cmp_ne_u32_e32 vcc_lo, 0, v99
	v_or3_b32 v86, v98, v86, v87
	v_cndmask_b32_e32 v117, 0, v86, vcc_lo
.LBB6_4534:                             ;   in Loop: Header=BB6_3887 Depth=4
	s_or_b32 exec_lo, exec_lo, s74
.LBB6_4535:                             ;   in Loop: Header=BB6_3887 Depth=4
	s_or_b32 exec_lo, exec_lo, s73
	v_cmp_gt_i16_sdwa s73, v115, v61 src0_sel:BYTE_0 src1_sel:DWORD
	s_andn2_b32 vcc_lo, exec_lo, s63
	s_mov_b32 s16, -1
                                        ; implicit-def: $vgpr98
	s_cbranch_vccnz .LBB6_4549
; %bb.4536:                             ;   in Loop: Header=BB6_3887 Depth=4
	s_mov_b32 s16, 0
	s_and_saveexec_b32 s74, s73
	s_xor_b32 s73, exec_lo, s74
	s_cbranch_execz .LBB6_5181
; %bb.4537:                             ;   in Loop: Header=BB6_3887 Depth=4
	v_cmp_eq_u16_sdwa s75, v115, v62 src0_sel:BYTE_0 src1_sel:DWORD
	s_mov_b32 s16, -1
	s_and_saveexec_b32 s74, s75
; %bb.4538:                             ;   in Loop: Header=BB6_3887 Depth=4
	s_xor_b32 s16, exec_lo, -1
; %bb.4539:                             ;   in Loop: Header=BB6_3887 Depth=4
	s_or_b32 exec_lo, exec_lo, s74
	s_and_b32 s16, s16, exec_lo
	s_or_saveexec_b32 s73, s73
	v_mov_b32_e32 v98, 0x7f800001
	s_xor_b32 exec_lo, exec_lo, s73
	s_cbranch_execnz .LBB6_5182
.LBB6_4540:                             ;   in Loop: Header=BB6_3887 Depth=4
	s_or_b32 exec_lo, exec_lo, s73
	s_and_saveexec_b32 s73, s16
	s_cbranch_execz .LBB6_4542
.LBB6_4541:                             ;   in Loop: Header=BB6_3887 Depth=4
	v_and_b32_e32 v86, 7, v115
	v_lshrrev_b16 v98, 3, v115
	v_lshlrev_b32_e32 v118, 24, v115
	v_ffbh_u32_e32 v87, v86
	v_and_b32_e32 v98, 15, v98
	v_min_u32_e32 v87, 32, v87
	v_cmp_eq_u32_e32 vcc_lo, 0, v98
	v_subrev_nc_u32_e32 v99, 28, v87
	v_sub_nc_u32_e32 v87, 29, v87
	v_lshlrev_b32_e32 v99, v99, v115
	v_cndmask_b32_e32 v87, v98, v87, vcc_lo
	v_and_b32_e32 v98, 0x80000000, v118
	v_and_b32_e32 v99, 7, v99
	v_lshl_add_u32 v87, v87, 23, 0x3b800000
	v_cndmask_b32_e32 v86, v86, v99, vcc_lo
	v_lshlrev_b32_e32 v86, 20, v86
	v_or3_b32 v98, v98, v87, v86
.LBB6_4542:                             ;   in Loop: Header=BB6_3887 Depth=4
	s_or_b32 exec_lo, exec_lo, s73
	s_waitcnt vmcnt(13) lgkmcnt(13)
	v_cmp_gt_i16_sdwa s73, v114, v61 src0_sel:BYTE_0 src1_sel:DWORD
	s_mov_b32 s16, 0
	s_and_saveexec_b32 s74, s73
	s_xor_b32 s73, exec_lo, s74
	s_cbranch_execz .LBB6_5183
; %bb.4543:                             ;   in Loop: Header=BB6_3887 Depth=4
	v_cmp_eq_u16_sdwa s75, v114, v62 src0_sel:BYTE_0 src1_sel:DWORD
	s_mov_b32 s16, -1
	s_and_saveexec_b32 s74, s75
; %bb.4544:                             ;   in Loop: Header=BB6_3887 Depth=4
	s_xor_b32 s16, exec_lo, -1
; %bb.4545:                             ;   in Loop: Header=BB6_3887 Depth=4
	s_or_b32 exec_lo, exec_lo, s74
	s_and_b32 s16, s16, exec_lo
	s_or_saveexec_b32 s73, s73
	v_mov_b32_e32 v86, 0x7f800001
	s_xor_b32 exec_lo, exec_lo, s73
	s_cbranch_execnz .LBB6_5184
.LBB6_4546:                             ;   in Loop: Header=BB6_3887 Depth=4
	s_or_b32 exec_lo, exec_lo, s73
	s_and_saveexec_b32 s73, s16
	s_cbranch_execz .LBB6_4548
.LBB6_4547:                             ;   in Loop: Header=BB6_3887 Depth=4
	v_and_b32_e32 v86, 7, v114
	v_lshrrev_b16 v99, 3, v114
	v_lshlrev_b32_e32 v41, 24, v114
	v_ffbh_u32_e32 v87, v86
	v_and_b32_e32 v99, 15, v99
	v_min_u32_e32 v87, 32, v87
	v_cmp_eq_u32_e32 vcc_lo, 0, v99
	v_subrev_nc_u32_e32 v118, 28, v87
	v_sub_nc_u32_e32 v87, 29, v87
	v_lshlrev_b32_e32 v118, v118, v114
	v_cndmask_b32_e32 v87, v99, v87, vcc_lo
	v_and_b32_e32 v99, 0x80000000, v41
	v_and_b32_e32 v118, 7, v118
	v_lshl_add_u32 v87, v87, 23, 0x3b800000
	v_cndmask_b32_e32 v86, v86, v118, vcc_lo
	v_lshlrev_b32_e32 v86, 20, v86
	v_or3_b32 v86, v99, v87, v86
.LBB6_4548:                             ;   in Loop: Header=BB6_3887 Depth=4
	s_or_b32 exec_lo, exec_lo, s73
	v_max_f32_e32 v86, v86, v86
	v_max_f32_e32 v87, v98, v98
	s_mov_b32 s16, 0
	v_max_f32_e32 v98, v87, v86
.LBB6_4549:                             ;   in Loop: Header=BB6_3887 Depth=4
	s_and_b32 vcc_lo, exec_lo, s16
	s_cbranch_vccz .LBB6_4563
; %bb.4550:                             ;   in Loop: Header=BB6_3887 Depth=4
	v_cmp_gt_i16_sdwa s73, v115, v61 src0_sel:BYTE_0 src1_sel:DWORD
	s_mov_b32 s16, 0
	s_and_saveexec_b32 s74, s73
	s_xor_b32 s73, exec_lo, s74
	s_cbranch_execz .LBB6_5185
; %bb.4551:                             ;   in Loop: Header=BB6_3887 Depth=4
	v_cmp_eq_u16_sdwa s75, v115, v62 src0_sel:BYTE_0 src1_sel:DWORD
	s_mov_b32 s16, -1
	s_and_saveexec_b32 s74, s75
; %bb.4552:                             ;   in Loop: Header=BB6_3887 Depth=4
	s_xor_b32 s16, exec_lo, -1
; %bb.4553:                             ;   in Loop: Header=BB6_3887 Depth=4
	s_or_b32 exec_lo, exec_lo, s74
	s_and_b32 s16, s16, exec_lo
	s_or_saveexec_b32 s73, s73
	v_mov_b32_e32 v98, 0x7f800001
	s_xor_b32 exec_lo, exec_lo, s73
	s_cbranch_execnz .LBB6_5186
.LBB6_4554:                             ;   in Loop: Header=BB6_3887 Depth=4
	s_or_b32 exec_lo, exec_lo, s73
	s_and_saveexec_b32 s73, s16
	s_cbranch_execz .LBB6_4556
.LBB6_4555:                             ;   in Loop: Header=BB6_3887 Depth=4
	v_and_b32_e32 v86, 7, v115
	v_lshrrev_b16 v98, 3, v115
	v_ffbh_u32_e32 v87, v86
	v_and_b32_e32 v98, 15, v98
	v_min_u32_e32 v87, 32, v87
	v_cmp_eq_u32_e32 vcc_lo, 0, v98
	v_subrev_nc_u32_e32 v99, 28, v87
	v_sub_nc_u32_e32 v87, 29, v87
	v_lshlrev_b32_e32 v99, v99, v115
	v_lshlrev_b32_e32 v115, 24, v115
	v_cndmask_b32_e32 v87, v98, v87, vcc_lo
	v_and_b32_e32 v99, 7, v99
	v_and_b32_e32 v98, 0x80000000, v115
	v_lshl_add_u32 v87, v87, 23, 0x3b800000
	v_cndmask_b32_e32 v86, v86, v99, vcc_lo
	v_lshlrev_b32_e32 v86, 20, v86
	v_or3_b32 v98, v98, v87, v86
.LBB6_4556:                             ;   in Loop: Header=BB6_3887 Depth=4
	s_or_b32 exec_lo, exec_lo, s73
	s_waitcnt vmcnt(13) lgkmcnt(13)
	v_cmp_gt_i16_sdwa s73, v114, v61 src0_sel:BYTE_0 src1_sel:DWORD
	s_mov_b32 s16, 0
	s_and_saveexec_b32 s74, s73
	s_xor_b32 s73, exec_lo, s74
	s_cbranch_execz .LBB6_5187
; %bb.4557:                             ;   in Loop: Header=BB6_3887 Depth=4
	v_cmp_eq_u16_sdwa s75, v114, v62 src0_sel:BYTE_0 src1_sel:DWORD
	s_mov_b32 s16, -1
	s_and_saveexec_b32 s74, s75
; %bb.4558:                             ;   in Loop: Header=BB6_3887 Depth=4
	s_xor_b32 s16, exec_lo, -1
; %bb.4559:                             ;   in Loop: Header=BB6_3887 Depth=4
	s_or_b32 exec_lo, exec_lo, s74
	s_and_b32 s16, s16, exec_lo
	s_or_saveexec_b32 s73, s73
	v_mov_b32_e32 v86, 0x7f800001
	s_xor_b32 exec_lo, exec_lo, s73
	s_cbranch_execnz .LBB6_5188
.LBB6_4560:                             ;   in Loop: Header=BB6_3887 Depth=4
	s_or_b32 exec_lo, exec_lo, s73
	s_and_saveexec_b32 s73, s16
	s_cbranch_execz .LBB6_4562
.LBB6_4561:                             ;   in Loop: Header=BB6_3887 Depth=4
	v_and_b32_e32 v86, 7, v114
	v_lshrrev_b16 v99, 3, v114
	v_ffbh_u32_e32 v87, v86
	v_and_b32_e32 v99, 15, v99
	v_min_u32_e32 v87, 32, v87
	v_cmp_eq_u32_e32 vcc_lo, 0, v99
	v_subrev_nc_u32_e32 v115, 28, v87
	v_sub_nc_u32_e32 v87, 29, v87
	v_lshlrev_b32_e32 v115, v115, v114
	v_lshlrev_b32_e32 v114, 24, v114
	v_cndmask_b32_e32 v87, v99, v87, vcc_lo
	v_and_b32_e32 v115, 7, v115
	v_and_b32_e32 v99, 0x80000000, v114
	v_lshl_add_u32 v87, v87, 23, 0x3b800000
	v_cndmask_b32_e32 v86, v86, v115, vcc_lo
	v_lshlrev_b32_e32 v86, 20, v86
	v_or3_b32 v86, v99, v87, v86
.LBB6_4562:                             ;   in Loop: Header=BB6_3887 Depth=4
	s_or_b32 exec_lo, exec_lo, s73
	v_max_f32_e32 v86, v86, v86
	v_max_f32_e32 v87, v98, v98
	v_min_f32_e32 v98, v87, v86
.LBB6_4563:                             ;   in Loop: Header=BB6_3887 Depth=4
	v_and_b32_e32 v86, 0x7f800000, v98
	s_waitcnt vmcnt(13) lgkmcnt(13)
	v_mov_b32_e32 v114, 0x80
	s_mov_b32 s73, exec_lo
	v_cmpx_ne_u32_e32 0x7f800000, v86
	s_cbranch_execz .LBB6_4571
; %bb.4564:                             ;   in Loop: Header=BB6_3887 Depth=4
	v_mov_b32_e32 v114, 0
	s_mov_b32 s74, exec_lo
	v_cmpx_ne_u32_e32 0, v98
	s_cbranch_execz .LBB6_4570
; %bb.4565:                             ;   in Loop: Header=BB6_3887 Depth=4
	v_bfe_u32 v87, v98, 23, 8
	v_and_b32_e32 v86, 0x7fffff, v98
                                        ; implicit-def: $vgpr118
	v_cmp_gt_u32_e64 s16, 0x79, v87
	v_sub_nc_u32_e32 v99, 0x78, v87
	v_cmp_eq_u32_e32 vcc_lo, 0, v87
	v_or_b32_e32 v114, 0x800000, v86
	v_add_nc_u32_e32 v87, 0xffffff89, v87
	v_cndmask_b32_e64 v99, 0, v99, s16
	v_cndmask_b32_e32 v86, v114, v86, vcc_lo
	v_cndmask_b32_e64 v87, v87, 0xffffff8a, vcc_lo
	v_cndmask_b32_e64 v99, v99, 0x77, vcc_lo
	v_lshl_add_u32 v114, 0x100000, v99, -1
	v_lshlrev_b32_e64 v115, v99, 0x80000
	v_and_b32_e32 v114, v114, v86
	v_lshrrev_b32_e32 v86, v99, v86
	v_add_nc_u32_e32 v99, v99, v87
	v_cmp_eq_u32_e64 s16, v114, v115
	v_lshrrev_b32_e32 v87, 23, v86
	v_xor_b32_e32 v114, 1, v87
	v_bfe_u32 v87, v86, 20, 1
	v_add_nc_u32_e32 v87, -1, v87
	v_cndmask_b32_e64 v87, 0, v87, s16
	s_mov_b32 s16, exec_lo
	v_add_nc_u32_e32 v87, v87, v86
	v_and_b32_e32 v87, 0xfffff, v87
	v_add_nc_u32_e32 v115, v87, v86
	v_cmpx_ne_u32_e64 v99, v114
	s_xor_b32 s16, exec_lo, s16
; %bb.4566:                             ;   in Loop: Header=BB6_3887 Depth=4
	v_cmp_lt_u32_e32 vcc_lo, 0xffffff, v115
	v_sub_nc_u32_e32 v86, v99, v114
	v_cndmask_b32_e64 v87, 0, 1, vcc_lo
	v_add_co_ci_u32_e64 v118, null, 0, v86, vcc_lo
	v_lshrrev_b32_e32 v115, v87, v115
; %bb.4567:                             ;   in Loop: Header=BB6_3887 Depth=4
	s_andn2_saveexec_b32 s16, s16
; %bb.4568:                             ;   in Loop: Header=BB6_3887 Depth=4
	v_bfe_u32 v118, v115, 23, 1
; %bb.4569:                             ;   in Loop: Header=BB6_3887 Depth=4
	s_or_b32 exec_lo, exec_lo, s16
	v_lshrrev_b32_e32 v87, 20, v115
	v_cmp_gt_i32_e32 vcc_lo, 16, v118
	v_and_b32_sdwa v86, v98, v62 dst_sel:DWORD dst_unused:UNUSED_PAD src0_sel:BYTE_3 src1_sel:DWORD
	v_min_i32_e32 v98, 15, v118
	v_cndmask_b32_e32 v87, 7, v87, vcc_lo
	v_lshlrev_b32_e32 v98, 3, v98
	v_or_b32_e32 v99, v118, v87
	v_and_b32_e32 v87, 7, v87
	v_cmp_ne_u32_e32 vcc_lo, 0, v99
	v_or3_b32 v86, v98, v86, v87
	v_cndmask_b32_e32 v114, 0, v86, vcc_lo
.LBB6_4570:                             ;   in Loop: Header=BB6_3887 Depth=4
	s_or_b32 exec_lo, exec_lo, s74
.LBB6_4571:                             ;   in Loop: Header=BB6_3887 Depth=4
	s_or_b32 exec_lo, exec_lo, s73
	v_cmp_gt_i16_sdwa s73, v112, v61 src0_sel:BYTE_0 src1_sel:DWORD
	s_andn2_b32 vcc_lo, exec_lo, s63
	s_mov_b32 s16, -1
                                        ; implicit-def: $vgpr98
	s_cbranch_vccnz .LBB6_4585
; %bb.4572:                             ;   in Loop: Header=BB6_3887 Depth=4
	s_mov_b32 s16, 0
	s_and_saveexec_b32 s74, s73
	s_xor_b32 s73, exec_lo, s74
	s_cbranch_execz .LBB6_5189
; %bb.4573:                             ;   in Loop: Header=BB6_3887 Depth=4
	v_cmp_eq_u16_sdwa s75, v112, v62 src0_sel:BYTE_0 src1_sel:DWORD
	s_mov_b32 s16, -1
	s_and_saveexec_b32 s74, s75
; %bb.4574:                             ;   in Loop: Header=BB6_3887 Depth=4
	s_xor_b32 s16, exec_lo, -1
; %bb.4575:                             ;   in Loop: Header=BB6_3887 Depth=4
	s_or_b32 exec_lo, exec_lo, s74
	s_and_b32 s16, s16, exec_lo
	s_or_saveexec_b32 s73, s73
	v_mov_b32_e32 v98, 0x7f800001
	s_xor_b32 exec_lo, exec_lo, s73
	s_cbranch_execnz .LBB6_5190
.LBB6_4576:                             ;   in Loop: Header=BB6_3887 Depth=4
	s_or_b32 exec_lo, exec_lo, s73
	s_and_saveexec_b32 s73, s16
	s_cbranch_execz .LBB6_4578
.LBB6_4577:                             ;   in Loop: Header=BB6_3887 Depth=4
	v_and_b32_e32 v86, 7, v112
	v_lshrrev_b16 v98, 3, v112
	v_lshlrev_b32_e32 v115, 24, v112
	v_ffbh_u32_e32 v87, v86
	v_and_b32_e32 v98, 15, v98
	v_min_u32_e32 v87, 32, v87
	v_cmp_eq_u32_e32 vcc_lo, 0, v98
	v_subrev_nc_u32_e32 v99, 28, v87
	v_sub_nc_u32_e32 v87, 29, v87
	v_lshlrev_b32_e32 v99, v99, v112
	v_cndmask_b32_e32 v87, v98, v87, vcc_lo
	v_and_b32_e32 v98, 0x80000000, v115
	v_and_b32_e32 v99, 7, v99
	v_lshl_add_u32 v87, v87, 23, 0x3b800000
	v_cndmask_b32_e32 v86, v86, v99, vcc_lo
	v_lshlrev_b32_e32 v86, 20, v86
	v_or3_b32 v98, v98, v87, v86
.LBB6_4578:                             ;   in Loop: Header=BB6_3887 Depth=4
	s_or_b32 exec_lo, exec_lo, s73
	s_waitcnt vmcnt(12) lgkmcnt(12)
	v_cmp_gt_i16_sdwa s73, v101, v61 src0_sel:BYTE_0 src1_sel:DWORD
	s_mov_b32 s16, 0
	s_and_saveexec_b32 s74, s73
	s_xor_b32 s73, exec_lo, s74
	s_cbranch_execz .LBB6_5191
; %bb.4579:                             ;   in Loop: Header=BB6_3887 Depth=4
	v_cmp_eq_u16_sdwa s75, v101, v62 src0_sel:BYTE_0 src1_sel:DWORD
	s_mov_b32 s16, -1
	s_and_saveexec_b32 s74, s75
; %bb.4580:                             ;   in Loop: Header=BB6_3887 Depth=4
	s_xor_b32 s16, exec_lo, -1
; %bb.4581:                             ;   in Loop: Header=BB6_3887 Depth=4
	s_or_b32 exec_lo, exec_lo, s74
	s_and_b32 s16, s16, exec_lo
	s_or_saveexec_b32 s73, s73
	v_mov_b32_e32 v86, 0x7f800001
	s_xor_b32 exec_lo, exec_lo, s73
	s_cbranch_execnz .LBB6_5192
.LBB6_4582:                             ;   in Loop: Header=BB6_3887 Depth=4
	s_or_b32 exec_lo, exec_lo, s73
	s_and_saveexec_b32 s73, s16
	s_cbranch_execz .LBB6_4584
.LBB6_4583:                             ;   in Loop: Header=BB6_3887 Depth=4
	v_and_b32_e32 v86, 7, v101
	v_lshrrev_b16 v99, 3, v101
	v_lshlrev_b32_e32 v118, 24, v101
	v_ffbh_u32_e32 v87, v86
	v_and_b32_e32 v99, 15, v99
	v_min_u32_e32 v87, 32, v87
	v_cmp_eq_u32_e32 vcc_lo, 0, v99
	v_subrev_nc_u32_e32 v115, 28, v87
	v_sub_nc_u32_e32 v87, 29, v87
	v_lshlrev_b32_e32 v115, v115, v101
	v_cndmask_b32_e32 v87, v99, v87, vcc_lo
	v_and_b32_e32 v99, 0x80000000, v118
	v_and_b32_e32 v115, 7, v115
	v_lshl_add_u32 v87, v87, 23, 0x3b800000
	v_cndmask_b32_e32 v86, v86, v115, vcc_lo
	v_lshlrev_b32_e32 v86, 20, v86
	v_or3_b32 v86, v99, v87, v86
.LBB6_4584:                             ;   in Loop: Header=BB6_3887 Depth=4
	s_or_b32 exec_lo, exec_lo, s73
	v_max_f32_e32 v86, v86, v86
	v_max_f32_e32 v87, v98, v98
	s_mov_b32 s16, 0
	v_max_f32_e32 v98, v87, v86
.LBB6_4585:                             ;   in Loop: Header=BB6_3887 Depth=4
	s_and_b32 vcc_lo, exec_lo, s16
	s_cbranch_vccz .LBB6_4599
; %bb.4586:                             ;   in Loop: Header=BB6_3887 Depth=4
	v_cmp_gt_i16_sdwa s73, v112, v61 src0_sel:BYTE_0 src1_sel:DWORD
	s_mov_b32 s16, 0
	s_and_saveexec_b32 s74, s73
	s_xor_b32 s73, exec_lo, s74
	s_cbranch_execz .LBB6_5193
; %bb.4587:                             ;   in Loop: Header=BB6_3887 Depth=4
	v_cmp_eq_u16_sdwa s75, v112, v62 src0_sel:BYTE_0 src1_sel:DWORD
	s_mov_b32 s16, -1
	s_and_saveexec_b32 s74, s75
; %bb.4588:                             ;   in Loop: Header=BB6_3887 Depth=4
	s_xor_b32 s16, exec_lo, -1
; %bb.4589:                             ;   in Loop: Header=BB6_3887 Depth=4
	s_or_b32 exec_lo, exec_lo, s74
	s_and_b32 s16, s16, exec_lo
	s_or_saveexec_b32 s73, s73
	v_mov_b32_e32 v98, 0x7f800001
	s_xor_b32 exec_lo, exec_lo, s73
	s_cbranch_execnz .LBB6_5194
.LBB6_4590:                             ;   in Loop: Header=BB6_3887 Depth=4
	s_or_b32 exec_lo, exec_lo, s73
	s_and_saveexec_b32 s73, s16
	s_cbranch_execz .LBB6_4592
.LBB6_4591:                             ;   in Loop: Header=BB6_3887 Depth=4
	v_and_b32_e32 v86, 7, v112
	v_lshrrev_b16 v98, 3, v112
	v_ffbh_u32_e32 v87, v86
	v_and_b32_e32 v98, 15, v98
	v_min_u32_e32 v87, 32, v87
	v_cmp_eq_u32_e32 vcc_lo, 0, v98
	v_subrev_nc_u32_e32 v99, 28, v87
	v_sub_nc_u32_e32 v87, 29, v87
	v_lshlrev_b32_e32 v99, v99, v112
	v_lshlrev_b32_e32 v112, 24, v112
	v_cndmask_b32_e32 v87, v98, v87, vcc_lo
	v_and_b32_e32 v99, 7, v99
	v_and_b32_e32 v98, 0x80000000, v112
	v_lshl_add_u32 v87, v87, 23, 0x3b800000
	v_cndmask_b32_e32 v86, v86, v99, vcc_lo
	v_lshlrev_b32_e32 v86, 20, v86
	v_or3_b32 v98, v98, v87, v86
.LBB6_4592:                             ;   in Loop: Header=BB6_3887 Depth=4
	s_or_b32 exec_lo, exec_lo, s73
	s_waitcnt vmcnt(12) lgkmcnt(12)
	v_cmp_gt_i16_sdwa s73, v101, v61 src0_sel:BYTE_0 src1_sel:DWORD
	s_mov_b32 s16, 0
	s_and_saveexec_b32 s74, s73
	s_xor_b32 s73, exec_lo, s74
	s_cbranch_execz .LBB6_5195
; %bb.4593:                             ;   in Loop: Header=BB6_3887 Depth=4
	v_cmp_eq_u16_sdwa s75, v101, v62 src0_sel:BYTE_0 src1_sel:DWORD
	s_mov_b32 s16, -1
	s_and_saveexec_b32 s74, s75
; %bb.4594:                             ;   in Loop: Header=BB6_3887 Depth=4
	s_xor_b32 s16, exec_lo, -1
; %bb.4595:                             ;   in Loop: Header=BB6_3887 Depth=4
	s_or_b32 exec_lo, exec_lo, s74
	s_and_b32 s16, s16, exec_lo
	s_or_saveexec_b32 s73, s73
	v_mov_b32_e32 v86, 0x7f800001
	s_xor_b32 exec_lo, exec_lo, s73
	s_cbranch_execnz .LBB6_5196
.LBB6_4596:                             ;   in Loop: Header=BB6_3887 Depth=4
	s_or_b32 exec_lo, exec_lo, s73
	s_and_saveexec_b32 s73, s16
	s_cbranch_execz .LBB6_4598
.LBB6_4597:                             ;   in Loop: Header=BB6_3887 Depth=4
	v_and_b32_e32 v86, 7, v101
	v_lshrrev_b16 v99, 3, v101
	v_ffbh_u32_e32 v87, v86
	v_and_b32_e32 v99, 15, v99
	v_min_u32_e32 v87, 32, v87
	v_cmp_eq_u32_e32 vcc_lo, 0, v99
	v_subrev_nc_u32_e32 v112, 28, v87
	v_sub_nc_u32_e32 v87, 29, v87
	v_lshlrev_b32_e32 v112, v112, v101
	v_lshlrev_b32_e32 v101, 24, v101
	v_cndmask_b32_e32 v87, v99, v87, vcc_lo
	v_and_b32_e32 v112, 7, v112
	v_and_b32_e32 v99, 0x80000000, v101
	v_lshl_add_u32 v87, v87, 23, 0x3b800000
	v_cndmask_b32_e32 v86, v86, v112, vcc_lo
	v_lshlrev_b32_e32 v86, 20, v86
	v_or3_b32 v86, v99, v87, v86
.LBB6_4598:                             ;   in Loop: Header=BB6_3887 Depth=4
	s_or_b32 exec_lo, exec_lo, s73
	v_max_f32_e32 v86, v86, v86
	v_max_f32_e32 v87, v98, v98
	v_min_f32_e32 v98, v87, v86
.LBB6_4599:                             ;   in Loop: Header=BB6_3887 Depth=4
	v_and_b32_e32 v86, 0x7f800000, v98
	s_waitcnt vmcnt(12) lgkmcnt(12)
	v_mov_b32_e32 v101, 0x80
	s_mov_b32 s73, exec_lo
	v_cmpx_ne_u32_e32 0x7f800000, v86
	s_cbranch_execz .LBB6_4607
; %bb.4600:                             ;   in Loop: Header=BB6_3887 Depth=4
	v_mov_b32_e32 v101, 0
	s_mov_b32 s74, exec_lo
	v_cmpx_ne_u32_e32 0, v98
	s_cbranch_execz .LBB6_4606
; %bb.4601:                             ;   in Loop: Header=BB6_3887 Depth=4
	v_bfe_u32 v87, v98, 23, 8
	v_and_b32_e32 v86, 0x7fffff, v98
                                        ; implicit-def: $vgpr115
	v_cmp_gt_u32_e64 s16, 0x79, v87
	v_sub_nc_u32_e32 v99, 0x78, v87
	v_cmp_eq_u32_e32 vcc_lo, 0, v87
	v_or_b32_e32 v101, 0x800000, v86
	v_add_nc_u32_e32 v87, 0xffffff89, v87
	v_cndmask_b32_e64 v99, 0, v99, s16
	v_cndmask_b32_e32 v86, v101, v86, vcc_lo
	v_cndmask_b32_e64 v87, v87, 0xffffff8a, vcc_lo
	v_cndmask_b32_e64 v99, v99, 0x77, vcc_lo
	v_lshl_add_u32 v101, 0x100000, v99, -1
	v_lshlrev_b32_e64 v112, v99, 0x80000
	v_and_b32_e32 v101, v101, v86
	v_lshrrev_b32_e32 v86, v99, v86
	v_add_nc_u32_e32 v99, v99, v87
	v_cmp_eq_u32_e64 s16, v101, v112
	v_lshrrev_b32_e32 v87, 23, v86
	v_xor_b32_e32 v101, 1, v87
	v_bfe_u32 v87, v86, 20, 1
	v_add_nc_u32_e32 v87, -1, v87
	v_cndmask_b32_e64 v87, 0, v87, s16
	s_mov_b32 s16, exec_lo
	v_add_nc_u32_e32 v87, v87, v86
	v_and_b32_e32 v87, 0xfffff, v87
	v_add_nc_u32_e32 v112, v87, v86
	v_cmpx_ne_u32_e64 v99, v101
	s_xor_b32 s16, exec_lo, s16
; %bb.4602:                             ;   in Loop: Header=BB6_3887 Depth=4
	v_cmp_lt_u32_e32 vcc_lo, 0xffffff, v112
	v_sub_nc_u32_e32 v86, v99, v101
	v_cndmask_b32_e64 v87, 0, 1, vcc_lo
	v_add_co_ci_u32_e64 v115, null, 0, v86, vcc_lo
	v_lshrrev_b32_e32 v112, v87, v112
; %bb.4603:                             ;   in Loop: Header=BB6_3887 Depth=4
	s_andn2_saveexec_b32 s16, s16
; %bb.4604:                             ;   in Loop: Header=BB6_3887 Depth=4
	v_bfe_u32 v115, v112, 23, 1
; %bb.4605:                             ;   in Loop: Header=BB6_3887 Depth=4
	s_or_b32 exec_lo, exec_lo, s16
	v_lshrrev_b32_e32 v87, 20, v112
	v_cmp_gt_i32_e32 vcc_lo, 16, v115
	v_and_b32_sdwa v86, v98, v62 dst_sel:DWORD dst_unused:UNUSED_PAD src0_sel:BYTE_3 src1_sel:DWORD
	v_min_i32_e32 v98, 15, v115
	v_cndmask_b32_e32 v87, 7, v87, vcc_lo
	v_lshlrev_b32_e32 v98, 3, v98
	v_or_b32_e32 v99, v115, v87
	v_and_b32_e32 v87, 7, v87
	v_cmp_ne_u32_e32 vcc_lo, 0, v99
	v_or3_b32 v86, v98, v86, v87
	v_cndmask_b32_e32 v101, 0, v86, vcc_lo
.LBB6_4606:                             ;   in Loop: Header=BB6_3887 Depth=4
	s_or_b32 exec_lo, exec_lo, s74
.LBB6_4607:                             ;   in Loop: Header=BB6_3887 Depth=4
	s_or_b32 exec_lo, exec_lo, s73
	v_cmp_gt_i16_sdwa s73, v84, v61 src0_sel:BYTE_0 src1_sel:DWORD
	s_andn2_b32 vcc_lo, exec_lo, s63
	s_mov_b32 s16, -1
                                        ; implicit-def: $vgpr98
	s_cbranch_vccnz .LBB6_4621
; %bb.4608:                             ;   in Loop: Header=BB6_3887 Depth=4
	s_mov_b32 s16, 0
	s_and_saveexec_b32 s74, s73
	s_xor_b32 s73, exec_lo, s74
	s_cbranch_execz .LBB6_5197
; %bb.4609:                             ;   in Loop: Header=BB6_3887 Depth=4
	v_cmp_eq_u16_sdwa s75, v84, v62 src0_sel:BYTE_0 src1_sel:DWORD
	s_mov_b32 s16, -1
	s_and_saveexec_b32 s74, s75
; %bb.4610:                             ;   in Loop: Header=BB6_3887 Depth=4
	s_xor_b32 s16, exec_lo, -1
; %bb.4611:                             ;   in Loop: Header=BB6_3887 Depth=4
	s_or_b32 exec_lo, exec_lo, s74
	s_and_b32 s16, s16, exec_lo
	s_or_saveexec_b32 s73, s73
	v_mov_b32_e32 v98, 0x7f800001
	s_xor_b32 exec_lo, exec_lo, s73
	s_cbranch_execnz .LBB6_5198
.LBB6_4612:                             ;   in Loop: Header=BB6_3887 Depth=4
	s_or_b32 exec_lo, exec_lo, s73
	s_and_saveexec_b32 s73, s16
	s_cbranch_execz .LBB6_4614
.LBB6_4613:                             ;   in Loop: Header=BB6_3887 Depth=4
	v_and_b32_e32 v86, 7, v84
	v_lshrrev_b16 v98, 3, v84
	v_lshlrev_b32_e32 v112, 24, v84
	v_ffbh_u32_e32 v87, v86
	v_and_b32_e32 v98, 15, v98
	v_min_u32_e32 v87, 32, v87
	v_cmp_eq_u32_e32 vcc_lo, 0, v98
	v_subrev_nc_u32_e32 v99, 28, v87
	v_sub_nc_u32_e32 v87, 29, v87
	v_lshlrev_b32_e32 v99, v99, v84
	v_cndmask_b32_e32 v87, v98, v87, vcc_lo
	v_and_b32_e32 v98, 0x80000000, v112
	v_and_b32_e32 v99, 7, v99
	v_lshl_add_u32 v87, v87, 23, 0x3b800000
	v_cndmask_b32_e32 v86, v86, v99, vcc_lo
	v_lshlrev_b32_e32 v86, 20, v86
	v_or3_b32 v98, v98, v87, v86
.LBB6_4614:                             ;   in Loop: Header=BB6_3887 Depth=4
	s_or_b32 exec_lo, exec_lo, s73
	s_waitcnt vmcnt(11) lgkmcnt(11)
	v_cmp_gt_i16_sdwa s73, v83, v61 src0_sel:BYTE_0 src1_sel:DWORD
	s_mov_b32 s16, 0
	s_and_saveexec_b32 s74, s73
	s_xor_b32 s73, exec_lo, s74
	s_cbranch_execz .LBB6_5199
; %bb.4615:                             ;   in Loop: Header=BB6_3887 Depth=4
	v_cmp_eq_u16_sdwa s75, v83, v62 src0_sel:BYTE_0 src1_sel:DWORD
	s_mov_b32 s16, -1
	s_and_saveexec_b32 s74, s75
; %bb.4616:                             ;   in Loop: Header=BB6_3887 Depth=4
	s_xor_b32 s16, exec_lo, -1
; %bb.4617:                             ;   in Loop: Header=BB6_3887 Depth=4
	s_or_b32 exec_lo, exec_lo, s74
	s_and_b32 s16, s16, exec_lo
	s_or_saveexec_b32 s73, s73
	v_mov_b32_e32 v86, 0x7f800001
	s_xor_b32 exec_lo, exec_lo, s73
	s_cbranch_execnz .LBB6_5200
.LBB6_4618:                             ;   in Loop: Header=BB6_3887 Depth=4
	s_or_b32 exec_lo, exec_lo, s73
	s_and_saveexec_b32 s73, s16
	s_cbranch_execz .LBB6_4620
.LBB6_4619:                             ;   in Loop: Header=BB6_3887 Depth=4
	v_and_b32_e32 v86, 7, v83
	v_lshrrev_b16 v99, 3, v83
	v_lshlrev_b32_e32 v115, 24, v83
	v_ffbh_u32_e32 v87, v86
	v_and_b32_e32 v99, 15, v99
	v_min_u32_e32 v87, 32, v87
	v_cmp_eq_u32_e32 vcc_lo, 0, v99
	v_subrev_nc_u32_e32 v112, 28, v87
	v_sub_nc_u32_e32 v87, 29, v87
	v_lshlrev_b32_e32 v112, v112, v83
	v_cndmask_b32_e32 v87, v99, v87, vcc_lo
	v_and_b32_e32 v99, 0x80000000, v115
	v_and_b32_e32 v112, 7, v112
	v_lshl_add_u32 v87, v87, 23, 0x3b800000
	v_cndmask_b32_e32 v86, v86, v112, vcc_lo
	v_lshlrev_b32_e32 v86, 20, v86
	v_or3_b32 v86, v99, v87, v86
.LBB6_4620:                             ;   in Loop: Header=BB6_3887 Depth=4
	s_or_b32 exec_lo, exec_lo, s73
	v_max_f32_e32 v86, v86, v86
	v_max_f32_e32 v87, v98, v98
	s_mov_b32 s16, 0
	v_max_f32_e32 v98, v87, v86
.LBB6_4621:                             ;   in Loop: Header=BB6_3887 Depth=4
	s_and_b32 vcc_lo, exec_lo, s16
	s_cbranch_vccz .LBB6_4635
; %bb.4622:                             ;   in Loop: Header=BB6_3887 Depth=4
	v_cmp_gt_i16_sdwa s73, v84, v61 src0_sel:BYTE_0 src1_sel:DWORD
	s_mov_b32 s16, 0
	s_and_saveexec_b32 s74, s73
	s_xor_b32 s73, exec_lo, s74
	s_cbranch_execz .LBB6_5201
; %bb.4623:                             ;   in Loop: Header=BB6_3887 Depth=4
	v_cmp_eq_u16_sdwa s75, v84, v62 src0_sel:BYTE_0 src1_sel:DWORD
	s_mov_b32 s16, -1
	s_and_saveexec_b32 s74, s75
; %bb.4624:                             ;   in Loop: Header=BB6_3887 Depth=4
	s_xor_b32 s16, exec_lo, -1
; %bb.4625:                             ;   in Loop: Header=BB6_3887 Depth=4
	s_or_b32 exec_lo, exec_lo, s74
	s_and_b32 s16, s16, exec_lo
	s_or_saveexec_b32 s73, s73
	v_mov_b32_e32 v98, 0x7f800001
	s_xor_b32 exec_lo, exec_lo, s73
	s_cbranch_execnz .LBB6_5202
.LBB6_4626:                             ;   in Loop: Header=BB6_3887 Depth=4
	s_or_b32 exec_lo, exec_lo, s73
	s_and_saveexec_b32 s73, s16
	s_cbranch_execz .LBB6_4628
.LBB6_4627:                             ;   in Loop: Header=BB6_3887 Depth=4
	v_and_b32_e32 v86, 7, v84
	v_lshrrev_b16 v98, 3, v84
	v_ffbh_u32_e32 v87, v86
	v_and_b32_e32 v98, 15, v98
	v_min_u32_e32 v87, 32, v87
	v_cmp_eq_u32_e32 vcc_lo, 0, v98
	v_subrev_nc_u32_e32 v99, 28, v87
	v_sub_nc_u32_e32 v87, 29, v87
	v_lshlrev_b32_e32 v99, v99, v84
	v_lshlrev_b32_e32 v84, 24, v84
	v_cndmask_b32_e32 v87, v98, v87, vcc_lo
	v_and_b32_e32 v99, 7, v99
	v_and_b32_e32 v84, 0x80000000, v84
	v_lshl_add_u32 v87, v87, 23, 0x3b800000
	v_cndmask_b32_e32 v86, v86, v99, vcc_lo
	v_lshlrev_b32_e32 v86, 20, v86
	v_or3_b32 v98, v84, v87, v86
.LBB6_4628:                             ;   in Loop: Header=BB6_3887 Depth=4
	s_or_b32 exec_lo, exec_lo, s73
	s_waitcnt vmcnt(11) lgkmcnt(11)
	v_cmp_gt_i16_sdwa s73, v83, v61 src0_sel:BYTE_0 src1_sel:DWORD
	s_mov_b32 s16, 0
	s_and_saveexec_b32 s74, s73
	s_xor_b32 s73, exec_lo, s74
	s_cbranch_execz .LBB6_5203
; %bb.4629:                             ;   in Loop: Header=BB6_3887 Depth=4
	v_cmp_eq_u16_sdwa s75, v83, v62 src0_sel:BYTE_0 src1_sel:DWORD
	s_mov_b32 s16, -1
	s_and_saveexec_b32 s74, s75
; %bb.4630:                             ;   in Loop: Header=BB6_3887 Depth=4
	s_xor_b32 s16, exec_lo, -1
; %bb.4631:                             ;   in Loop: Header=BB6_3887 Depth=4
	s_or_b32 exec_lo, exec_lo, s74
	s_and_b32 s16, s16, exec_lo
	s_or_saveexec_b32 s73, s73
	v_mov_b32_e32 v84, 0x7f800001
	s_xor_b32 exec_lo, exec_lo, s73
	s_cbranch_execnz .LBB6_5204
.LBB6_4632:                             ;   in Loop: Header=BB6_3887 Depth=4
	s_or_b32 exec_lo, exec_lo, s73
	s_and_saveexec_b32 s73, s16
	s_cbranch_execz .LBB6_4634
.LBB6_4633:                             ;   in Loop: Header=BB6_3887 Depth=4
	v_and_b32_e32 v84, 7, v83
	v_lshrrev_b16 v87, 3, v83
	v_ffbh_u32_e32 v86, v84
	v_and_b32_e32 v87, 15, v87
	v_min_u32_e32 v86, 32, v86
	v_cmp_eq_u32_e32 vcc_lo, 0, v87
	v_subrev_nc_u32_e32 v99, 28, v86
	v_sub_nc_u32_e32 v86, 29, v86
	v_lshlrev_b32_e32 v99, v99, v83
	v_lshlrev_b32_e32 v83, 24, v83
	v_cndmask_b32_e32 v86, v87, v86, vcc_lo
	v_and_b32_e32 v99, 7, v99
	v_and_b32_e32 v83, 0x80000000, v83
	v_lshl_add_u32 v86, v86, 23, 0x3b800000
	v_cndmask_b32_e32 v84, v84, v99, vcc_lo
	v_lshlrev_b32_e32 v84, 20, v84
	v_or3_b32 v84, v83, v86, v84
.LBB6_4634:                             ;   in Loop: Header=BB6_3887 Depth=4
	s_or_b32 exec_lo, exec_lo, s73
	v_max_f32_e32 v83, v84, v84
	v_max_f32_e32 v84, v98, v98
	v_min_f32_e32 v98, v84, v83
.LBB6_4635:                             ;   in Loop: Header=BB6_3887 Depth=4
	s_waitcnt vmcnt(11) lgkmcnt(11)
	v_and_b32_e32 v83, 0x7f800000, v98
	v_cmp_ne_u32_e32 vcc_lo, 0x7f800000, v83
	v_mov_b32_e32 v83, 0x80
	s_and_saveexec_b32 s73, vcc_lo
	s_cbranch_execz .LBB6_4643
; %bb.4636:                             ;   in Loop: Header=BB6_3887 Depth=4
	v_mov_b32_e32 v83, 0
	s_mov_b32 s74, exec_lo
	v_cmpx_ne_u32_e32 0, v98
	s_cbranch_execz .LBB6_4642
; %bb.4637:                             ;   in Loop: Header=BB6_3887 Depth=4
	v_bfe_u32 v84, v98, 23, 8
	v_and_b32_e32 v83, 0x7fffff, v98
                                        ; implicit-def: $vgpr112
	v_cmp_gt_u32_e64 s16, 0x79, v84
	v_sub_nc_u32_e32 v86, 0x78, v84
	v_cmp_eq_u32_e32 vcc_lo, 0, v84
	v_or_b32_e32 v87, 0x800000, v83
	v_cndmask_b32_e64 v86, 0, v86, s16
	v_cndmask_b32_e32 v83, v87, v83, vcc_lo
	v_cndmask_b32_e64 v86, v86, 0x77, vcc_lo
	v_lshl_add_u32 v87, 0x100000, v86, -1
	v_lshlrev_b32_e64 v99, v86, 0x80000
	v_and_b32_e32 v87, v87, v83
	v_cmp_eq_u32_e64 s16, v87, v99
	v_lshrrev_b32_e32 v87, v86, v83
	v_add_nc_u32_e32 v83, 0xffffff89, v84
	v_lshrrev_b32_e32 v84, 23, v87
	v_cndmask_b32_e64 v83, v83, 0xffffff8a, vcc_lo
	v_xor_b32_e32 v84, 1, v84
	v_add_nc_u32_e32 v83, v86, v83
	v_bfe_u32 v86, v87, 20, 1
	v_add_nc_u32_e32 v86, -1, v86
	v_cndmask_b32_e64 v86, 0, v86, s16
	s_mov_b32 s16, exec_lo
	v_add_nc_u32_e32 v86, v86, v87
	v_and_b32_e32 v86, 0xfffff, v86
	v_add_nc_u32_e32 v99, v86, v87
	v_cmpx_ne_u32_e64 v83, v84
	s_xor_b32 s16, exec_lo, s16
; %bb.4638:                             ;   in Loop: Header=BB6_3887 Depth=4
	v_cmp_lt_u32_e32 vcc_lo, 0xffffff, v99
	v_sub_nc_u32_e32 v83, v83, v84
	v_cndmask_b32_e64 v84, 0, 1, vcc_lo
	v_add_co_ci_u32_e64 v112, null, 0, v83, vcc_lo
	v_lshrrev_b32_e32 v99, v84, v99
; %bb.4639:                             ;   in Loop: Header=BB6_3887 Depth=4
	s_andn2_saveexec_b32 s16, s16
; %bb.4640:                             ;   in Loop: Header=BB6_3887 Depth=4
	v_bfe_u32 v112, v99, 23, 1
; %bb.4641:                             ;   in Loop: Header=BB6_3887 Depth=4
	s_or_b32 exec_lo, exec_lo, s16
	v_lshrrev_b32_e32 v84, 20, v99
	v_cmp_gt_i32_e32 vcc_lo, 16, v112
	v_min_i32_e32 v86, 15, v112
	v_and_b32_sdwa v83, v98, v62 dst_sel:DWORD dst_unused:UNUSED_PAD src0_sel:BYTE_3 src1_sel:DWORD
	v_cndmask_b32_e32 v84, 7, v84, vcc_lo
	v_lshlrev_b32_e32 v86, 3, v86
	v_or_b32_e32 v87, v112, v84
	v_and_b32_e32 v84, 7, v84
	v_cmp_ne_u32_e32 vcc_lo, 0, v87
	v_or3_b32 v83, v86, v83, v84
	v_cndmask_b32_e32 v83, 0, v83, vcc_lo
.LBB6_4642:                             ;   in Loop: Header=BB6_3887 Depth=4
	s_or_b32 exec_lo, exec_lo, s74
.LBB6_4643:                             ;   in Loop: Header=BB6_3887 Depth=4
	s_or_b32 exec_lo, exec_lo, s73
	v_cmp_gt_i16_sdwa s73, v55, v61 src0_sel:BYTE_0 src1_sel:DWORD
	s_andn2_b32 vcc_lo, exec_lo, s63
	s_mov_b32 s16, -1
                                        ; implicit-def: $vgpr84
	s_cbranch_vccnz .LBB6_4657
; %bb.4644:                             ;   in Loop: Header=BB6_3887 Depth=4
	s_mov_b32 s16, 0
	s_and_saveexec_b32 s74, s73
	s_xor_b32 s73, exec_lo, s74
	s_cbranch_execz .LBB6_5205
; %bb.4645:                             ;   in Loop: Header=BB6_3887 Depth=4
	v_cmp_eq_u16_sdwa s75, v55, v62 src0_sel:BYTE_0 src1_sel:DWORD
	s_mov_b32 s16, -1
	s_and_saveexec_b32 s74, s75
; %bb.4646:                             ;   in Loop: Header=BB6_3887 Depth=4
	s_xor_b32 s16, exec_lo, -1
; %bb.4647:                             ;   in Loop: Header=BB6_3887 Depth=4
	s_or_b32 exec_lo, exec_lo, s74
	s_and_b32 s16, s16, exec_lo
	s_or_saveexec_b32 s73, s73
	v_mov_b32_e32 v84, 0x7f800001
	s_xor_b32 exec_lo, exec_lo, s73
	s_cbranch_execnz .LBB6_5206
.LBB6_4648:                             ;   in Loop: Header=BB6_3887 Depth=4
	s_or_b32 exec_lo, exec_lo, s73
	s_and_saveexec_b32 s73, s16
	s_cbranch_execz .LBB6_4650
.LBB6_4649:                             ;   in Loop: Header=BB6_3887 Depth=4
	v_and_b32_e32 v84, 7, v55
	v_lshrrev_b16 v87, 3, v55
	v_lshlrev_b32_e32 v99, 24, v55
	v_ffbh_u32_e32 v86, v84
	v_and_b32_e32 v87, 15, v87
	v_min_u32_e32 v86, 32, v86
	v_cmp_eq_u32_e32 vcc_lo, 0, v87
	v_subrev_nc_u32_e32 v98, 28, v86
	v_sub_nc_u32_e32 v86, 29, v86
	v_lshlrev_b32_e32 v98, v98, v55
	v_cndmask_b32_e32 v86, v87, v86, vcc_lo
	v_and_b32_e32 v87, 0x80000000, v99
	v_and_b32_e32 v98, 7, v98
	v_lshl_add_u32 v86, v86, 23, 0x3b800000
	v_cndmask_b32_e32 v84, v84, v98, vcc_lo
	v_lshlrev_b32_e32 v84, 20, v84
	v_or3_b32 v84, v87, v86, v84
.LBB6_4650:                             ;   in Loop: Header=BB6_3887 Depth=4
	s_or_b32 exec_lo, exec_lo, s73
	s_waitcnt vmcnt(10) lgkmcnt(10)
	v_cmp_gt_i16_sdwa s73, v54, v61 src0_sel:BYTE_0 src1_sel:DWORD
	s_mov_b32 s16, 0
	s_and_saveexec_b32 s74, s73
	s_xor_b32 s73, exec_lo, s74
	s_cbranch_execz .LBB6_5207
; %bb.4651:                             ;   in Loop: Header=BB6_3887 Depth=4
	v_cmp_eq_u16_sdwa s75, v54, v62 src0_sel:BYTE_0 src1_sel:DWORD
	s_mov_b32 s16, -1
	s_and_saveexec_b32 s74, s75
; %bb.4652:                             ;   in Loop: Header=BB6_3887 Depth=4
	s_xor_b32 s16, exec_lo, -1
; %bb.4653:                             ;   in Loop: Header=BB6_3887 Depth=4
	s_or_b32 exec_lo, exec_lo, s74
	s_and_b32 s16, s16, exec_lo
	s_or_saveexec_b32 s73, s73
	v_mov_b32_e32 v86, 0x7f800001
	s_xor_b32 exec_lo, exec_lo, s73
	s_cbranch_execnz .LBB6_5208
.LBB6_4654:                             ;   in Loop: Header=BB6_3887 Depth=4
	s_or_b32 exec_lo, exec_lo, s73
	s_and_saveexec_b32 s73, s16
	s_cbranch_execz .LBB6_4656
.LBB6_4655:                             ;   in Loop: Header=BB6_3887 Depth=4
	v_and_b32_e32 v86, 7, v54
	v_lshrrev_b16 v98, 3, v54
	v_lshlrev_b32_e32 v112, 24, v54
	v_ffbh_u32_e32 v87, v86
	v_and_b32_e32 v98, 15, v98
	v_min_u32_e32 v87, 32, v87
	v_cmp_eq_u32_e32 vcc_lo, 0, v98
	v_subrev_nc_u32_e32 v99, 28, v87
	v_sub_nc_u32_e32 v87, 29, v87
	v_lshlrev_b32_e32 v99, v99, v54
	v_cndmask_b32_e32 v87, v98, v87, vcc_lo
	v_and_b32_e32 v98, 0x80000000, v112
	v_and_b32_e32 v99, 7, v99
	v_lshl_add_u32 v87, v87, 23, 0x3b800000
	v_cndmask_b32_e32 v86, v86, v99, vcc_lo
	v_lshlrev_b32_e32 v86, 20, v86
	v_or3_b32 v86, v98, v87, v86
.LBB6_4656:                             ;   in Loop: Header=BB6_3887 Depth=4
	s_or_b32 exec_lo, exec_lo, s73
	v_max_f32_e32 v86, v86, v86
	v_max_f32_e32 v84, v84, v84
	s_mov_b32 s16, 0
	v_max_f32_e32 v84, v84, v86
.LBB6_4657:                             ;   in Loop: Header=BB6_3887 Depth=4
	s_and_b32 vcc_lo, exec_lo, s16
	s_cbranch_vccz .LBB6_4671
; %bb.4658:                             ;   in Loop: Header=BB6_3887 Depth=4
	v_cmp_gt_i16_sdwa s73, v55, v61 src0_sel:BYTE_0 src1_sel:DWORD
	s_mov_b32 s16, 0
	s_and_saveexec_b32 s74, s73
	s_xor_b32 s73, exec_lo, s74
	s_cbranch_execz .LBB6_5209
; %bb.4659:                             ;   in Loop: Header=BB6_3887 Depth=4
	v_cmp_eq_u16_sdwa s75, v55, v62 src0_sel:BYTE_0 src1_sel:DWORD
	s_mov_b32 s16, -1
	s_and_saveexec_b32 s74, s75
; %bb.4660:                             ;   in Loop: Header=BB6_3887 Depth=4
	s_xor_b32 s16, exec_lo, -1
; %bb.4661:                             ;   in Loop: Header=BB6_3887 Depth=4
	s_or_b32 exec_lo, exec_lo, s74
	s_and_b32 s16, s16, exec_lo
	s_or_saveexec_b32 s73, s73
	v_mov_b32_e32 v84, 0x7f800001
	s_xor_b32 exec_lo, exec_lo, s73
	s_cbranch_execnz .LBB6_5210
.LBB6_4662:                             ;   in Loop: Header=BB6_3887 Depth=4
	s_or_b32 exec_lo, exec_lo, s73
	s_and_saveexec_b32 s73, s16
	s_cbranch_execz .LBB6_4664
.LBB6_4663:                             ;   in Loop: Header=BB6_3887 Depth=4
	v_and_b32_e32 v84, 7, v55
	v_lshrrev_b16 v87, 3, v55
	v_ffbh_u32_e32 v86, v84
	v_and_b32_e32 v87, 15, v87
	v_min_u32_e32 v86, 32, v86
	v_cmp_eq_u32_e32 vcc_lo, 0, v87
	v_subrev_nc_u32_e32 v98, 28, v86
	v_sub_nc_u32_e32 v86, 29, v86
	v_lshlrev_b32_e32 v98, v98, v55
	v_lshlrev_b32_e32 v55, 24, v55
	v_cndmask_b32_e32 v86, v87, v86, vcc_lo
	v_and_b32_e32 v98, 7, v98
	v_and_b32_e32 v55, 0x80000000, v55
	v_lshl_add_u32 v86, v86, 23, 0x3b800000
	v_cndmask_b32_e32 v84, v84, v98, vcc_lo
	v_lshlrev_b32_e32 v84, 20, v84
	v_or3_b32 v84, v55, v86, v84
.LBB6_4664:                             ;   in Loop: Header=BB6_3887 Depth=4
	s_or_b32 exec_lo, exec_lo, s73
	s_waitcnt vmcnt(10) lgkmcnt(10)
	v_cmp_gt_i16_sdwa s73, v54, v61 src0_sel:BYTE_0 src1_sel:DWORD
	s_mov_b32 s16, 0
	s_and_saveexec_b32 s74, s73
	s_xor_b32 s73, exec_lo, s74
	s_cbranch_execz .LBB6_5211
; %bb.4665:                             ;   in Loop: Header=BB6_3887 Depth=4
	v_cmp_eq_u16_sdwa s75, v54, v62 src0_sel:BYTE_0 src1_sel:DWORD
	s_mov_b32 s16, -1
	s_and_saveexec_b32 s74, s75
; %bb.4666:                             ;   in Loop: Header=BB6_3887 Depth=4
	s_xor_b32 s16, exec_lo, -1
; %bb.4667:                             ;   in Loop: Header=BB6_3887 Depth=4
	s_or_b32 exec_lo, exec_lo, s74
	s_and_b32 s16, s16, exec_lo
	s_or_saveexec_b32 s73, s73
	v_mov_b32_e32 v55, 0x7f800001
	s_xor_b32 exec_lo, exec_lo, s73
	s_cbranch_execnz .LBB6_5212
.LBB6_4668:                             ;   in Loop: Header=BB6_3887 Depth=4
	s_or_b32 exec_lo, exec_lo, s73
	s_and_saveexec_b32 s73, s16
	s_cbranch_execz .LBB6_4670
.LBB6_4669:                             ;   in Loop: Header=BB6_3887 Depth=4
	v_and_b32_e32 v55, 7, v54
	v_lshrrev_b16 v87, 3, v54
	v_ffbh_u32_e32 v86, v55
	v_and_b32_e32 v87, 15, v87
	v_min_u32_e32 v86, 32, v86
	v_cmp_eq_u32_e32 vcc_lo, 0, v87
	v_subrev_nc_u32_e32 v98, 28, v86
	v_sub_nc_u32_e32 v86, 29, v86
	v_lshlrev_b32_e32 v98, v98, v54
	v_lshlrev_b32_e32 v54, 24, v54
	v_cndmask_b32_e32 v86, v87, v86, vcc_lo
	v_and_b32_e32 v98, 7, v98
	v_and_b32_e32 v54, 0x80000000, v54
	v_lshl_add_u32 v86, v86, 23, 0x3b800000
	v_cndmask_b32_e32 v55, v55, v98, vcc_lo
	v_lshlrev_b32_e32 v55, 20, v55
	v_or3_b32 v55, v54, v86, v55
.LBB6_4670:                             ;   in Loop: Header=BB6_3887 Depth=4
	s_or_b32 exec_lo, exec_lo, s73
	v_max_f32_e32 v54, v55, v55
	v_max_f32_e32 v55, v84, v84
	v_min_f32_e32 v84, v55, v54
.LBB6_4671:                             ;   in Loop: Header=BB6_3887 Depth=4
	s_waitcnt vmcnt(10) lgkmcnt(10)
	v_and_b32_e32 v54, 0x7f800000, v84
	v_cmp_ne_u32_e32 vcc_lo, 0x7f800000, v54
	v_mov_b32_e32 v54, 0x80
	s_and_saveexec_b32 s73, vcc_lo
	s_cbranch_execz .LBB6_4679
; %bb.4672:                             ;   in Loop: Header=BB6_3887 Depth=4
	v_mov_b32_e32 v54, 0
	s_mov_b32 s74, exec_lo
	v_cmpx_ne_u32_e32 0, v84
	s_cbranch_execz .LBB6_4678
; %bb.4673:                             ;   in Loop: Header=BB6_3887 Depth=4
	v_bfe_u32 v55, v84, 23, 8
	v_and_b32_e32 v54, 0x7fffff, v84
                                        ; implicit-def: $vgpr99
	v_cmp_gt_u32_e64 s16, 0x79, v55
	v_sub_nc_u32_e32 v86, 0x78, v55
	v_cmp_eq_u32_e32 vcc_lo, 0, v55
	v_or_b32_e32 v87, 0x800000, v54
	v_cndmask_b32_e64 v86, 0, v86, s16
	v_cndmask_b32_e32 v54, v87, v54, vcc_lo
	v_cndmask_b32_e64 v86, v86, 0x77, vcc_lo
	v_lshl_add_u32 v87, 0x100000, v86, -1
	v_lshlrev_b32_e64 v98, v86, 0x80000
	v_and_b32_e32 v87, v87, v54
	v_cmp_eq_u32_e64 s16, v87, v98
	v_lshrrev_b32_e32 v87, v86, v54
	v_add_nc_u32_e32 v54, 0xffffff89, v55
	v_lshrrev_b32_e32 v55, 23, v87
	v_cndmask_b32_e64 v54, v54, 0xffffff8a, vcc_lo
	v_xor_b32_e32 v55, 1, v55
	v_add_nc_u32_e32 v54, v86, v54
	v_bfe_u32 v86, v87, 20, 1
	v_add_nc_u32_e32 v86, -1, v86
	v_cndmask_b32_e64 v86, 0, v86, s16
	s_mov_b32 s16, exec_lo
	v_add_nc_u32_e32 v86, v86, v87
	v_and_b32_e32 v86, 0xfffff, v86
	v_add_nc_u32_e32 v98, v86, v87
	v_cmpx_ne_u32_e64 v54, v55
	s_xor_b32 s16, exec_lo, s16
; %bb.4674:                             ;   in Loop: Header=BB6_3887 Depth=4
	v_cmp_lt_u32_e32 vcc_lo, 0xffffff, v98
	v_sub_nc_u32_e32 v54, v54, v55
	v_cndmask_b32_e64 v55, 0, 1, vcc_lo
	v_add_co_ci_u32_e64 v99, null, 0, v54, vcc_lo
	v_lshrrev_b32_e32 v98, v55, v98
; %bb.4675:                             ;   in Loop: Header=BB6_3887 Depth=4
	s_andn2_saveexec_b32 s16, s16
; %bb.4676:                             ;   in Loop: Header=BB6_3887 Depth=4
	v_bfe_u32 v99, v98, 23, 1
; %bb.4677:                             ;   in Loop: Header=BB6_3887 Depth=4
	s_or_b32 exec_lo, exec_lo, s16
	v_lshrrev_b32_e32 v55, 20, v98
	v_cmp_gt_i32_e32 vcc_lo, 16, v99
	v_and_b32_sdwa v54, v84, v62 dst_sel:DWORD dst_unused:UNUSED_PAD src0_sel:BYTE_3 src1_sel:DWORD
	v_min_i32_e32 v84, 15, v99
	v_cndmask_b32_e32 v55, 7, v55, vcc_lo
	v_lshlrev_b32_e32 v84, 3, v84
	v_or_b32_e32 v86, v99, v55
	v_and_b32_e32 v55, 7, v55
	v_cmp_ne_u32_e32 vcc_lo, 0, v86
	v_or3_b32 v54, v84, v54, v55
	v_cndmask_b32_e32 v54, 0, v54, vcc_lo
.LBB6_4678:                             ;   in Loop: Header=BB6_3887 Depth=4
	s_or_b32 exec_lo, exec_lo, s74
.LBB6_4679:                             ;   in Loop: Header=BB6_3887 Depth=4
	s_or_b32 exec_lo, exec_lo, s73
	v_cmp_gt_i16_sdwa s73, v53, v61 src0_sel:BYTE_0 src1_sel:DWORD
	s_andn2_b32 vcc_lo, exec_lo, s63
	s_mov_b32 s16, -1
                                        ; implicit-def: $vgpr55
	s_cbranch_vccnz .LBB6_4693
; %bb.4680:                             ;   in Loop: Header=BB6_3887 Depth=4
	s_mov_b32 s16, 0
	s_and_saveexec_b32 s74, s73
	s_xor_b32 s73, exec_lo, s74
	s_cbranch_execz .LBB6_5213
; %bb.4681:                             ;   in Loop: Header=BB6_3887 Depth=4
	v_cmp_eq_u16_sdwa s75, v53, v62 src0_sel:BYTE_0 src1_sel:DWORD
	s_mov_b32 s16, -1
	s_and_saveexec_b32 s74, s75
; %bb.4682:                             ;   in Loop: Header=BB6_3887 Depth=4
	s_xor_b32 s16, exec_lo, -1
; %bb.4683:                             ;   in Loop: Header=BB6_3887 Depth=4
	s_or_b32 exec_lo, exec_lo, s74
	s_and_b32 s16, s16, exec_lo
	s_or_saveexec_b32 s73, s73
	v_mov_b32_e32 v55, 0x7f800001
	s_xor_b32 exec_lo, exec_lo, s73
	s_cbranch_execnz .LBB6_5214
.LBB6_4684:                             ;   in Loop: Header=BB6_3887 Depth=4
	s_or_b32 exec_lo, exec_lo, s73
	s_and_saveexec_b32 s73, s16
	s_cbranch_execz .LBB6_4686
.LBB6_4685:                             ;   in Loop: Header=BB6_3887 Depth=4
	v_and_b32_e32 v55, 7, v53
	v_lshrrev_b16 v86, 3, v53
	v_lshlrev_b32_e32 v98, 24, v53
	v_ffbh_u32_e32 v84, v55
	v_and_b32_e32 v86, 15, v86
	v_min_u32_e32 v84, 32, v84
	v_cmp_eq_u32_e32 vcc_lo, 0, v86
	v_subrev_nc_u32_e32 v87, 28, v84
	v_sub_nc_u32_e32 v84, 29, v84
	v_lshlrev_b32_e32 v87, v87, v53
	v_cndmask_b32_e32 v84, v86, v84, vcc_lo
	v_and_b32_e32 v86, 0x80000000, v98
	v_and_b32_e32 v87, 7, v87
	v_lshl_add_u32 v84, v84, 23, 0x3b800000
	v_cndmask_b32_e32 v55, v55, v87, vcc_lo
	v_lshlrev_b32_e32 v55, 20, v55
	v_or3_b32 v55, v86, v84, v55
.LBB6_4686:                             ;   in Loop: Header=BB6_3887 Depth=4
	s_or_b32 exec_lo, exec_lo, s73
	s_waitcnt vmcnt(9) lgkmcnt(9)
	v_cmp_gt_i16_sdwa s73, v52, v61 src0_sel:BYTE_0 src1_sel:DWORD
	s_mov_b32 s16, 0
	s_and_saveexec_b32 s74, s73
	s_xor_b32 s73, exec_lo, s74
	s_cbranch_execz .LBB6_5215
; %bb.4687:                             ;   in Loop: Header=BB6_3887 Depth=4
	v_cmp_eq_u16_sdwa s75, v52, v62 src0_sel:BYTE_0 src1_sel:DWORD
	s_mov_b32 s16, -1
	s_and_saveexec_b32 s74, s75
; %bb.4688:                             ;   in Loop: Header=BB6_3887 Depth=4
	s_xor_b32 s16, exec_lo, -1
; %bb.4689:                             ;   in Loop: Header=BB6_3887 Depth=4
	s_or_b32 exec_lo, exec_lo, s74
	s_and_b32 s16, s16, exec_lo
	s_or_saveexec_b32 s73, s73
	v_mov_b32_e32 v84, 0x7f800001
	s_xor_b32 exec_lo, exec_lo, s73
	s_cbranch_execnz .LBB6_5216
.LBB6_4690:                             ;   in Loop: Header=BB6_3887 Depth=4
	s_or_b32 exec_lo, exec_lo, s73
	s_and_saveexec_b32 s73, s16
	s_cbranch_execz .LBB6_4692
.LBB6_4691:                             ;   in Loop: Header=BB6_3887 Depth=4
	v_and_b32_e32 v84, 7, v52
	v_lshrrev_b16 v87, 3, v52
	v_lshlrev_b32_e32 v99, 24, v52
	v_ffbh_u32_e32 v86, v84
	v_and_b32_e32 v87, 15, v87
	v_min_u32_e32 v86, 32, v86
	v_cmp_eq_u32_e32 vcc_lo, 0, v87
	v_subrev_nc_u32_e32 v98, 28, v86
	v_sub_nc_u32_e32 v86, 29, v86
	v_lshlrev_b32_e32 v98, v98, v52
	v_cndmask_b32_e32 v86, v87, v86, vcc_lo
	v_and_b32_e32 v87, 0x80000000, v99
	v_and_b32_e32 v98, 7, v98
	v_lshl_add_u32 v86, v86, 23, 0x3b800000
	v_cndmask_b32_e32 v84, v84, v98, vcc_lo
	v_lshlrev_b32_e32 v84, 20, v84
	v_or3_b32 v84, v87, v86, v84
.LBB6_4692:                             ;   in Loop: Header=BB6_3887 Depth=4
	s_or_b32 exec_lo, exec_lo, s73
	v_max_f32_e32 v84, v84, v84
	v_max_f32_e32 v55, v55, v55
	s_mov_b32 s16, 0
	v_max_f32_e32 v55, v55, v84
.LBB6_4693:                             ;   in Loop: Header=BB6_3887 Depth=4
	s_and_b32 vcc_lo, exec_lo, s16
	s_cbranch_vccz .LBB6_4707
; %bb.4694:                             ;   in Loop: Header=BB6_3887 Depth=4
	v_cmp_gt_i16_sdwa s73, v53, v61 src0_sel:BYTE_0 src1_sel:DWORD
	s_mov_b32 s16, 0
	s_and_saveexec_b32 s74, s73
	s_xor_b32 s73, exec_lo, s74
	s_cbranch_execz .LBB6_5217
; %bb.4695:                             ;   in Loop: Header=BB6_3887 Depth=4
	v_cmp_eq_u16_sdwa s75, v53, v62 src0_sel:BYTE_0 src1_sel:DWORD
	s_mov_b32 s16, -1
	s_and_saveexec_b32 s74, s75
; %bb.4696:                             ;   in Loop: Header=BB6_3887 Depth=4
	s_xor_b32 s16, exec_lo, -1
; %bb.4697:                             ;   in Loop: Header=BB6_3887 Depth=4
	s_or_b32 exec_lo, exec_lo, s74
	s_and_b32 s16, s16, exec_lo
	s_or_saveexec_b32 s73, s73
	v_mov_b32_e32 v55, 0x7f800001
	s_xor_b32 exec_lo, exec_lo, s73
	s_cbranch_execnz .LBB6_5218
.LBB6_4698:                             ;   in Loop: Header=BB6_3887 Depth=4
	s_or_b32 exec_lo, exec_lo, s73
	s_and_saveexec_b32 s73, s16
	s_cbranch_execz .LBB6_4700
.LBB6_4699:                             ;   in Loop: Header=BB6_3887 Depth=4
	v_and_b32_e32 v55, 7, v53
	v_lshrrev_b16 v86, 3, v53
	v_ffbh_u32_e32 v84, v55
	v_and_b32_e32 v86, 15, v86
	v_min_u32_e32 v84, 32, v84
	v_cmp_eq_u32_e32 vcc_lo, 0, v86
	v_subrev_nc_u32_e32 v87, 28, v84
	v_sub_nc_u32_e32 v84, 29, v84
	v_lshlrev_b32_e32 v87, v87, v53
	v_lshlrev_b32_e32 v53, 24, v53
	v_cndmask_b32_e32 v84, v86, v84, vcc_lo
	v_and_b32_e32 v87, 7, v87
	v_and_b32_e32 v53, 0x80000000, v53
	v_lshl_add_u32 v84, v84, 23, 0x3b800000
	v_cndmask_b32_e32 v55, v55, v87, vcc_lo
	v_lshlrev_b32_e32 v55, 20, v55
	v_or3_b32 v55, v53, v84, v55
.LBB6_4700:                             ;   in Loop: Header=BB6_3887 Depth=4
	s_or_b32 exec_lo, exec_lo, s73
	s_waitcnt vmcnt(9) lgkmcnt(9)
	v_cmp_gt_i16_sdwa s73, v52, v61 src0_sel:BYTE_0 src1_sel:DWORD
	s_mov_b32 s16, 0
	s_and_saveexec_b32 s74, s73
	s_xor_b32 s73, exec_lo, s74
	s_cbranch_execz .LBB6_5219
; %bb.4701:                             ;   in Loop: Header=BB6_3887 Depth=4
	v_cmp_eq_u16_sdwa s75, v52, v62 src0_sel:BYTE_0 src1_sel:DWORD
	s_mov_b32 s16, -1
	s_and_saveexec_b32 s74, s75
; %bb.4702:                             ;   in Loop: Header=BB6_3887 Depth=4
	s_xor_b32 s16, exec_lo, -1
; %bb.4703:                             ;   in Loop: Header=BB6_3887 Depth=4
	s_or_b32 exec_lo, exec_lo, s74
	s_and_b32 s16, s16, exec_lo
	s_or_saveexec_b32 s73, s73
	v_mov_b32_e32 v53, 0x7f800001
	s_xor_b32 exec_lo, exec_lo, s73
	s_cbranch_execnz .LBB6_5220
.LBB6_4704:                             ;   in Loop: Header=BB6_3887 Depth=4
	s_or_b32 exec_lo, exec_lo, s73
	s_and_saveexec_b32 s73, s16
	s_cbranch_execz .LBB6_4706
.LBB6_4705:                             ;   in Loop: Header=BB6_3887 Depth=4
	v_and_b32_e32 v53, 7, v52
	v_lshrrev_b16 v86, 3, v52
	v_ffbh_u32_e32 v84, v53
	v_and_b32_e32 v86, 15, v86
	v_min_u32_e32 v84, 32, v84
	v_cmp_eq_u32_e32 vcc_lo, 0, v86
	v_subrev_nc_u32_e32 v87, 28, v84
	v_sub_nc_u32_e32 v84, 29, v84
	v_lshlrev_b32_e32 v87, v87, v52
	v_lshlrev_b32_e32 v52, 24, v52
	v_cndmask_b32_e32 v84, v86, v84, vcc_lo
	v_and_b32_e32 v87, 7, v87
	v_and_b32_e32 v52, 0x80000000, v52
	v_lshl_add_u32 v84, v84, 23, 0x3b800000
	v_cndmask_b32_e32 v53, v53, v87, vcc_lo
	v_lshlrev_b32_e32 v53, 20, v53
	v_or3_b32 v53, v52, v84, v53
.LBB6_4706:                             ;   in Loop: Header=BB6_3887 Depth=4
	s_or_b32 exec_lo, exec_lo, s73
	v_max_f32_e32 v52, v53, v53
	v_max_f32_e32 v53, v55, v55
	v_min_f32_e32 v55, v53, v52
.LBB6_4707:                             ;   in Loop: Header=BB6_3887 Depth=4
	s_waitcnt vmcnt(9) lgkmcnt(9)
	v_and_b32_e32 v52, 0x7f800000, v55
	v_cmp_ne_u32_e32 vcc_lo, 0x7f800000, v52
	v_mov_b32_e32 v52, 0x80
	s_and_saveexec_b32 s73, vcc_lo
	s_cbranch_execz .LBB6_4715
; %bb.4708:                             ;   in Loop: Header=BB6_3887 Depth=4
	v_mov_b32_e32 v52, 0
	s_mov_b32 s74, exec_lo
	v_cmpx_ne_u32_e32 0, v55
	s_cbranch_execz .LBB6_4714
; %bb.4709:                             ;   in Loop: Header=BB6_3887 Depth=4
	v_bfe_u32 v53, v55, 23, 8
	v_and_b32_e32 v52, 0x7fffff, v55
                                        ; implicit-def: $vgpr98
	v_cmp_gt_u32_e64 s16, 0x79, v53
	v_sub_nc_u32_e32 v84, 0x78, v53
	v_cmp_eq_u32_e32 vcc_lo, 0, v53
	v_or_b32_e32 v86, 0x800000, v52
	v_cndmask_b32_e64 v84, 0, v84, s16
	v_cndmask_b32_e32 v52, v86, v52, vcc_lo
	v_cndmask_b32_e64 v84, v84, 0x77, vcc_lo
	v_lshl_add_u32 v86, 0x100000, v84, -1
	v_lshlrev_b32_e64 v87, v84, 0x80000
	v_and_b32_e32 v86, v86, v52
	v_cmp_eq_u32_e64 s16, v86, v87
	v_lshrrev_b32_e32 v86, v84, v52
	v_add_nc_u32_e32 v52, 0xffffff89, v53
	v_lshrrev_b32_e32 v53, 23, v86
	v_cndmask_b32_e64 v52, v52, 0xffffff8a, vcc_lo
	v_xor_b32_e32 v53, 1, v53
	v_add_nc_u32_e32 v52, v84, v52
	v_bfe_u32 v84, v86, 20, 1
	v_add_nc_u32_e32 v84, -1, v84
	v_cndmask_b32_e64 v84, 0, v84, s16
	s_mov_b32 s16, exec_lo
	v_add_nc_u32_e32 v84, v84, v86
	v_and_b32_e32 v84, 0xfffff, v84
	v_add_nc_u32_e32 v84, v84, v86
	v_cmpx_ne_u32_e64 v52, v53
	s_xor_b32 s16, exec_lo, s16
; %bb.4710:                             ;   in Loop: Header=BB6_3887 Depth=4
	v_cmp_lt_u32_e32 vcc_lo, 0xffffff, v84
	v_sub_nc_u32_e32 v52, v52, v53
	v_cndmask_b32_e64 v53, 0, 1, vcc_lo
	v_add_co_ci_u32_e64 v98, null, 0, v52, vcc_lo
	v_lshrrev_b32_e32 v84, v53, v84
; %bb.4711:                             ;   in Loop: Header=BB6_3887 Depth=4
	s_andn2_saveexec_b32 s16, s16
; %bb.4712:                             ;   in Loop: Header=BB6_3887 Depth=4
	v_bfe_u32 v98, v84, 23, 1
; %bb.4713:                             ;   in Loop: Header=BB6_3887 Depth=4
	s_or_b32 exec_lo, exec_lo, s16
	v_lshrrev_b32_e32 v53, 20, v84
	v_cmp_gt_i32_e32 vcc_lo, 16, v98
	v_and_b32_sdwa v52, v55, v62 dst_sel:DWORD dst_unused:UNUSED_PAD src0_sel:BYTE_3 src1_sel:DWORD
	v_min_i32_e32 v55, 15, v98
	v_cndmask_b32_e32 v53, 7, v53, vcc_lo
	v_lshlrev_b32_e32 v55, 3, v55
	v_or_b32_e32 v84, v98, v53
	v_and_b32_e32 v53, 7, v53
	v_cmp_ne_u32_e32 vcc_lo, 0, v84
	v_or3_b32 v52, v55, v52, v53
	v_cndmask_b32_e32 v52, 0, v52, vcc_lo
.LBB6_4714:                             ;   in Loop: Header=BB6_3887 Depth=4
	s_or_b32 exec_lo, exec_lo, s74
.LBB6_4715:                             ;   in Loop: Header=BB6_3887 Depth=4
	s_or_b32 exec_lo, exec_lo, s73
	v_cmp_gt_i16_sdwa s73, v50, v61 src0_sel:BYTE_0 src1_sel:DWORD
	s_andn2_b32 vcc_lo, exec_lo, s63
	s_mov_b32 s16, -1
                                        ; implicit-def: $vgpr53
	s_cbranch_vccnz .LBB6_4729
; %bb.4716:                             ;   in Loop: Header=BB6_3887 Depth=4
	s_mov_b32 s16, 0
	s_and_saveexec_b32 s74, s73
	s_xor_b32 s73, exec_lo, s74
	s_cbranch_execz .LBB6_5221
; %bb.4717:                             ;   in Loop: Header=BB6_3887 Depth=4
	v_cmp_eq_u16_sdwa s75, v50, v62 src0_sel:BYTE_0 src1_sel:DWORD
	s_mov_b32 s16, -1
	s_and_saveexec_b32 s74, s75
; %bb.4718:                             ;   in Loop: Header=BB6_3887 Depth=4
	s_xor_b32 s16, exec_lo, -1
; %bb.4719:                             ;   in Loop: Header=BB6_3887 Depth=4
	s_or_b32 exec_lo, exec_lo, s74
	s_and_b32 s16, s16, exec_lo
	s_or_saveexec_b32 s73, s73
	v_mov_b32_e32 v53, 0x7f800001
	s_xor_b32 exec_lo, exec_lo, s73
	s_cbranch_execnz .LBB6_5222
.LBB6_4720:                             ;   in Loop: Header=BB6_3887 Depth=4
	s_or_b32 exec_lo, exec_lo, s73
	s_and_saveexec_b32 s73, s16
	s_cbranch_execz .LBB6_4722
.LBB6_4721:                             ;   in Loop: Header=BB6_3887 Depth=4
	v_and_b32_e32 v53, 7, v50
	v_lshrrev_b16 v84, 3, v50
	v_lshlrev_b32_e32 v87, 24, v50
	v_ffbh_u32_e32 v55, v53
	v_and_b32_e32 v84, 15, v84
	v_min_u32_e32 v55, 32, v55
	v_cmp_eq_u32_e32 vcc_lo, 0, v84
	v_subrev_nc_u32_e32 v86, 28, v55
	v_sub_nc_u32_e32 v55, 29, v55
	v_lshlrev_b32_e32 v86, v86, v50
	v_cndmask_b32_e32 v55, v84, v55, vcc_lo
	v_and_b32_e32 v84, 0x80000000, v87
	v_and_b32_e32 v86, 7, v86
	v_lshl_add_u32 v55, v55, 23, 0x3b800000
	v_cndmask_b32_e32 v53, v53, v86, vcc_lo
	v_lshlrev_b32_e32 v53, 20, v53
	v_or3_b32 v53, v84, v55, v53
.LBB6_4722:                             ;   in Loop: Header=BB6_3887 Depth=4
	s_or_b32 exec_lo, exec_lo, s73
	s_waitcnt vmcnt(8) lgkmcnt(8)
	v_cmp_gt_i16_sdwa s73, v31, v61 src0_sel:BYTE_0 src1_sel:DWORD
	s_mov_b32 s16, 0
	s_and_saveexec_b32 s74, s73
	s_xor_b32 s73, exec_lo, s74
	s_cbranch_execz .LBB6_5223
; %bb.4723:                             ;   in Loop: Header=BB6_3887 Depth=4
	v_cmp_eq_u16_sdwa s75, v31, v62 src0_sel:BYTE_0 src1_sel:DWORD
	s_mov_b32 s16, -1
	s_and_saveexec_b32 s74, s75
; %bb.4724:                             ;   in Loop: Header=BB6_3887 Depth=4
	s_xor_b32 s16, exec_lo, -1
; %bb.4725:                             ;   in Loop: Header=BB6_3887 Depth=4
	s_or_b32 exec_lo, exec_lo, s74
	s_and_b32 s16, s16, exec_lo
	s_or_saveexec_b32 s73, s73
	v_mov_b32_e32 v55, 0x7f800001
	s_xor_b32 exec_lo, exec_lo, s73
	s_cbranch_execnz .LBB6_5224
.LBB6_4726:                             ;   in Loop: Header=BB6_3887 Depth=4
	s_or_b32 exec_lo, exec_lo, s73
	s_and_saveexec_b32 s73, s16
	s_cbranch_execz .LBB6_4728
.LBB6_4727:                             ;   in Loop: Header=BB6_3887 Depth=4
	v_and_b32_e32 v55, 7, v31
	v_lshrrev_b16 v86, 3, v31
	v_lshlrev_b32_e32 v98, 24, v31
	v_ffbh_u32_e32 v84, v55
	v_and_b32_e32 v86, 15, v86
	v_min_u32_e32 v84, 32, v84
	v_cmp_eq_u32_e32 vcc_lo, 0, v86
	v_subrev_nc_u32_e32 v87, 28, v84
	v_sub_nc_u32_e32 v84, 29, v84
	v_lshlrev_b32_e32 v87, v87, v31
	v_cndmask_b32_e32 v84, v86, v84, vcc_lo
	v_and_b32_e32 v86, 0x80000000, v98
	v_and_b32_e32 v87, 7, v87
	v_lshl_add_u32 v84, v84, 23, 0x3b800000
	v_cndmask_b32_e32 v55, v55, v87, vcc_lo
	v_lshlrev_b32_e32 v55, 20, v55
	v_or3_b32 v55, v86, v84, v55
.LBB6_4728:                             ;   in Loop: Header=BB6_3887 Depth=4
	s_or_b32 exec_lo, exec_lo, s73
	v_max_f32_e32 v55, v55, v55
	v_max_f32_e32 v53, v53, v53
	s_mov_b32 s16, 0
	v_max_f32_e32 v53, v53, v55
.LBB6_4729:                             ;   in Loop: Header=BB6_3887 Depth=4
	s_and_b32 vcc_lo, exec_lo, s16
	s_cbranch_vccz .LBB6_4743
; %bb.4730:                             ;   in Loop: Header=BB6_3887 Depth=4
	v_cmp_gt_i16_sdwa s73, v50, v61 src0_sel:BYTE_0 src1_sel:DWORD
	s_mov_b32 s16, 0
	s_and_saveexec_b32 s74, s73
	s_xor_b32 s73, exec_lo, s74
	s_cbranch_execz .LBB6_5225
; %bb.4731:                             ;   in Loop: Header=BB6_3887 Depth=4
	v_cmp_eq_u16_sdwa s75, v50, v62 src0_sel:BYTE_0 src1_sel:DWORD
	s_mov_b32 s16, -1
	s_and_saveexec_b32 s74, s75
; %bb.4732:                             ;   in Loop: Header=BB6_3887 Depth=4
	s_xor_b32 s16, exec_lo, -1
; %bb.4733:                             ;   in Loop: Header=BB6_3887 Depth=4
	s_or_b32 exec_lo, exec_lo, s74
	s_and_b32 s16, s16, exec_lo
	s_or_saveexec_b32 s73, s73
	v_mov_b32_e32 v53, 0x7f800001
	s_xor_b32 exec_lo, exec_lo, s73
	s_cbranch_execnz .LBB6_5226
.LBB6_4734:                             ;   in Loop: Header=BB6_3887 Depth=4
	s_or_b32 exec_lo, exec_lo, s73
	s_and_saveexec_b32 s73, s16
	s_cbranch_execz .LBB6_4736
.LBB6_4735:                             ;   in Loop: Header=BB6_3887 Depth=4
	v_and_b32_e32 v53, 7, v50
	v_lshrrev_b16 v84, 3, v50
	v_ffbh_u32_e32 v55, v53
	v_and_b32_e32 v84, 15, v84
	v_min_u32_e32 v55, 32, v55
	v_cmp_eq_u32_e32 vcc_lo, 0, v84
	v_subrev_nc_u32_e32 v86, 28, v55
	v_sub_nc_u32_e32 v55, 29, v55
	v_lshlrev_b32_e32 v86, v86, v50
	v_lshlrev_b32_e32 v50, 24, v50
	v_cndmask_b32_e32 v55, v84, v55, vcc_lo
	v_and_b32_e32 v86, 7, v86
	v_and_b32_e32 v50, 0x80000000, v50
	v_lshl_add_u32 v55, v55, 23, 0x3b800000
	v_cndmask_b32_e32 v53, v53, v86, vcc_lo
	v_lshlrev_b32_e32 v53, 20, v53
	v_or3_b32 v53, v50, v55, v53
.LBB6_4736:                             ;   in Loop: Header=BB6_3887 Depth=4
	s_or_b32 exec_lo, exec_lo, s73
	s_waitcnt vmcnt(8) lgkmcnt(8)
	v_cmp_gt_i16_sdwa s73, v31, v61 src0_sel:BYTE_0 src1_sel:DWORD
	s_mov_b32 s16, 0
	s_and_saveexec_b32 s74, s73
	s_xor_b32 s73, exec_lo, s74
	s_cbranch_execz .LBB6_5227
; %bb.4737:                             ;   in Loop: Header=BB6_3887 Depth=4
	v_cmp_eq_u16_sdwa s75, v31, v62 src0_sel:BYTE_0 src1_sel:DWORD
	s_mov_b32 s16, -1
	s_and_saveexec_b32 s74, s75
; %bb.4738:                             ;   in Loop: Header=BB6_3887 Depth=4
	s_xor_b32 s16, exec_lo, -1
; %bb.4739:                             ;   in Loop: Header=BB6_3887 Depth=4
	s_or_b32 exec_lo, exec_lo, s74
	s_and_b32 s16, s16, exec_lo
	s_or_saveexec_b32 s73, s73
	v_mov_b32_e32 v50, 0x7f800001
	s_xor_b32 exec_lo, exec_lo, s73
	s_cbranch_execnz .LBB6_5228
.LBB6_4740:                             ;   in Loop: Header=BB6_3887 Depth=4
	s_or_b32 exec_lo, exec_lo, s73
	s_and_saveexec_b32 s73, s16
	s_cbranch_execz .LBB6_4742
.LBB6_4741:                             ;   in Loop: Header=BB6_3887 Depth=4
	v_and_b32_e32 v50, 7, v31
	v_lshrrev_b16 v84, 3, v31
	v_ffbh_u32_e32 v55, v50
	v_and_b32_e32 v84, 15, v84
	v_min_u32_e32 v55, 32, v55
	v_cmp_eq_u32_e32 vcc_lo, 0, v84
	v_subrev_nc_u32_e32 v86, 28, v55
	v_sub_nc_u32_e32 v55, 29, v55
	v_lshlrev_b32_e32 v86, v86, v31
	v_lshlrev_b32_e32 v31, 24, v31
	v_cndmask_b32_e32 v55, v84, v55, vcc_lo
	v_and_b32_e32 v86, 7, v86
	v_and_b32_e32 v31, 0x80000000, v31
	v_lshl_add_u32 v55, v55, 23, 0x3b800000
	v_cndmask_b32_e32 v50, v50, v86, vcc_lo
	v_lshlrev_b32_e32 v50, 20, v50
	v_or3_b32 v50, v31, v55, v50
.LBB6_4742:                             ;   in Loop: Header=BB6_3887 Depth=4
	s_or_b32 exec_lo, exec_lo, s73
	v_max_f32_e32 v31, v50, v50
	v_max_f32_e32 v50, v53, v53
	v_min_f32_e32 v53, v50, v31
.LBB6_4743:                             ;   in Loop: Header=BB6_3887 Depth=4
	s_waitcnt vmcnt(8) lgkmcnt(8)
	v_and_b32_e32 v31, 0x7f800000, v53
	v_cmp_ne_u32_e32 vcc_lo, 0x7f800000, v31
	v_mov_b32_e32 v31, 0x80
	s_and_saveexec_b32 s73, vcc_lo
	s_cbranch_execz .LBB6_4751
; %bb.4744:                             ;   in Loop: Header=BB6_3887 Depth=4
	v_mov_b32_e32 v31, 0
	s_mov_b32 s74, exec_lo
	v_cmpx_ne_u32_e32 0, v53
	s_cbranch_execz .LBB6_4750
; %bb.4745:                             ;   in Loop: Header=BB6_3887 Depth=4
	v_bfe_u32 v50, v53, 23, 8
	v_and_b32_e32 v31, 0x7fffff, v53
	v_cmp_gt_u32_e64 s16, 0x79, v50
	v_sub_nc_u32_e32 v55, 0x78, v50
	v_cmp_eq_u32_e32 vcc_lo, 0, v50
	v_or_b32_e32 v84, 0x800000, v31
	v_cndmask_b32_e64 v55, 0, v55, s16
	v_cndmask_b32_e32 v31, v84, v31, vcc_lo
	v_cndmask_b32_e64 v55, v55, 0x77, vcc_lo
	v_lshl_add_u32 v84, 0x100000, v55, -1
	v_lshlrev_b32_e64 v86, v55, 0x80000
	v_and_b32_e32 v84, v84, v31
	v_cmp_eq_u32_e64 s16, v84, v86
	v_lshrrev_b32_e32 v84, v55, v31
	v_add_nc_u32_e32 v31, 0xffffff89, v50
	v_lshrrev_b32_e32 v50, 23, v84
	v_cndmask_b32_e64 v31, v31, 0xffffff8a, vcc_lo
	v_xor_b32_e32 v50, 1, v50
	v_add_nc_u32_e32 v31, v55, v31
	v_bfe_u32 v55, v84, 20, 1
	v_add_nc_u32_e32 v55, -1, v55
	v_cndmask_b32_e64 v55, 0, v55, s16
	s_mov_b32 s16, exec_lo
	v_add_nc_u32_e32 v55, v55, v84
	v_and_b32_e32 v55, 0xfffff, v55
	v_add_nc_u32_e32 v55, v55, v84
                                        ; implicit-def: $vgpr84
	v_cmpx_ne_u32_e64 v31, v50
	s_xor_b32 s16, exec_lo, s16
; %bb.4746:                             ;   in Loop: Header=BB6_3887 Depth=4
	v_cmp_lt_u32_e32 vcc_lo, 0xffffff, v55
	v_sub_nc_u32_e32 v31, v31, v50
	v_cndmask_b32_e64 v50, 0, 1, vcc_lo
	v_add_co_ci_u32_e64 v84, null, 0, v31, vcc_lo
	v_lshrrev_b32_e32 v55, v50, v55
; %bb.4747:                             ;   in Loop: Header=BB6_3887 Depth=4
	s_andn2_saveexec_b32 s16, s16
; %bb.4748:                             ;   in Loop: Header=BB6_3887 Depth=4
	v_bfe_u32 v84, v55, 23, 1
; %bb.4749:                             ;   in Loop: Header=BB6_3887 Depth=4
	s_or_b32 exec_lo, exec_lo, s16
	v_lshrrev_b32_e32 v50, 20, v55
	v_cmp_gt_i32_e32 vcc_lo, 16, v84
	v_and_b32_sdwa v31, v53, v62 dst_sel:DWORD dst_unused:UNUSED_PAD src0_sel:BYTE_3 src1_sel:DWORD
	v_min_i32_e32 v53, 15, v84
	v_cndmask_b32_e32 v50, 7, v50, vcc_lo
	v_lshlrev_b32_e32 v53, 3, v53
	v_or_b32_e32 v55, v84, v50
	v_and_b32_e32 v50, 7, v50
	v_cmp_ne_u32_e32 vcc_lo, 0, v55
	v_or3_b32 v31, v53, v31, v50
	v_cndmask_b32_e32 v31, 0, v31, vcc_lo
.LBB6_4750:                             ;   in Loop: Header=BB6_3887 Depth=4
	s_or_b32 exec_lo, exec_lo, s74
.LBB6_4751:                             ;   in Loop: Header=BB6_3887 Depth=4
	s_or_b32 exec_lo, exec_lo, s73
	v_cmp_gt_i16_sdwa s73, v48, v61 src0_sel:BYTE_0 src1_sel:DWORD
	s_andn2_b32 vcc_lo, exec_lo, s63
	s_mov_b32 s16, -1
                                        ; implicit-def: $vgpr50
	s_cbranch_vccnz .LBB6_4765
; %bb.4752:                             ;   in Loop: Header=BB6_3887 Depth=4
	s_mov_b32 s16, 0
	s_and_saveexec_b32 s74, s73
	s_xor_b32 s73, exec_lo, s74
	s_cbranch_execz .LBB6_5229
; %bb.4753:                             ;   in Loop: Header=BB6_3887 Depth=4
	v_cmp_eq_u16_sdwa s75, v48, v62 src0_sel:BYTE_0 src1_sel:DWORD
	s_mov_b32 s16, -1
	s_and_saveexec_b32 s74, s75
; %bb.4754:                             ;   in Loop: Header=BB6_3887 Depth=4
	s_xor_b32 s16, exec_lo, -1
; %bb.4755:                             ;   in Loop: Header=BB6_3887 Depth=4
	s_or_b32 exec_lo, exec_lo, s74
	s_and_b32 s16, s16, exec_lo
	s_or_saveexec_b32 s73, s73
	v_mov_b32_e32 v50, 0x7f800001
	s_xor_b32 exec_lo, exec_lo, s73
	s_cbranch_execnz .LBB6_5230
.LBB6_4756:                             ;   in Loop: Header=BB6_3887 Depth=4
	s_or_b32 exec_lo, exec_lo, s73
	s_and_saveexec_b32 s73, s16
	s_cbranch_execz .LBB6_4758
.LBB6_4757:                             ;   in Loop: Header=BB6_3887 Depth=4
	v_and_b32_e32 v50, 7, v48
	v_lshrrev_b16 v55, 3, v48
	v_lshlrev_b32_e32 v86, 24, v48
	v_ffbh_u32_e32 v53, v50
	v_and_b32_e32 v55, 15, v55
	v_min_u32_e32 v53, 32, v53
	v_cmp_eq_u32_e32 vcc_lo, 0, v55
	v_subrev_nc_u32_e32 v84, 28, v53
	v_sub_nc_u32_e32 v53, 29, v53
	v_lshlrev_b32_e32 v84, v84, v48
	v_cndmask_b32_e32 v53, v55, v53, vcc_lo
	v_and_b32_e32 v55, 0x80000000, v86
	v_and_b32_e32 v84, 7, v84
	v_lshl_add_u32 v53, v53, 23, 0x3b800000
	v_cndmask_b32_e32 v50, v50, v84, vcc_lo
	v_lshlrev_b32_e32 v50, 20, v50
	v_or3_b32 v50, v55, v53, v50
.LBB6_4758:                             ;   in Loop: Header=BB6_3887 Depth=4
	s_or_b32 exec_lo, exec_lo, s73
	s_waitcnt vmcnt(7) lgkmcnt(7)
	v_cmp_gt_i16_sdwa s73, v39, v61 src0_sel:BYTE_0 src1_sel:DWORD
	s_mov_b32 s16, 0
	s_and_saveexec_b32 s74, s73
	s_xor_b32 s73, exec_lo, s74
	s_cbranch_execz .LBB6_5231
; %bb.4759:                             ;   in Loop: Header=BB6_3887 Depth=4
	v_cmp_eq_u16_sdwa s75, v39, v62 src0_sel:BYTE_0 src1_sel:DWORD
	s_mov_b32 s16, -1
	s_and_saveexec_b32 s74, s75
; %bb.4760:                             ;   in Loop: Header=BB6_3887 Depth=4
	s_xor_b32 s16, exec_lo, -1
; %bb.4761:                             ;   in Loop: Header=BB6_3887 Depth=4
	s_or_b32 exec_lo, exec_lo, s74
	s_and_b32 s16, s16, exec_lo
	s_or_saveexec_b32 s73, s73
	v_mov_b32_e32 v53, 0x7f800001
	s_xor_b32 exec_lo, exec_lo, s73
	s_cbranch_execnz .LBB6_5232
.LBB6_4762:                             ;   in Loop: Header=BB6_3887 Depth=4
	s_or_b32 exec_lo, exec_lo, s73
	s_and_saveexec_b32 s73, s16
	s_cbranch_execz .LBB6_4764
.LBB6_4763:                             ;   in Loop: Header=BB6_3887 Depth=4
	v_and_b32_e32 v53, 7, v39
	v_lshrrev_b16 v84, 3, v39
	v_lshlrev_b32_e32 v87, 24, v39
	v_ffbh_u32_e32 v55, v53
	v_and_b32_e32 v84, 15, v84
	v_min_u32_e32 v55, 32, v55
	v_cmp_eq_u32_e32 vcc_lo, 0, v84
	v_subrev_nc_u32_e32 v86, 28, v55
	v_sub_nc_u32_e32 v55, 29, v55
	v_lshlrev_b32_e32 v86, v86, v39
	v_cndmask_b32_e32 v55, v84, v55, vcc_lo
	v_and_b32_e32 v84, 0x80000000, v87
	v_and_b32_e32 v86, 7, v86
	v_lshl_add_u32 v55, v55, 23, 0x3b800000
	v_cndmask_b32_e32 v53, v53, v86, vcc_lo
	v_lshlrev_b32_e32 v53, 20, v53
	v_or3_b32 v53, v84, v55, v53
.LBB6_4764:                             ;   in Loop: Header=BB6_3887 Depth=4
	s_or_b32 exec_lo, exec_lo, s73
	v_max_f32_e32 v53, v53, v53
	v_max_f32_e32 v50, v50, v50
	s_mov_b32 s16, 0
	v_max_f32_e32 v50, v50, v53
.LBB6_4765:                             ;   in Loop: Header=BB6_3887 Depth=4
	s_and_b32 vcc_lo, exec_lo, s16
	s_cbranch_vccz .LBB6_4779
; %bb.4766:                             ;   in Loop: Header=BB6_3887 Depth=4
	v_cmp_gt_i16_sdwa s73, v48, v61 src0_sel:BYTE_0 src1_sel:DWORD
	s_mov_b32 s16, 0
	s_and_saveexec_b32 s74, s73
	s_xor_b32 s73, exec_lo, s74
	s_cbranch_execz .LBB6_5233
; %bb.4767:                             ;   in Loop: Header=BB6_3887 Depth=4
	v_cmp_eq_u16_sdwa s75, v48, v62 src0_sel:BYTE_0 src1_sel:DWORD
	s_mov_b32 s16, -1
	s_and_saveexec_b32 s74, s75
; %bb.4768:                             ;   in Loop: Header=BB6_3887 Depth=4
	s_xor_b32 s16, exec_lo, -1
; %bb.4769:                             ;   in Loop: Header=BB6_3887 Depth=4
	s_or_b32 exec_lo, exec_lo, s74
	s_and_b32 s16, s16, exec_lo
	s_or_saveexec_b32 s73, s73
	v_mov_b32_e32 v50, 0x7f800001
	s_xor_b32 exec_lo, exec_lo, s73
	s_cbranch_execnz .LBB6_5234
.LBB6_4770:                             ;   in Loop: Header=BB6_3887 Depth=4
	s_or_b32 exec_lo, exec_lo, s73
	s_and_saveexec_b32 s73, s16
	s_cbranch_execz .LBB6_4772
.LBB6_4771:                             ;   in Loop: Header=BB6_3887 Depth=4
	v_and_b32_e32 v50, 7, v48
	v_lshrrev_b16 v55, 3, v48
	v_ffbh_u32_e32 v53, v50
	v_and_b32_e32 v55, 15, v55
	v_min_u32_e32 v53, 32, v53
	v_cmp_eq_u32_e32 vcc_lo, 0, v55
	v_subrev_nc_u32_e32 v84, 28, v53
	v_sub_nc_u32_e32 v53, 29, v53
	v_lshlrev_b32_e32 v84, v84, v48
	v_lshlrev_b32_e32 v48, 24, v48
	v_cndmask_b32_e32 v53, v55, v53, vcc_lo
	v_and_b32_e32 v84, 7, v84
	v_and_b32_e32 v48, 0x80000000, v48
	v_lshl_add_u32 v53, v53, 23, 0x3b800000
	v_cndmask_b32_e32 v50, v50, v84, vcc_lo
	v_lshlrev_b32_e32 v50, 20, v50
	v_or3_b32 v50, v48, v53, v50
.LBB6_4772:                             ;   in Loop: Header=BB6_3887 Depth=4
	s_or_b32 exec_lo, exec_lo, s73
	s_waitcnt vmcnt(7) lgkmcnt(7)
	v_cmp_gt_i16_sdwa s73, v39, v61 src0_sel:BYTE_0 src1_sel:DWORD
	s_mov_b32 s16, 0
	s_and_saveexec_b32 s74, s73
	s_xor_b32 s73, exec_lo, s74
	s_cbranch_execz .LBB6_5235
; %bb.4773:                             ;   in Loop: Header=BB6_3887 Depth=4
	v_cmp_eq_u16_sdwa s75, v39, v62 src0_sel:BYTE_0 src1_sel:DWORD
	s_mov_b32 s16, -1
	s_and_saveexec_b32 s74, s75
; %bb.4774:                             ;   in Loop: Header=BB6_3887 Depth=4
	s_xor_b32 s16, exec_lo, -1
; %bb.4775:                             ;   in Loop: Header=BB6_3887 Depth=4
	s_or_b32 exec_lo, exec_lo, s74
	s_and_b32 s16, s16, exec_lo
	s_or_saveexec_b32 s73, s73
	v_mov_b32_e32 v48, 0x7f800001
	s_xor_b32 exec_lo, exec_lo, s73
	s_cbranch_execnz .LBB6_5236
.LBB6_4776:                             ;   in Loop: Header=BB6_3887 Depth=4
	s_or_b32 exec_lo, exec_lo, s73
	s_and_saveexec_b32 s73, s16
	s_cbranch_execz .LBB6_4778
.LBB6_4777:                             ;   in Loop: Header=BB6_3887 Depth=4
	v_and_b32_e32 v48, 7, v39
	v_lshrrev_b16 v55, 3, v39
	v_ffbh_u32_e32 v53, v48
	v_and_b32_e32 v55, 15, v55
	v_min_u32_e32 v53, 32, v53
	v_cmp_eq_u32_e32 vcc_lo, 0, v55
	v_subrev_nc_u32_e32 v84, 28, v53
	v_sub_nc_u32_e32 v53, 29, v53
	v_lshlrev_b32_e32 v84, v84, v39
	v_lshlrev_b32_e32 v39, 24, v39
	v_cndmask_b32_e32 v53, v55, v53, vcc_lo
	v_and_b32_e32 v84, 7, v84
	v_and_b32_e32 v39, 0x80000000, v39
	v_lshl_add_u32 v53, v53, 23, 0x3b800000
	v_cndmask_b32_e32 v48, v48, v84, vcc_lo
	v_lshlrev_b32_e32 v48, 20, v48
	v_or3_b32 v48, v39, v53, v48
.LBB6_4778:                             ;   in Loop: Header=BB6_3887 Depth=4
	s_or_b32 exec_lo, exec_lo, s73
	v_max_f32_e32 v39, v48, v48
	v_max_f32_e32 v48, v50, v50
	v_min_f32_e32 v50, v48, v39
.LBB6_4779:                             ;   in Loop: Header=BB6_3887 Depth=4
	s_waitcnt vmcnt(7) lgkmcnt(7)
	v_and_b32_e32 v39, 0x7f800000, v50
	v_cmp_ne_u32_e32 vcc_lo, 0x7f800000, v39
	v_mov_b32_e32 v39, 0x80
	s_and_saveexec_b32 s73, vcc_lo
	s_cbranch_execz .LBB6_4787
; %bb.4780:                             ;   in Loop: Header=BB6_3887 Depth=4
	v_mov_b32_e32 v39, 0
	s_mov_b32 s74, exec_lo
	v_cmpx_ne_u32_e32 0, v50
	s_cbranch_execz .LBB6_4786
; %bb.4781:                             ;   in Loop: Header=BB6_3887 Depth=4
	v_bfe_u32 v48, v50, 23, 8
	v_and_b32_e32 v39, 0x7fffff, v50
	v_cmp_gt_u32_e64 s16, 0x79, v48
	v_sub_nc_u32_e32 v53, 0x78, v48
	v_cmp_eq_u32_e32 vcc_lo, 0, v48
	v_or_b32_e32 v55, 0x800000, v39
	v_cndmask_b32_e64 v53, 0, v53, s16
	v_cndmask_b32_e32 v39, v55, v39, vcc_lo
	v_cndmask_b32_e64 v53, v53, 0x77, vcc_lo
	v_lshl_add_u32 v55, 0x100000, v53, -1
	v_lshlrev_b32_e64 v84, v53, 0x80000
	v_and_b32_e32 v55, v55, v39
	v_cmp_eq_u32_e64 s16, v55, v84
	v_lshrrev_b32_e32 v55, v53, v39
	v_add_nc_u32_e32 v39, 0xffffff89, v48
	v_lshrrev_b32_e32 v48, 23, v55
	v_cndmask_b32_e64 v39, v39, 0xffffff8a, vcc_lo
	v_xor_b32_e32 v48, 1, v48
	v_add_nc_u32_e32 v39, v53, v39
	v_bfe_u32 v53, v55, 20, 1
	v_add_nc_u32_e32 v53, -1, v53
	v_cndmask_b32_e64 v53, 0, v53, s16
	s_mov_b32 s16, exec_lo
	v_add_nc_u32_e32 v53, v53, v55
	v_and_b32_e32 v53, 0xfffff, v53
	v_add_nc_u32_e32 v53, v53, v55
                                        ; implicit-def: $vgpr55
	v_cmpx_ne_u32_e64 v39, v48
	s_xor_b32 s16, exec_lo, s16
; %bb.4782:                             ;   in Loop: Header=BB6_3887 Depth=4
	v_cmp_lt_u32_e32 vcc_lo, 0xffffff, v53
	v_sub_nc_u32_e32 v39, v39, v48
	v_cndmask_b32_e64 v48, 0, 1, vcc_lo
	v_add_co_ci_u32_e64 v55, null, 0, v39, vcc_lo
	v_lshrrev_b32_e32 v53, v48, v53
; %bb.4783:                             ;   in Loop: Header=BB6_3887 Depth=4
	s_andn2_saveexec_b32 s16, s16
; %bb.4784:                             ;   in Loop: Header=BB6_3887 Depth=4
	v_bfe_u32 v55, v53, 23, 1
; %bb.4785:                             ;   in Loop: Header=BB6_3887 Depth=4
	s_or_b32 exec_lo, exec_lo, s16
	v_lshrrev_b32_e32 v48, 20, v53
	v_cmp_gt_i32_e32 vcc_lo, 16, v55
	v_and_b32_sdwa v39, v50, v62 dst_sel:DWORD dst_unused:UNUSED_PAD src0_sel:BYTE_3 src1_sel:DWORD
	v_min_i32_e32 v50, 15, v55
	v_cndmask_b32_e32 v48, 7, v48, vcc_lo
	v_lshlrev_b32_e32 v50, 3, v50
	v_or_b32_e32 v53, v55, v48
	v_and_b32_e32 v48, 7, v48
	v_cmp_ne_u32_e32 vcc_lo, 0, v53
	v_or3_b32 v39, v50, v39, v48
	v_cndmask_b32_e32 v39, 0, v39, vcc_lo
.LBB6_4786:                             ;   in Loop: Header=BB6_3887 Depth=4
	s_or_b32 exec_lo, exec_lo, s74
.LBB6_4787:                             ;   in Loop: Header=BB6_3887 Depth=4
	s_or_b32 exec_lo, exec_lo, s73
	v_cmp_gt_i16_sdwa s73, v37, v61 src0_sel:BYTE_0 src1_sel:DWORD
	s_andn2_b32 vcc_lo, exec_lo, s63
	s_mov_b32 s16, -1
                                        ; implicit-def: $vgpr48
	s_cbranch_vccnz .LBB6_4801
; %bb.4788:                             ;   in Loop: Header=BB6_3887 Depth=4
	s_mov_b32 s16, 0
	s_and_saveexec_b32 s74, s73
	s_xor_b32 s73, exec_lo, s74
	s_cbranch_execz .LBB6_5237
; %bb.4789:                             ;   in Loop: Header=BB6_3887 Depth=4
	v_cmp_eq_u16_sdwa s75, v37, v62 src0_sel:BYTE_0 src1_sel:DWORD
	s_mov_b32 s16, -1
	s_and_saveexec_b32 s74, s75
; %bb.4790:                             ;   in Loop: Header=BB6_3887 Depth=4
	s_xor_b32 s16, exec_lo, -1
; %bb.4791:                             ;   in Loop: Header=BB6_3887 Depth=4
	s_or_b32 exec_lo, exec_lo, s74
	s_and_b32 s16, s16, exec_lo
	s_or_saveexec_b32 s73, s73
	v_mov_b32_e32 v48, 0x7f800001
	s_xor_b32 exec_lo, exec_lo, s73
	s_cbranch_execnz .LBB6_5238
.LBB6_4792:                             ;   in Loop: Header=BB6_3887 Depth=4
	s_or_b32 exec_lo, exec_lo, s73
	s_and_saveexec_b32 s73, s16
	s_cbranch_execz .LBB6_4794
.LBB6_4793:                             ;   in Loop: Header=BB6_3887 Depth=4
	v_and_b32_e32 v48, 7, v37
	v_lshrrev_b16 v53, 3, v37
	v_lshlrev_b32_e32 v84, 24, v37
	v_ffbh_u32_e32 v50, v48
	v_and_b32_e32 v53, 15, v53
	v_min_u32_e32 v50, 32, v50
	v_cmp_eq_u32_e32 vcc_lo, 0, v53
	v_subrev_nc_u32_e32 v55, 28, v50
	v_sub_nc_u32_e32 v50, 29, v50
	v_lshlrev_b32_e32 v55, v55, v37
	v_cndmask_b32_e32 v50, v53, v50, vcc_lo
	v_and_b32_e32 v53, 0x80000000, v84
	v_and_b32_e32 v55, 7, v55
	v_lshl_add_u32 v50, v50, 23, 0x3b800000
	v_cndmask_b32_e32 v48, v48, v55, vcc_lo
	v_lshlrev_b32_e32 v48, 20, v48
	v_or3_b32 v48, v53, v50, v48
.LBB6_4794:                             ;   in Loop: Header=BB6_3887 Depth=4
	s_or_b32 exec_lo, exec_lo, s73
	s_waitcnt vmcnt(6) lgkmcnt(6)
	v_cmp_gt_i16_sdwa s73, v36, v61 src0_sel:BYTE_0 src1_sel:DWORD
	s_mov_b32 s16, 0
	s_and_saveexec_b32 s74, s73
	s_xor_b32 s73, exec_lo, s74
	s_cbranch_execz .LBB6_5239
; %bb.4795:                             ;   in Loop: Header=BB6_3887 Depth=4
	v_cmp_eq_u16_sdwa s75, v36, v62 src0_sel:BYTE_0 src1_sel:DWORD
	s_mov_b32 s16, -1
	s_and_saveexec_b32 s74, s75
; %bb.4796:                             ;   in Loop: Header=BB6_3887 Depth=4
	s_xor_b32 s16, exec_lo, -1
; %bb.4797:                             ;   in Loop: Header=BB6_3887 Depth=4
	s_or_b32 exec_lo, exec_lo, s74
	s_and_b32 s16, s16, exec_lo
	s_or_saveexec_b32 s73, s73
	v_mov_b32_e32 v50, 0x7f800001
	s_xor_b32 exec_lo, exec_lo, s73
	s_cbranch_execnz .LBB6_5240
.LBB6_4798:                             ;   in Loop: Header=BB6_3887 Depth=4
	s_or_b32 exec_lo, exec_lo, s73
	s_and_saveexec_b32 s73, s16
	s_cbranch_execz .LBB6_4800
.LBB6_4799:                             ;   in Loop: Header=BB6_3887 Depth=4
	v_and_b32_e32 v50, 7, v36
	v_lshrrev_b16 v55, 3, v36
	v_lshlrev_b32_e32 v86, 24, v36
	v_ffbh_u32_e32 v53, v50
	v_and_b32_e32 v55, 15, v55
	v_min_u32_e32 v53, 32, v53
	v_cmp_eq_u32_e32 vcc_lo, 0, v55
	v_subrev_nc_u32_e32 v84, 28, v53
	v_sub_nc_u32_e32 v53, 29, v53
	v_lshlrev_b32_e32 v84, v84, v36
	v_cndmask_b32_e32 v53, v55, v53, vcc_lo
	v_and_b32_e32 v55, 0x80000000, v86
	v_and_b32_e32 v84, 7, v84
	v_lshl_add_u32 v53, v53, 23, 0x3b800000
	v_cndmask_b32_e32 v50, v50, v84, vcc_lo
	v_lshlrev_b32_e32 v50, 20, v50
	v_or3_b32 v50, v55, v53, v50
.LBB6_4800:                             ;   in Loop: Header=BB6_3887 Depth=4
	s_or_b32 exec_lo, exec_lo, s73
	v_max_f32_e32 v50, v50, v50
	v_max_f32_e32 v48, v48, v48
	s_mov_b32 s16, 0
	v_max_f32_e32 v48, v48, v50
.LBB6_4801:                             ;   in Loop: Header=BB6_3887 Depth=4
	s_and_b32 vcc_lo, exec_lo, s16
	s_cbranch_vccz .LBB6_4815
; %bb.4802:                             ;   in Loop: Header=BB6_3887 Depth=4
	v_cmp_gt_i16_sdwa s73, v37, v61 src0_sel:BYTE_0 src1_sel:DWORD
	s_mov_b32 s16, 0
	s_and_saveexec_b32 s74, s73
	s_xor_b32 s73, exec_lo, s74
	s_cbranch_execz .LBB6_5241
; %bb.4803:                             ;   in Loop: Header=BB6_3887 Depth=4
	v_cmp_eq_u16_sdwa s75, v37, v62 src0_sel:BYTE_0 src1_sel:DWORD
	s_mov_b32 s16, -1
	s_and_saveexec_b32 s74, s75
; %bb.4804:                             ;   in Loop: Header=BB6_3887 Depth=4
	s_xor_b32 s16, exec_lo, -1
; %bb.4805:                             ;   in Loop: Header=BB6_3887 Depth=4
	s_or_b32 exec_lo, exec_lo, s74
	s_and_b32 s16, s16, exec_lo
	s_or_saveexec_b32 s73, s73
	v_mov_b32_e32 v48, 0x7f800001
	s_xor_b32 exec_lo, exec_lo, s73
	s_cbranch_execnz .LBB6_5242
.LBB6_4806:                             ;   in Loop: Header=BB6_3887 Depth=4
	s_or_b32 exec_lo, exec_lo, s73
	s_and_saveexec_b32 s73, s16
	s_cbranch_execz .LBB6_4808
.LBB6_4807:                             ;   in Loop: Header=BB6_3887 Depth=4
	v_and_b32_e32 v48, 7, v37
	v_lshrrev_b16 v53, 3, v37
	v_ffbh_u32_e32 v50, v48
	v_and_b32_e32 v53, 15, v53
	v_min_u32_e32 v50, 32, v50
	v_cmp_eq_u32_e32 vcc_lo, 0, v53
	v_subrev_nc_u32_e32 v55, 28, v50
	v_sub_nc_u32_e32 v50, 29, v50
	v_lshlrev_b32_e32 v55, v55, v37
	v_lshlrev_b32_e32 v37, 24, v37
	v_cndmask_b32_e32 v50, v53, v50, vcc_lo
	v_and_b32_e32 v55, 7, v55
	v_and_b32_e32 v37, 0x80000000, v37
	v_lshl_add_u32 v50, v50, 23, 0x3b800000
	v_cndmask_b32_e32 v48, v48, v55, vcc_lo
	v_lshlrev_b32_e32 v48, 20, v48
	v_or3_b32 v48, v37, v50, v48
.LBB6_4808:                             ;   in Loop: Header=BB6_3887 Depth=4
	s_or_b32 exec_lo, exec_lo, s73
	s_waitcnt vmcnt(6) lgkmcnt(6)
	v_cmp_gt_i16_sdwa s73, v36, v61 src0_sel:BYTE_0 src1_sel:DWORD
	s_mov_b32 s16, 0
	s_and_saveexec_b32 s74, s73
	s_xor_b32 s73, exec_lo, s74
	s_cbranch_execz .LBB6_5243
; %bb.4809:                             ;   in Loop: Header=BB6_3887 Depth=4
	v_cmp_eq_u16_sdwa s75, v36, v62 src0_sel:BYTE_0 src1_sel:DWORD
	s_mov_b32 s16, -1
	s_and_saveexec_b32 s74, s75
; %bb.4810:                             ;   in Loop: Header=BB6_3887 Depth=4
	s_xor_b32 s16, exec_lo, -1
; %bb.4811:                             ;   in Loop: Header=BB6_3887 Depth=4
	s_or_b32 exec_lo, exec_lo, s74
	s_and_b32 s16, s16, exec_lo
	s_or_saveexec_b32 s73, s73
	v_mov_b32_e32 v37, 0x7f800001
	s_xor_b32 exec_lo, exec_lo, s73
	s_cbranch_execnz .LBB6_5244
.LBB6_4812:                             ;   in Loop: Header=BB6_3887 Depth=4
	s_or_b32 exec_lo, exec_lo, s73
	s_and_saveexec_b32 s73, s16
	s_cbranch_execz .LBB6_4814
.LBB6_4813:                             ;   in Loop: Header=BB6_3887 Depth=4
	v_and_b32_e32 v37, 7, v36
	v_lshrrev_b16 v53, 3, v36
	v_ffbh_u32_e32 v50, v37
	v_and_b32_e32 v53, 15, v53
	v_min_u32_e32 v50, 32, v50
	v_cmp_eq_u32_e32 vcc_lo, 0, v53
	v_subrev_nc_u32_e32 v55, 28, v50
	v_sub_nc_u32_e32 v50, 29, v50
	v_lshlrev_b32_e32 v55, v55, v36
	v_lshlrev_b32_e32 v36, 24, v36
	v_cndmask_b32_e32 v50, v53, v50, vcc_lo
	v_and_b32_e32 v55, 7, v55
	v_and_b32_e32 v36, 0x80000000, v36
	v_lshl_add_u32 v50, v50, 23, 0x3b800000
	v_cndmask_b32_e32 v37, v37, v55, vcc_lo
	v_lshlrev_b32_e32 v37, 20, v37
	v_or3_b32 v37, v36, v50, v37
.LBB6_4814:                             ;   in Loop: Header=BB6_3887 Depth=4
	s_or_b32 exec_lo, exec_lo, s73
	v_max_f32_e32 v36, v37, v37
	v_max_f32_e32 v37, v48, v48
	v_min_f32_e32 v48, v37, v36
.LBB6_4815:                             ;   in Loop: Header=BB6_3887 Depth=4
	s_waitcnt vmcnt(6) lgkmcnt(6)
	v_and_b32_e32 v36, 0x7f800000, v48
	v_cmp_ne_u32_e32 vcc_lo, 0x7f800000, v36
	v_mov_b32_e32 v36, 0x80
	s_and_saveexec_b32 s73, vcc_lo
	s_cbranch_execz .LBB6_4823
; %bb.4816:                             ;   in Loop: Header=BB6_3887 Depth=4
	v_mov_b32_e32 v36, 0
	s_mov_b32 s74, exec_lo
	v_cmpx_ne_u32_e32 0, v48
	s_cbranch_execz .LBB6_4822
; %bb.4817:                             ;   in Loop: Header=BB6_3887 Depth=4
	v_bfe_u32 v37, v48, 23, 8
	v_and_b32_e32 v36, 0x7fffff, v48
	v_cmp_gt_u32_e64 s16, 0x79, v37
	v_sub_nc_u32_e32 v50, 0x78, v37
	v_cmp_eq_u32_e32 vcc_lo, 0, v37
	v_or_b32_e32 v53, 0x800000, v36
	v_cndmask_b32_e64 v50, 0, v50, s16
	v_cndmask_b32_e32 v36, v53, v36, vcc_lo
	v_cndmask_b32_e64 v50, v50, 0x77, vcc_lo
	v_lshl_add_u32 v53, 0x100000, v50, -1
	v_lshlrev_b32_e64 v55, v50, 0x80000
	v_and_b32_e32 v53, v53, v36
	v_cmp_eq_u32_e64 s16, v53, v55
	v_lshrrev_b32_e32 v53, v50, v36
	v_add_nc_u32_e32 v36, 0xffffff89, v37
	v_lshrrev_b32_e32 v37, 23, v53
	v_cndmask_b32_e64 v36, v36, 0xffffff8a, vcc_lo
	v_xor_b32_e32 v37, 1, v37
	v_add_nc_u32_e32 v36, v50, v36
	v_bfe_u32 v50, v53, 20, 1
	v_add_nc_u32_e32 v50, -1, v50
	v_cndmask_b32_e64 v50, 0, v50, s16
	s_mov_b32 s16, exec_lo
	v_add_nc_u32_e32 v50, v50, v53
	v_and_b32_e32 v50, 0xfffff, v50
	v_add_nc_u32_e32 v50, v50, v53
                                        ; implicit-def: $vgpr53
	v_cmpx_ne_u32_e64 v36, v37
	s_xor_b32 s16, exec_lo, s16
; %bb.4818:                             ;   in Loop: Header=BB6_3887 Depth=4
	v_cmp_lt_u32_e32 vcc_lo, 0xffffff, v50
	v_sub_nc_u32_e32 v36, v36, v37
	v_cndmask_b32_e64 v37, 0, 1, vcc_lo
	v_add_co_ci_u32_e64 v53, null, 0, v36, vcc_lo
	v_lshrrev_b32_e32 v50, v37, v50
; %bb.4819:                             ;   in Loop: Header=BB6_3887 Depth=4
	s_andn2_saveexec_b32 s16, s16
; %bb.4820:                             ;   in Loop: Header=BB6_3887 Depth=4
	v_bfe_u32 v53, v50, 23, 1
; %bb.4821:                             ;   in Loop: Header=BB6_3887 Depth=4
	s_or_b32 exec_lo, exec_lo, s16
	v_lshrrev_b32_e32 v37, 20, v50
	v_cmp_gt_i32_e32 vcc_lo, 16, v53
	v_and_b32_sdwa v36, v48, v62 dst_sel:DWORD dst_unused:UNUSED_PAD src0_sel:BYTE_3 src1_sel:DWORD
	v_min_i32_e32 v48, 15, v53
	v_cndmask_b32_e32 v37, 7, v37, vcc_lo
	v_lshlrev_b32_e32 v48, 3, v48
	v_or_b32_e32 v50, v53, v37
	v_and_b32_e32 v37, 7, v37
	v_cmp_ne_u32_e32 vcc_lo, 0, v50
	v_or3_b32 v36, v48, v36, v37
	v_cndmask_b32_e32 v36, 0, v36, vcc_lo
.LBB6_4822:                             ;   in Loop: Header=BB6_3887 Depth=4
	s_or_b32 exec_lo, exec_lo, s74
.LBB6_4823:                             ;   in Loop: Header=BB6_3887 Depth=4
	s_or_b32 exec_lo, exec_lo, s73
	v_cmp_gt_i16_sdwa s73, v34, v61 src0_sel:BYTE_0 src1_sel:DWORD
	s_andn2_b32 vcc_lo, exec_lo, s63
	s_mov_b32 s16, -1
                                        ; implicit-def: $vgpr37
	s_cbranch_vccnz .LBB6_4837
; %bb.4824:                             ;   in Loop: Header=BB6_3887 Depth=4
	s_mov_b32 s16, 0
	s_and_saveexec_b32 s74, s73
	s_xor_b32 s73, exec_lo, s74
	s_cbranch_execz .LBB6_5245
; %bb.4825:                             ;   in Loop: Header=BB6_3887 Depth=4
	v_cmp_eq_u16_sdwa s75, v34, v62 src0_sel:BYTE_0 src1_sel:DWORD
	s_mov_b32 s16, -1
	s_and_saveexec_b32 s74, s75
; %bb.4826:                             ;   in Loop: Header=BB6_3887 Depth=4
	s_xor_b32 s16, exec_lo, -1
; %bb.4827:                             ;   in Loop: Header=BB6_3887 Depth=4
	s_or_b32 exec_lo, exec_lo, s74
	s_and_b32 s16, s16, exec_lo
	s_or_saveexec_b32 s73, s73
	v_mov_b32_e32 v37, 0x7f800001
	s_xor_b32 exec_lo, exec_lo, s73
	s_cbranch_execnz .LBB6_5246
.LBB6_4828:                             ;   in Loop: Header=BB6_3887 Depth=4
	s_or_b32 exec_lo, exec_lo, s73
	s_and_saveexec_b32 s73, s16
	s_cbranch_execz .LBB6_4830
.LBB6_4829:                             ;   in Loop: Header=BB6_3887 Depth=4
	v_and_b32_e32 v37, 7, v34
	v_lshrrev_b16 v50, 3, v34
	v_lshlrev_b32_e32 v55, 24, v34
	v_ffbh_u32_e32 v48, v37
	v_and_b32_e32 v50, 15, v50
	v_min_u32_e32 v48, 32, v48
	v_cmp_eq_u32_e32 vcc_lo, 0, v50
	v_subrev_nc_u32_e32 v53, 28, v48
	v_sub_nc_u32_e32 v48, 29, v48
	v_lshlrev_b32_e32 v53, v53, v34
	v_cndmask_b32_e32 v48, v50, v48, vcc_lo
	v_and_b32_e32 v50, 0x80000000, v55
	v_and_b32_e32 v53, 7, v53
	v_lshl_add_u32 v48, v48, 23, 0x3b800000
	v_cndmask_b32_e32 v37, v37, v53, vcc_lo
	v_lshlrev_b32_e32 v37, 20, v37
	v_or3_b32 v37, v50, v48, v37
.LBB6_4830:                             ;   in Loop: Header=BB6_3887 Depth=4
	s_or_b32 exec_lo, exec_lo, s73
	s_waitcnt vmcnt(5) lgkmcnt(5)
	v_cmp_gt_i16_sdwa s73, v33, v61 src0_sel:BYTE_0 src1_sel:DWORD
	s_mov_b32 s16, 0
	s_and_saveexec_b32 s74, s73
	s_xor_b32 s73, exec_lo, s74
	s_cbranch_execz .LBB6_5247
; %bb.4831:                             ;   in Loop: Header=BB6_3887 Depth=4
	v_cmp_eq_u16_sdwa s75, v33, v62 src0_sel:BYTE_0 src1_sel:DWORD
	s_mov_b32 s16, -1
	s_and_saveexec_b32 s74, s75
; %bb.4832:                             ;   in Loop: Header=BB6_3887 Depth=4
	s_xor_b32 s16, exec_lo, -1
; %bb.4833:                             ;   in Loop: Header=BB6_3887 Depth=4
	s_or_b32 exec_lo, exec_lo, s74
	s_and_b32 s16, s16, exec_lo
	s_or_saveexec_b32 s73, s73
	v_mov_b32_e32 v48, 0x7f800001
	s_xor_b32 exec_lo, exec_lo, s73
	s_cbranch_execnz .LBB6_5248
.LBB6_4834:                             ;   in Loop: Header=BB6_3887 Depth=4
	s_or_b32 exec_lo, exec_lo, s73
	s_and_saveexec_b32 s73, s16
	s_cbranch_execz .LBB6_4836
.LBB6_4835:                             ;   in Loop: Header=BB6_3887 Depth=4
	v_and_b32_e32 v48, 7, v33
	v_lshrrev_b16 v53, 3, v33
	v_lshlrev_b32_e32 v84, 24, v33
	v_ffbh_u32_e32 v50, v48
	v_and_b32_e32 v53, 15, v53
	v_min_u32_e32 v50, 32, v50
	v_cmp_eq_u32_e32 vcc_lo, 0, v53
	v_subrev_nc_u32_e32 v55, 28, v50
	v_sub_nc_u32_e32 v50, 29, v50
	v_lshlrev_b32_e32 v55, v55, v33
	v_cndmask_b32_e32 v50, v53, v50, vcc_lo
	v_and_b32_e32 v53, 0x80000000, v84
	v_and_b32_e32 v55, 7, v55
	v_lshl_add_u32 v50, v50, 23, 0x3b800000
	v_cndmask_b32_e32 v48, v48, v55, vcc_lo
	v_lshlrev_b32_e32 v48, 20, v48
	v_or3_b32 v48, v53, v50, v48
.LBB6_4836:                             ;   in Loop: Header=BB6_3887 Depth=4
	s_or_b32 exec_lo, exec_lo, s73
	v_max_f32_e32 v48, v48, v48
	v_max_f32_e32 v37, v37, v37
	s_mov_b32 s16, 0
	v_max_f32_e32 v37, v37, v48
.LBB6_4837:                             ;   in Loop: Header=BB6_3887 Depth=4
	s_and_b32 vcc_lo, exec_lo, s16
	s_cbranch_vccz .LBB6_4851
; %bb.4838:                             ;   in Loop: Header=BB6_3887 Depth=4
	v_cmp_gt_i16_sdwa s73, v34, v61 src0_sel:BYTE_0 src1_sel:DWORD
	s_mov_b32 s16, 0
	s_and_saveexec_b32 s74, s73
	s_xor_b32 s73, exec_lo, s74
	s_cbranch_execz .LBB6_5249
; %bb.4839:                             ;   in Loop: Header=BB6_3887 Depth=4
	v_cmp_eq_u16_sdwa s75, v34, v62 src0_sel:BYTE_0 src1_sel:DWORD
	s_mov_b32 s16, -1
	s_and_saveexec_b32 s74, s75
; %bb.4840:                             ;   in Loop: Header=BB6_3887 Depth=4
	s_xor_b32 s16, exec_lo, -1
; %bb.4841:                             ;   in Loop: Header=BB6_3887 Depth=4
	s_or_b32 exec_lo, exec_lo, s74
	s_and_b32 s16, s16, exec_lo
	s_or_saveexec_b32 s73, s73
	v_mov_b32_e32 v37, 0x7f800001
	s_xor_b32 exec_lo, exec_lo, s73
	s_cbranch_execnz .LBB6_5250
.LBB6_4842:                             ;   in Loop: Header=BB6_3887 Depth=4
	s_or_b32 exec_lo, exec_lo, s73
	s_and_saveexec_b32 s73, s16
	s_cbranch_execz .LBB6_4844
.LBB6_4843:                             ;   in Loop: Header=BB6_3887 Depth=4
	v_and_b32_e32 v37, 7, v34
	v_lshrrev_b16 v50, 3, v34
	v_ffbh_u32_e32 v48, v37
	v_and_b32_e32 v50, 15, v50
	v_min_u32_e32 v48, 32, v48
	v_cmp_eq_u32_e32 vcc_lo, 0, v50
	v_subrev_nc_u32_e32 v53, 28, v48
	v_sub_nc_u32_e32 v48, 29, v48
	v_lshlrev_b32_e32 v53, v53, v34
	v_lshlrev_b32_e32 v34, 24, v34
	v_cndmask_b32_e32 v48, v50, v48, vcc_lo
	v_and_b32_e32 v53, 7, v53
	v_and_b32_e32 v34, 0x80000000, v34
	v_lshl_add_u32 v48, v48, 23, 0x3b800000
	v_cndmask_b32_e32 v37, v37, v53, vcc_lo
	v_lshlrev_b32_e32 v37, 20, v37
	v_or3_b32 v37, v34, v48, v37
.LBB6_4844:                             ;   in Loop: Header=BB6_3887 Depth=4
	s_or_b32 exec_lo, exec_lo, s73
	s_waitcnt vmcnt(5) lgkmcnt(5)
	v_cmp_gt_i16_sdwa s73, v33, v61 src0_sel:BYTE_0 src1_sel:DWORD
	s_mov_b32 s16, 0
	s_and_saveexec_b32 s74, s73
	s_xor_b32 s73, exec_lo, s74
	s_cbranch_execz .LBB6_5251
; %bb.4845:                             ;   in Loop: Header=BB6_3887 Depth=4
	v_cmp_eq_u16_sdwa s75, v33, v62 src0_sel:BYTE_0 src1_sel:DWORD
	s_mov_b32 s16, -1
	s_and_saveexec_b32 s74, s75
; %bb.4846:                             ;   in Loop: Header=BB6_3887 Depth=4
	s_xor_b32 s16, exec_lo, -1
; %bb.4847:                             ;   in Loop: Header=BB6_3887 Depth=4
	s_or_b32 exec_lo, exec_lo, s74
	s_and_b32 s16, s16, exec_lo
	s_or_saveexec_b32 s73, s73
	v_mov_b32_e32 v34, 0x7f800001
	s_xor_b32 exec_lo, exec_lo, s73
	s_cbranch_execnz .LBB6_5252
.LBB6_4848:                             ;   in Loop: Header=BB6_3887 Depth=4
	s_or_b32 exec_lo, exec_lo, s73
	s_and_saveexec_b32 s73, s16
	s_cbranch_execz .LBB6_4850
.LBB6_4849:                             ;   in Loop: Header=BB6_3887 Depth=4
	v_and_b32_e32 v34, 7, v33
	v_lshrrev_b16 v50, 3, v33
	v_ffbh_u32_e32 v48, v34
	v_and_b32_e32 v50, 15, v50
	v_min_u32_e32 v48, 32, v48
	v_cmp_eq_u32_e32 vcc_lo, 0, v50
	v_subrev_nc_u32_e32 v53, 28, v48
	v_sub_nc_u32_e32 v48, 29, v48
	v_lshlrev_b32_e32 v53, v53, v33
	v_lshlrev_b32_e32 v33, 24, v33
	v_cndmask_b32_e32 v48, v50, v48, vcc_lo
	v_and_b32_e32 v53, 7, v53
	v_and_b32_e32 v33, 0x80000000, v33
	v_lshl_add_u32 v48, v48, 23, 0x3b800000
	v_cndmask_b32_e32 v34, v34, v53, vcc_lo
	v_lshlrev_b32_e32 v34, 20, v34
	v_or3_b32 v34, v33, v48, v34
.LBB6_4850:                             ;   in Loop: Header=BB6_3887 Depth=4
	s_or_b32 exec_lo, exec_lo, s73
	v_max_f32_e32 v33, v34, v34
	v_max_f32_e32 v34, v37, v37
	v_min_f32_e32 v37, v34, v33
.LBB6_4851:                             ;   in Loop: Header=BB6_3887 Depth=4
	s_waitcnt vmcnt(5) lgkmcnt(5)
	v_and_b32_e32 v33, 0x7f800000, v37
	v_cmp_ne_u32_e32 vcc_lo, 0x7f800000, v33
	v_mov_b32_e32 v33, 0x80
	s_and_saveexec_b32 s73, vcc_lo
	s_cbranch_execz .LBB6_4859
; %bb.4852:                             ;   in Loop: Header=BB6_3887 Depth=4
	v_mov_b32_e32 v33, 0
	s_mov_b32 s74, exec_lo
	v_cmpx_ne_u32_e32 0, v37
	s_cbranch_execz .LBB6_4858
; %bb.4853:                             ;   in Loop: Header=BB6_3887 Depth=4
	v_bfe_u32 v34, v37, 23, 8
	v_and_b32_e32 v33, 0x7fffff, v37
	v_cmp_gt_u32_e64 s16, 0x79, v34
	v_sub_nc_u32_e32 v48, 0x78, v34
	v_cmp_eq_u32_e32 vcc_lo, 0, v34
	v_or_b32_e32 v50, 0x800000, v33
	v_cndmask_b32_e64 v48, 0, v48, s16
	v_cndmask_b32_e32 v33, v50, v33, vcc_lo
	v_cndmask_b32_e64 v48, v48, 0x77, vcc_lo
	v_lshl_add_u32 v50, 0x100000, v48, -1
	v_lshlrev_b32_e64 v53, v48, 0x80000
	v_and_b32_e32 v50, v50, v33
	v_cmp_eq_u32_e64 s16, v50, v53
	v_lshrrev_b32_e32 v50, v48, v33
	v_add_nc_u32_e32 v33, 0xffffff89, v34
	v_lshrrev_b32_e32 v34, 23, v50
	v_cndmask_b32_e64 v33, v33, 0xffffff8a, vcc_lo
	v_xor_b32_e32 v34, 1, v34
	v_add_nc_u32_e32 v33, v48, v33
	v_bfe_u32 v48, v50, 20, 1
	v_add_nc_u32_e32 v48, -1, v48
	v_cndmask_b32_e64 v48, 0, v48, s16
	s_mov_b32 s16, exec_lo
	v_add_nc_u32_e32 v48, v48, v50
	v_and_b32_e32 v48, 0xfffff, v48
	v_add_nc_u32_e32 v50, v48, v50
                                        ; implicit-def: $vgpr48
	v_cmpx_ne_u32_e64 v33, v34
	s_xor_b32 s16, exec_lo, s16
; %bb.4854:                             ;   in Loop: Header=BB6_3887 Depth=4
	v_cmp_lt_u32_e32 vcc_lo, 0xffffff, v50
	v_sub_nc_u32_e32 v33, v33, v34
	v_cndmask_b32_e64 v34, 0, 1, vcc_lo
	v_add_co_ci_u32_e64 v48, null, 0, v33, vcc_lo
	v_lshrrev_b32_e32 v50, v34, v50
; %bb.4855:                             ;   in Loop: Header=BB6_3887 Depth=4
	s_andn2_saveexec_b32 s16, s16
; %bb.4856:                             ;   in Loop: Header=BB6_3887 Depth=4
	v_bfe_u32 v48, v50, 23, 1
; %bb.4857:                             ;   in Loop: Header=BB6_3887 Depth=4
	s_or_b32 exec_lo, exec_lo, s16
	v_lshrrev_b32_e32 v33, 20, v50
	v_cmp_gt_i32_e32 vcc_lo, 16, v48
	v_min_i32_e32 v34, 15, v48
	v_and_b32_sdwa v37, v37, v62 dst_sel:DWORD dst_unused:UNUSED_PAD src0_sel:BYTE_3 src1_sel:DWORD
	v_cndmask_b32_e32 v33, 7, v33, vcc_lo
	v_lshlrev_b32_e32 v34, 3, v34
	v_and_b32_e32 v50, 7, v33
	v_or_b32_e32 v33, v48, v33
	v_or3_b32 v34, v34, v37, v50
	v_cmp_ne_u32_e32 vcc_lo, 0, v33
	v_cndmask_b32_e32 v33, 0, v34, vcc_lo
.LBB6_4858:                             ;   in Loop: Header=BB6_3887 Depth=4
	s_or_b32 exec_lo, exec_lo, s74
.LBB6_4859:                             ;   in Loop: Header=BB6_3887 Depth=4
	s_or_b32 exec_lo, exec_lo, s73
	v_cmp_gt_i16_sdwa s73, v30, v61 src0_sel:BYTE_0 src1_sel:DWORD
	s_andn2_b32 vcc_lo, exec_lo, s63
	s_mov_b32 s16, -1
                                        ; implicit-def: $vgpr34
	s_cbranch_vccnz .LBB6_4873
; %bb.4860:                             ;   in Loop: Header=BB6_3887 Depth=4
	s_mov_b32 s16, 0
	s_and_saveexec_b32 s74, s73
	s_xor_b32 s73, exec_lo, s74
	s_cbranch_execz .LBB6_5253
; %bb.4861:                             ;   in Loop: Header=BB6_3887 Depth=4
	v_cmp_eq_u16_sdwa s75, v30, v62 src0_sel:BYTE_0 src1_sel:DWORD
	s_mov_b32 s16, -1
	s_and_saveexec_b32 s74, s75
; %bb.4862:                             ;   in Loop: Header=BB6_3887 Depth=4
	s_xor_b32 s16, exec_lo, -1
; %bb.4863:                             ;   in Loop: Header=BB6_3887 Depth=4
	s_or_b32 exec_lo, exec_lo, s74
	s_and_b32 s16, s16, exec_lo
	s_or_saveexec_b32 s73, s73
	v_mov_b32_e32 v34, 0x7f800001
	s_xor_b32 exec_lo, exec_lo, s73
	s_cbranch_execnz .LBB6_5254
.LBB6_4864:                             ;   in Loop: Header=BB6_3887 Depth=4
	s_or_b32 exec_lo, exec_lo, s73
	s_and_saveexec_b32 s73, s16
	s_cbranch_execz .LBB6_4866
.LBB6_4865:                             ;   in Loop: Header=BB6_3887 Depth=4
	v_and_b32_e32 v34, 7, v30
	v_lshrrev_b16 v48, 3, v30
	v_lshlrev_b32_e32 v53, 24, v30
	v_ffbh_u32_e32 v37, v34
	v_and_b32_e32 v48, 15, v48
	v_min_u32_e32 v37, 32, v37
	v_cmp_eq_u32_e32 vcc_lo, 0, v48
	v_subrev_nc_u32_e32 v50, 28, v37
	v_sub_nc_u32_e32 v37, 29, v37
	v_lshlrev_b32_e32 v50, v50, v30
	v_cndmask_b32_e32 v37, v48, v37, vcc_lo
	v_and_b32_e32 v48, 0x80000000, v53
	v_and_b32_e32 v50, 7, v50
	v_lshl_add_u32 v37, v37, 23, 0x3b800000
	v_cndmask_b32_e32 v34, v34, v50, vcc_lo
	v_lshlrev_b32_e32 v34, 20, v34
	v_or3_b32 v34, v48, v37, v34
.LBB6_4866:                             ;   in Loop: Header=BB6_3887 Depth=4
	s_or_b32 exec_lo, exec_lo, s73
	s_waitcnt vmcnt(4) lgkmcnt(4)
	v_cmp_gt_i16_sdwa s73, v29, v61 src0_sel:BYTE_0 src1_sel:DWORD
	s_mov_b32 s16, 0
	s_and_saveexec_b32 s74, s73
	s_xor_b32 s73, exec_lo, s74
	s_cbranch_execz .LBB6_5255
; %bb.4867:                             ;   in Loop: Header=BB6_3887 Depth=4
	v_cmp_eq_u16_sdwa s75, v29, v62 src0_sel:BYTE_0 src1_sel:DWORD
	s_mov_b32 s16, -1
	s_and_saveexec_b32 s74, s75
; %bb.4868:                             ;   in Loop: Header=BB6_3887 Depth=4
	s_xor_b32 s16, exec_lo, -1
; %bb.4869:                             ;   in Loop: Header=BB6_3887 Depth=4
	s_or_b32 exec_lo, exec_lo, s74
	s_and_b32 s16, s16, exec_lo
	s_or_saveexec_b32 s73, s73
	v_mov_b32_e32 v37, 0x7f800001
	s_xor_b32 exec_lo, exec_lo, s73
	s_cbranch_execnz .LBB6_5256
.LBB6_4870:                             ;   in Loop: Header=BB6_3887 Depth=4
	s_or_b32 exec_lo, exec_lo, s73
	s_and_saveexec_b32 s73, s16
	s_cbranch_execz .LBB6_4872
.LBB6_4871:                             ;   in Loop: Header=BB6_3887 Depth=4
	v_and_b32_e32 v37, 7, v29
	v_lshrrev_b16 v50, 3, v29
	v_lshlrev_b32_e32 v55, 24, v29
	v_ffbh_u32_e32 v48, v37
	v_and_b32_e32 v50, 15, v50
	v_min_u32_e32 v48, 32, v48
	v_cmp_eq_u32_e32 vcc_lo, 0, v50
	v_subrev_nc_u32_e32 v53, 28, v48
	v_sub_nc_u32_e32 v48, 29, v48
	v_lshlrev_b32_e32 v53, v53, v29
	v_cndmask_b32_e32 v48, v50, v48, vcc_lo
	v_and_b32_e32 v50, 0x80000000, v55
	v_and_b32_e32 v53, 7, v53
	v_lshl_add_u32 v48, v48, 23, 0x3b800000
	v_cndmask_b32_e32 v37, v37, v53, vcc_lo
	v_lshlrev_b32_e32 v37, 20, v37
	v_or3_b32 v37, v50, v48, v37
.LBB6_4872:                             ;   in Loop: Header=BB6_3887 Depth=4
	s_or_b32 exec_lo, exec_lo, s73
	v_max_f32_e32 v37, v37, v37
	v_max_f32_e32 v34, v34, v34
	s_mov_b32 s16, 0
	v_max_f32_e32 v34, v34, v37
.LBB6_4873:                             ;   in Loop: Header=BB6_3887 Depth=4
	s_and_b32 vcc_lo, exec_lo, s16
	s_cbranch_vccz .LBB6_4887
; %bb.4874:                             ;   in Loop: Header=BB6_3887 Depth=4
	v_cmp_gt_i16_sdwa s73, v30, v61 src0_sel:BYTE_0 src1_sel:DWORD
	s_mov_b32 s16, 0
	s_and_saveexec_b32 s74, s73
	s_xor_b32 s73, exec_lo, s74
	s_cbranch_execz .LBB6_5257
; %bb.4875:                             ;   in Loop: Header=BB6_3887 Depth=4
	v_cmp_eq_u16_sdwa s75, v30, v62 src0_sel:BYTE_0 src1_sel:DWORD
	s_mov_b32 s16, -1
	s_and_saveexec_b32 s74, s75
; %bb.4876:                             ;   in Loop: Header=BB6_3887 Depth=4
	s_xor_b32 s16, exec_lo, -1
; %bb.4877:                             ;   in Loop: Header=BB6_3887 Depth=4
	s_or_b32 exec_lo, exec_lo, s74
	s_and_b32 s16, s16, exec_lo
	s_or_saveexec_b32 s73, s73
	v_mov_b32_e32 v34, 0x7f800001
	s_xor_b32 exec_lo, exec_lo, s73
	s_cbranch_execnz .LBB6_5258
.LBB6_4878:                             ;   in Loop: Header=BB6_3887 Depth=4
	s_or_b32 exec_lo, exec_lo, s73
	s_and_saveexec_b32 s73, s16
	s_cbranch_execz .LBB6_4880
.LBB6_4879:                             ;   in Loop: Header=BB6_3887 Depth=4
	v_and_b32_e32 v34, 7, v30
	v_lshrrev_b16 v48, 3, v30
	v_ffbh_u32_e32 v37, v34
	v_and_b32_e32 v48, 15, v48
	v_min_u32_e32 v37, 32, v37
	v_cmp_eq_u32_e32 vcc_lo, 0, v48
	v_subrev_nc_u32_e32 v50, 28, v37
	v_sub_nc_u32_e32 v37, 29, v37
	v_lshlrev_b32_e32 v50, v50, v30
	v_lshlrev_b32_e32 v30, 24, v30
	v_cndmask_b32_e32 v37, v48, v37, vcc_lo
	v_and_b32_e32 v50, 7, v50
	v_and_b32_e32 v30, 0x80000000, v30
	v_lshl_add_u32 v37, v37, 23, 0x3b800000
	v_cndmask_b32_e32 v34, v34, v50, vcc_lo
	v_lshlrev_b32_e32 v34, 20, v34
	v_or3_b32 v34, v30, v37, v34
.LBB6_4880:                             ;   in Loop: Header=BB6_3887 Depth=4
	s_or_b32 exec_lo, exec_lo, s73
	s_waitcnt vmcnt(4) lgkmcnt(4)
	v_cmp_gt_i16_sdwa s73, v29, v61 src0_sel:BYTE_0 src1_sel:DWORD
	s_mov_b32 s16, 0
	s_and_saveexec_b32 s74, s73
	s_xor_b32 s73, exec_lo, s74
	s_cbranch_execz .LBB6_5259
; %bb.4881:                             ;   in Loop: Header=BB6_3887 Depth=4
	v_cmp_eq_u16_sdwa s75, v29, v62 src0_sel:BYTE_0 src1_sel:DWORD
	s_mov_b32 s16, -1
	s_and_saveexec_b32 s74, s75
; %bb.4882:                             ;   in Loop: Header=BB6_3887 Depth=4
	s_xor_b32 s16, exec_lo, -1
; %bb.4883:                             ;   in Loop: Header=BB6_3887 Depth=4
	s_or_b32 exec_lo, exec_lo, s74
	s_and_b32 s16, s16, exec_lo
	s_or_saveexec_b32 s73, s73
	v_mov_b32_e32 v30, 0x7f800001
	s_xor_b32 exec_lo, exec_lo, s73
	s_cbranch_execnz .LBB6_5260
.LBB6_4884:                             ;   in Loop: Header=BB6_3887 Depth=4
	s_or_b32 exec_lo, exec_lo, s73
	s_and_saveexec_b32 s73, s16
	s_cbranch_execz .LBB6_4886
.LBB6_4885:                             ;   in Loop: Header=BB6_3887 Depth=4
	v_and_b32_e32 v30, 7, v29
	v_lshrrev_b16 v48, 3, v29
	v_ffbh_u32_e32 v37, v30
	v_and_b32_e32 v48, 15, v48
	v_min_u32_e32 v37, 32, v37
	v_cmp_eq_u32_e32 vcc_lo, 0, v48
	v_subrev_nc_u32_e32 v50, 28, v37
	v_sub_nc_u32_e32 v37, 29, v37
	v_lshlrev_b32_e32 v50, v50, v29
	v_lshlrev_b32_e32 v29, 24, v29
	v_cndmask_b32_e32 v37, v48, v37, vcc_lo
	v_and_b32_e32 v50, 7, v50
	v_and_b32_e32 v29, 0x80000000, v29
	v_lshl_add_u32 v37, v37, 23, 0x3b800000
	v_cndmask_b32_e32 v30, v30, v50, vcc_lo
	v_lshlrev_b32_e32 v30, 20, v30
	v_or3_b32 v30, v29, v37, v30
.LBB6_4886:                             ;   in Loop: Header=BB6_3887 Depth=4
	s_or_b32 exec_lo, exec_lo, s73
	v_max_f32_e32 v29, v30, v30
	v_max_f32_e32 v30, v34, v34
	v_min_f32_e32 v34, v30, v29
.LBB6_4887:                             ;   in Loop: Header=BB6_3887 Depth=4
	s_waitcnt vmcnt(4) lgkmcnt(4)
	v_and_b32_e32 v29, 0x7f800000, v34
	v_cmp_ne_u32_e32 vcc_lo, 0x7f800000, v29
	v_mov_b32_e32 v29, 0x80
	s_and_saveexec_b32 s73, vcc_lo
	s_cbranch_execz .LBB6_4895
; %bb.4888:                             ;   in Loop: Header=BB6_3887 Depth=4
	v_mov_b32_e32 v29, 0
	s_mov_b32 s74, exec_lo
	v_cmpx_ne_u32_e32 0, v34
	s_cbranch_execz .LBB6_4894
; %bb.4889:                             ;   in Loop: Header=BB6_3887 Depth=4
	v_bfe_u32 v30, v34, 23, 8
	v_and_b32_e32 v29, 0x7fffff, v34
	v_cmp_gt_u32_e64 s16, 0x79, v30
	v_sub_nc_u32_e32 v37, 0x78, v30
	v_cmp_eq_u32_e32 vcc_lo, 0, v30
	v_or_b32_e32 v48, 0x800000, v29
	v_cndmask_b32_e64 v37, 0, v37, s16
	v_cndmask_b32_e32 v29, v48, v29, vcc_lo
	v_cndmask_b32_e64 v37, v37, 0x77, vcc_lo
	v_lshl_add_u32 v48, 0x100000, v37, -1
	v_lshlrev_b32_e64 v50, v37, 0x80000
	v_and_b32_e32 v48, v48, v29
	v_cmp_eq_u32_e64 s16, v48, v50
	v_lshrrev_b32_e32 v48, v37, v29
	v_add_nc_u32_e32 v29, 0xffffff89, v30
	v_lshrrev_b32_e32 v30, 23, v48
	v_cndmask_b32_e64 v29, v29, 0xffffff8a, vcc_lo
	v_xor_b32_e32 v30, 1, v30
	v_add_nc_u32_e32 v29, v37, v29
	v_bfe_u32 v37, v48, 20, 1
	v_add_nc_u32_e32 v37, -1, v37
	v_cndmask_b32_e64 v37, 0, v37, s16
	s_mov_b32 s16, exec_lo
	v_add_nc_u32_e32 v37, v37, v48
	v_and_b32_e32 v37, 0xfffff, v37
	v_add_nc_u32_e32 v48, v37, v48
                                        ; implicit-def: $vgpr37
	v_cmpx_ne_u32_e64 v29, v30
	s_xor_b32 s16, exec_lo, s16
; %bb.4890:                             ;   in Loop: Header=BB6_3887 Depth=4
	v_cmp_lt_u32_e32 vcc_lo, 0xffffff, v48
	v_sub_nc_u32_e32 v29, v29, v30
	v_cndmask_b32_e64 v30, 0, 1, vcc_lo
	v_add_co_ci_u32_e64 v37, null, 0, v29, vcc_lo
	v_lshrrev_b32_e32 v48, v30, v48
; %bb.4891:                             ;   in Loop: Header=BB6_3887 Depth=4
	s_andn2_saveexec_b32 s16, s16
; %bb.4892:                             ;   in Loop: Header=BB6_3887 Depth=4
	v_bfe_u32 v37, v48, 23, 1
; %bb.4893:                             ;   in Loop: Header=BB6_3887 Depth=4
	s_or_b32 exec_lo, exec_lo, s16
	v_lshrrev_b32_e32 v29, 20, v48
	v_cmp_gt_i32_e32 vcc_lo, 16, v37
	v_min_i32_e32 v30, 15, v37
	v_and_b32_sdwa v34, v34, v62 dst_sel:DWORD dst_unused:UNUSED_PAD src0_sel:BYTE_3 src1_sel:DWORD
	v_cndmask_b32_e32 v29, 7, v29, vcc_lo
	v_lshlrev_b32_e32 v30, 3, v30
	v_and_b32_e32 v48, 7, v29
	v_or_b32_e32 v29, v37, v29
	v_or3_b32 v30, v30, v34, v48
	v_cmp_ne_u32_e32 vcc_lo, 0, v29
	v_cndmask_b32_e32 v29, 0, v30, vcc_lo
.LBB6_4894:                             ;   in Loop: Header=BB6_3887 Depth=4
	s_or_b32 exec_lo, exec_lo, s74
.LBB6_4895:                             ;   in Loop: Header=BB6_3887 Depth=4
	s_or_b32 exec_lo, exec_lo, s73
	v_cmp_gt_i16_sdwa s73, v27, v61 src0_sel:BYTE_0 src1_sel:DWORD
	s_andn2_b32 vcc_lo, exec_lo, s63
	s_mov_b32 s16, -1
                                        ; implicit-def: $vgpr30
	s_cbranch_vccnz .LBB6_4909
; %bb.4896:                             ;   in Loop: Header=BB6_3887 Depth=4
	s_mov_b32 s16, 0
	s_and_saveexec_b32 s74, s73
	s_xor_b32 s73, exec_lo, s74
	s_cbranch_execz .LBB6_5261
; %bb.4897:                             ;   in Loop: Header=BB6_3887 Depth=4
	v_cmp_eq_u16_sdwa s75, v27, v62 src0_sel:BYTE_0 src1_sel:DWORD
	s_mov_b32 s16, -1
	s_and_saveexec_b32 s74, s75
; %bb.4898:                             ;   in Loop: Header=BB6_3887 Depth=4
	s_xor_b32 s16, exec_lo, -1
; %bb.4899:                             ;   in Loop: Header=BB6_3887 Depth=4
	s_or_b32 exec_lo, exec_lo, s74
	s_and_b32 s16, s16, exec_lo
	s_or_saveexec_b32 s73, s73
	v_mov_b32_e32 v30, 0x7f800001
	s_xor_b32 exec_lo, exec_lo, s73
	s_cbranch_execnz .LBB6_5262
.LBB6_4900:                             ;   in Loop: Header=BB6_3887 Depth=4
	s_or_b32 exec_lo, exec_lo, s73
	s_and_saveexec_b32 s73, s16
	s_cbranch_execz .LBB6_4902
.LBB6_4901:                             ;   in Loop: Header=BB6_3887 Depth=4
	v_and_b32_e32 v30, 7, v27
	v_lshrrev_b16 v37, 3, v27
	v_lshlrev_b32_e32 v50, 24, v27
	v_ffbh_u32_e32 v34, v30
	v_and_b32_e32 v37, 15, v37
	v_min_u32_e32 v34, 32, v34
	v_cmp_eq_u32_e32 vcc_lo, 0, v37
	v_subrev_nc_u32_e32 v48, 28, v34
	v_sub_nc_u32_e32 v34, 29, v34
	v_lshlrev_b32_e32 v48, v48, v27
	v_cndmask_b32_e32 v34, v37, v34, vcc_lo
	v_and_b32_e32 v37, 0x80000000, v50
	v_and_b32_e32 v48, 7, v48
	v_lshl_add_u32 v34, v34, 23, 0x3b800000
	v_cndmask_b32_e32 v30, v30, v48, vcc_lo
	v_lshlrev_b32_e32 v30, 20, v30
	v_or3_b32 v30, v37, v34, v30
.LBB6_4902:                             ;   in Loop: Header=BB6_3887 Depth=4
	s_or_b32 exec_lo, exec_lo, s73
	s_waitcnt vmcnt(3) lgkmcnt(3)
	v_cmp_gt_i16_sdwa s73, v26, v61 src0_sel:BYTE_0 src1_sel:DWORD
	s_mov_b32 s16, 0
	s_and_saveexec_b32 s74, s73
	s_xor_b32 s73, exec_lo, s74
	s_cbranch_execz .LBB6_5263
; %bb.4903:                             ;   in Loop: Header=BB6_3887 Depth=4
	v_cmp_eq_u16_sdwa s75, v26, v62 src0_sel:BYTE_0 src1_sel:DWORD
	s_mov_b32 s16, -1
	s_and_saveexec_b32 s74, s75
; %bb.4904:                             ;   in Loop: Header=BB6_3887 Depth=4
	s_xor_b32 s16, exec_lo, -1
; %bb.4905:                             ;   in Loop: Header=BB6_3887 Depth=4
	s_or_b32 exec_lo, exec_lo, s74
	s_and_b32 s16, s16, exec_lo
	s_or_saveexec_b32 s73, s73
	v_mov_b32_e32 v34, 0x7f800001
	s_xor_b32 exec_lo, exec_lo, s73
	s_cbranch_execnz .LBB6_5264
.LBB6_4906:                             ;   in Loop: Header=BB6_3887 Depth=4
	s_or_b32 exec_lo, exec_lo, s73
	s_and_saveexec_b32 s73, s16
	s_cbranch_execz .LBB6_4908
.LBB6_4907:                             ;   in Loop: Header=BB6_3887 Depth=4
	v_and_b32_e32 v34, 7, v26
	v_lshrrev_b16 v48, 3, v26
	v_lshlrev_b32_e32 v53, 24, v26
	v_ffbh_u32_e32 v37, v34
	v_and_b32_e32 v48, 15, v48
	v_min_u32_e32 v37, 32, v37
	v_cmp_eq_u32_e32 vcc_lo, 0, v48
	v_subrev_nc_u32_e32 v50, 28, v37
	v_sub_nc_u32_e32 v37, 29, v37
	v_lshlrev_b32_e32 v50, v50, v26
	v_cndmask_b32_e32 v37, v48, v37, vcc_lo
	v_and_b32_e32 v48, 0x80000000, v53
	v_and_b32_e32 v50, 7, v50
	v_lshl_add_u32 v37, v37, 23, 0x3b800000
	v_cndmask_b32_e32 v34, v34, v50, vcc_lo
	v_lshlrev_b32_e32 v34, 20, v34
	v_or3_b32 v34, v48, v37, v34
.LBB6_4908:                             ;   in Loop: Header=BB6_3887 Depth=4
	s_or_b32 exec_lo, exec_lo, s73
	v_max_f32_e32 v34, v34, v34
	v_max_f32_e32 v30, v30, v30
	s_mov_b32 s16, 0
	v_max_f32_e32 v30, v30, v34
.LBB6_4909:                             ;   in Loop: Header=BB6_3887 Depth=4
	s_and_b32 vcc_lo, exec_lo, s16
	s_cbranch_vccz .LBB6_4923
; %bb.4910:                             ;   in Loop: Header=BB6_3887 Depth=4
	v_cmp_gt_i16_sdwa s73, v27, v61 src0_sel:BYTE_0 src1_sel:DWORD
	s_mov_b32 s16, 0
	s_and_saveexec_b32 s74, s73
	s_xor_b32 s73, exec_lo, s74
	s_cbranch_execz .LBB6_5265
; %bb.4911:                             ;   in Loop: Header=BB6_3887 Depth=4
	v_cmp_eq_u16_sdwa s75, v27, v62 src0_sel:BYTE_0 src1_sel:DWORD
	s_mov_b32 s16, -1
	s_and_saveexec_b32 s74, s75
; %bb.4912:                             ;   in Loop: Header=BB6_3887 Depth=4
	s_xor_b32 s16, exec_lo, -1
; %bb.4913:                             ;   in Loop: Header=BB6_3887 Depth=4
	s_or_b32 exec_lo, exec_lo, s74
	s_and_b32 s16, s16, exec_lo
	s_or_saveexec_b32 s73, s73
	v_mov_b32_e32 v30, 0x7f800001
	s_xor_b32 exec_lo, exec_lo, s73
	s_cbranch_execnz .LBB6_5266
.LBB6_4914:                             ;   in Loop: Header=BB6_3887 Depth=4
	s_or_b32 exec_lo, exec_lo, s73
	s_and_saveexec_b32 s73, s16
	s_cbranch_execz .LBB6_4916
.LBB6_4915:                             ;   in Loop: Header=BB6_3887 Depth=4
	v_and_b32_e32 v30, 7, v27
	v_lshrrev_b16 v37, 3, v27
	v_ffbh_u32_e32 v34, v30
	v_and_b32_e32 v37, 15, v37
	v_min_u32_e32 v34, 32, v34
	v_cmp_eq_u32_e32 vcc_lo, 0, v37
	v_subrev_nc_u32_e32 v48, 28, v34
	v_sub_nc_u32_e32 v34, 29, v34
	v_lshlrev_b32_e32 v48, v48, v27
	v_lshlrev_b32_e32 v27, 24, v27
	v_cndmask_b32_e32 v34, v37, v34, vcc_lo
	v_and_b32_e32 v48, 7, v48
	v_and_b32_e32 v27, 0x80000000, v27
	v_lshl_add_u32 v34, v34, 23, 0x3b800000
	v_cndmask_b32_e32 v30, v30, v48, vcc_lo
	v_lshlrev_b32_e32 v30, 20, v30
	v_or3_b32 v30, v27, v34, v30
.LBB6_4916:                             ;   in Loop: Header=BB6_3887 Depth=4
	s_or_b32 exec_lo, exec_lo, s73
	s_waitcnt vmcnt(3) lgkmcnt(3)
	v_cmp_gt_i16_sdwa s73, v26, v61 src0_sel:BYTE_0 src1_sel:DWORD
	s_mov_b32 s16, 0
	s_and_saveexec_b32 s74, s73
	s_xor_b32 s73, exec_lo, s74
	s_cbranch_execz .LBB6_5267
; %bb.4917:                             ;   in Loop: Header=BB6_3887 Depth=4
	v_cmp_eq_u16_sdwa s75, v26, v62 src0_sel:BYTE_0 src1_sel:DWORD
	s_mov_b32 s16, -1
	s_and_saveexec_b32 s74, s75
; %bb.4918:                             ;   in Loop: Header=BB6_3887 Depth=4
	s_xor_b32 s16, exec_lo, -1
; %bb.4919:                             ;   in Loop: Header=BB6_3887 Depth=4
	s_or_b32 exec_lo, exec_lo, s74
	s_and_b32 s16, s16, exec_lo
	s_or_saveexec_b32 s73, s73
	v_mov_b32_e32 v27, 0x7f800001
	s_xor_b32 exec_lo, exec_lo, s73
	s_cbranch_execnz .LBB6_5268
.LBB6_4920:                             ;   in Loop: Header=BB6_3887 Depth=4
	s_or_b32 exec_lo, exec_lo, s73
	s_and_saveexec_b32 s73, s16
	s_cbranch_execz .LBB6_4922
.LBB6_4921:                             ;   in Loop: Header=BB6_3887 Depth=4
	v_and_b32_e32 v27, 7, v26
	v_lshrrev_b16 v37, 3, v26
	v_ffbh_u32_e32 v34, v27
	v_and_b32_e32 v37, 15, v37
	v_min_u32_e32 v34, 32, v34
	v_cmp_eq_u32_e32 vcc_lo, 0, v37
	v_subrev_nc_u32_e32 v48, 28, v34
	v_sub_nc_u32_e32 v34, 29, v34
	v_lshlrev_b32_e32 v48, v48, v26
	v_lshlrev_b32_e32 v26, 24, v26
	v_cndmask_b32_e32 v34, v37, v34, vcc_lo
	v_and_b32_e32 v48, 7, v48
	v_and_b32_e32 v26, 0x80000000, v26
	v_lshl_add_u32 v34, v34, 23, 0x3b800000
	v_cndmask_b32_e32 v27, v27, v48, vcc_lo
	v_lshlrev_b32_e32 v27, 20, v27
	v_or3_b32 v27, v26, v34, v27
.LBB6_4922:                             ;   in Loop: Header=BB6_3887 Depth=4
	s_or_b32 exec_lo, exec_lo, s73
	v_max_f32_e32 v26, v27, v27
	v_max_f32_e32 v27, v30, v30
	v_min_f32_e32 v30, v27, v26
.LBB6_4923:                             ;   in Loop: Header=BB6_3887 Depth=4
	s_waitcnt vmcnt(3) lgkmcnt(3)
	v_and_b32_e32 v26, 0x7f800000, v30
	v_cmp_ne_u32_e32 vcc_lo, 0x7f800000, v26
	v_mov_b32_e32 v26, 0x80
	s_and_saveexec_b32 s73, vcc_lo
	s_cbranch_execz .LBB6_4931
; %bb.4924:                             ;   in Loop: Header=BB6_3887 Depth=4
	v_mov_b32_e32 v26, 0
	s_mov_b32 s74, exec_lo
	v_cmpx_ne_u32_e32 0, v30
	s_cbranch_execz .LBB6_4930
; %bb.4925:                             ;   in Loop: Header=BB6_3887 Depth=4
	v_bfe_u32 v27, v30, 23, 8
	v_and_b32_e32 v26, 0x7fffff, v30
	v_cmp_gt_u32_e64 s16, 0x79, v27
	v_sub_nc_u32_e32 v34, 0x78, v27
	v_cmp_eq_u32_e32 vcc_lo, 0, v27
	v_or_b32_e32 v37, 0x800000, v26
	v_cndmask_b32_e64 v34, 0, v34, s16
	v_cndmask_b32_e32 v26, v37, v26, vcc_lo
	v_cndmask_b32_e64 v34, v34, 0x77, vcc_lo
	v_lshl_add_u32 v37, 0x100000, v34, -1
	v_lshlrev_b32_e64 v48, v34, 0x80000
	v_and_b32_e32 v37, v37, v26
	v_cmp_eq_u32_e64 s16, v37, v48
	v_lshrrev_b32_e32 v37, v34, v26
	v_add_nc_u32_e32 v26, 0xffffff89, v27
	v_lshrrev_b32_e32 v27, 23, v37
	v_cndmask_b32_e64 v26, v26, 0xffffff8a, vcc_lo
	v_xor_b32_e32 v27, 1, v27
	v_add_nc_u32_e32 v26, v34, v26
	v_bfe_u32 v34, v37, 20, 1
	v_add_nc_u32_e32 v34, -1, v34
	v_cndmask_b32_e64 v34, 0, v34, s16
	s_mov_b32 s16, exec_lo
	v_add_nc_u32_e32 v34, v34, v37
	v_and_b32_e32 v34, 0xfffff, v34
	v_add_nc_u32_e32 v37, v34, v37
                                        ; implicit-def: $vgpr34
	v_cmpx_ne_u32_e64 v26, v27
	s_xor_b32 s16, exec_lo, s16
; %bb.4926:                             ;   in Loop: Header=BB6_3887 Depth=4
	v_cmp_lt_u32_e32 vcc_lo, 0xffffff, v37
	v_sub_nc_u32_e32 v26, v26, v27
	v_cndmask_b32_e64 v27, 0, 1, vcc_lo
	v_add_co_ci_u32_e64 v34, null, 0, v26, vcc_lo
	v_lshrrev_b32_e32 v37, v27, v37
; %bb.4927:                             ;   in Loop: Header=BB6_3887 Depth=4
	s_andn2_saveexec_b32 s16, s16
; %bb.4928:                             ;   in Loop: Header=BB6_3887 Depth=4
	v_bfe_u32 v34, v37, 23, 1
; %bb.4929:                             ;   in Loop: Header=BB6_3887 Depth=4
	s_or_b32 exec_lo, exec_lo, s16
	v_lshrrev_b32_e32 v26, 20, v37
	v_cmp_gt_i32_e32 vcc_lo, 16, v34
	v_min_i32_e32 v27, 15, v34
	v_and_b32_sdwa v30, v30, v62 dst_sel:DWORD dst_unused:UNUSED_PAD src0_sel:BYTE_3 src1_sel:DWORD
	v_cndmask_b32_e32 v26, 7, v26, vcc_lo
	v_lshlrev_b32_e32 v27, 3, v27
	v_and_b32_e32 v37, 7, v26
	v_or_b32_e32 v26, v34, v26
	v_or3_b32 v27, v27, v30, v37
	v_cmp_ne_u32_e32 vcc_lo, 0, v26
	v_cndmask_b32_e32 v26, 0, v27, vcc_lo
.LBB6_4930:                             ;   in Loop: Header=BB6_3887 Depth=4
	s_or_b32 exec_lo, exec_lo, s74
.LBB6_4931:                             ;   in Loop: Header=BB6_3887 Depth=4
	s_or_b32 exec_lo, exec_lo, s73
	v_cmp_gt_i16_sdwa s73, v24, v61 src0_sel:BYTE_0 src1_sel:DWORD
	s_andn2_b32 vcc_lo, exec_lo, s63
	s_mov_b32 s16, -1
                                        ; implicit-def: $vgpr27
	s_cbranch_vccnz .LBB6_4945
; %bb.4932:                             ;   in Loop: Header=BB6_3887 Depth=4
	s_mov_b32 s16, 0
	s_and_saveexec_b32 s74, s73
	s_xor_b32 s73, exec_lo, s74
	s_cbranch_execz .LBB6_5269
; %bb.4933:                             ;   in Loop: Header=BB6_3887 Depth=4
	v_cmp_eq_u16_sdwa s75, v24, v62 src0_sel:BYTE_0 src1_sel:DWORD
	s_mov_b32 s16, -1
	s_and_saveexec_b32 s74, s75
; %bb.4934:                             ;   in Loop: Header=BB6_3887 Depth=4
	s_xor_b32 s16, exec_lo, -1
; %bb.4935:                             ;   in Loop: Header=BB6_3887 Depth=4
	s_or_b32 exec_lo, exec_lo, s74
	s_and_b32 s16, s16, exec_lo
	s_or_saveexec_b32 s73, s73
	v_mov_b32_e32 v27, 0x7f800001
	s_xor_b32 exec_lo, exec_lo, s73
	s_cbranch_execnz .LBB6_5270
.LBB6_4936:                             ;   in Loop: Header=BB6_3887 Depth=4
	s_or_b32 exec_lo, exec_lo, s73
	s_and_saveexec_b32 s73, s16
	s_cbranch_execz .LBB6_4938
.LBB6_4937:                             ;   in Loop: Header=BB6_3887 Depth=4
	v_and_b32_e32 v27, 7, v24
	v_lshrrev_b16 v34, 3, v24
	v_lshlrev_b32_e32 v48, 24, v24
	v_ffbh_u32_e32 v30, v27
	v_and_b32_e32 v34, 15, v34
	v_min_u32_e32 v30, 32, v30
	v_cmp_eq_u32_e32 vcc_lo, 0, v34
	v_subrev_nc_u32_e32 v37, 28, v30
	v_sub_nc_u32_e32 v30, 29, v30
	v_lshlrev_b32_e32 v37, v37, v24
	v_cndmask_b32_e32 v30, v34, v30, vcc_lo
	v_and_b32_e32 v34, 0x80000000, v48
	v_and_b32_e32 v37, 7, v37
	v_lshl_add_u32 v30, v30, 23, 0x3b800000
	v_cndmask_b32_e32 v27, v27, v37, vcc_lo
	v_lshlrev_b32_e32 v27, 20, v27
	v_or3_b32 v27, v34, v30, v27
.LBB6_4938:                             ;   in Loop: Header=BB6_3887 Depth=4
	s_or_b32 exec_lo, exec_lo, s73
	s_waitcnt vmcnt(2) lgkmcnt(2)
	v_cmp_gt_i16_sdwa s73, v23, v61 src0_sel:BYTE_0 src1_sel:DWORD
	s_mov_b32 s16, 0
	s_and_saveexec_b32 s74, s73
	s_xor_b32 s73, exec_lo, s74
	s_cbranch_execz .LBB6_5271
; %bb.4939:                             ;   in Loop: Header=BB6_3887 Depth=4
	v_cmp_eq_u16_sdwa s75, v23, v62 src0_sel:BYTE_0 src1_sel:DWORD
	s_mov_b32 s16, -1
	s_and_saveexec_b32 s74, s75
; %bb.4940:                             ;   in Loop: Header=BB6_3887 Depth=4
	s_xor_b32 s16, exec_lo, -1
; %bb.4941:                             ;   in Loop: Header=BB6_3887 Depth=4
	s_or_b32 exec_lo, exec_lo, s74
	s_and_b32 s16, s16, exec_lo
	s_or_saveexec_b32 s73, s73
	v_mov_b32_e32 v30, 0x7f800001
	s_xor_b32 exec_lo, exec_lo, s73
	s_cbranch_execnz .LBB6_5272
.LBB6_4942:                             ;   in Loop: Header=BB6_3887 Depth=4
	s_or_b32 exec_lo, exec_lo, s73
	s_and_saveexec_b32 s73, s16
	s_cbranch_execz .LBB6_4944
.LBB6_4943:                             ;   in Loop: Header=BB6_3887 Depth=4
	v_and_b32_e32 v30, 7, v23
	v_lshrrev_b16 v37, 3, v23
	v_lshlrev_b32_e32 v50, 24, v23
	v_ffbh_u32_e32 v34, v30
	v_and_b32_e32 v37, 15, v37
	v_min_u32_e32 v34, 32, v34
	v_cmp_eq_u32_e32 vcc_lo, 0, v37
	v_subrev_nc_u32_e32 v48, 28, v34
	v_sub_nc_u32_e32 v34, 29, v34
	v_lshlrev_b32_e32 v48, v48, v23
	v_cndmask_b32_e32 v34, v37, v34, vcc_lo
	v_and_b32_e32 v37, 0x80000000, v50
	v_and_b32_e32 v48, 7, v48
	v_lshl_add_u32 v34, v34, 23, 0x3b800000
	v_cndmask_b32_e32 v30, v30, v48, vcc_lo
	v_lshlrev_b32_e32 v30, 20, v30
	v_or3_b32 v30, v37, v34, v30
.LBB6_4944:                             ;   in Loop: Header=BB6_3887 Depth=4
	s_or_b32 exec_lo, exec_lo, s73
	v_max_f32_e32 v30, v30, v30
	v_max_f32_e32 v27, v27, v27
	s_mov_b32 s16, 0
	v_max_f32_e32 v27, v27, v30
.LBB6_4945:                             ;   in Loop: Header=BB6_3887 Depth=4
	s_and_b32 vcc_lo, exec_lo, s16
	s_cbranch_vccz .LBB6_4959
; %bb.4946:                             ;   in Loop: Header=BB6_3887 Depth=4
	v_cmp_gt_i16_sdwa s73, v24, v61 src0_sel:BYTE_0 src1_sel:DWORD
	s_mov_b32 s16, 0
	s_and_saveexec_b32 s74, s73
	s_xor_b32 s73, exec_lo, s74
	s_cbranch_execz .LBB6_5273
; %bb.4947:                             ;   in Loop: Header=BB6_3887 Depth=4
	v_cmp_eq_u16_sdwa s75, v24, v62 src0_sel:BYTE_0 src1_sel:DWORD
	s_mov_b32 s16, -1
	s_and_saveexec_b32 s74, s75
; %bb.4948:                             ;   in Loop: Header=BB6_3887 Depth=4
	s_xor_b32 s16, exec_lo, -1
; %bb.4949:                             ;   in Loop: Header=BB6_3887 Depth=4
	s_or_b32 exec_lo, exec_lo, s74
	s_and_b32 s16, s16, exec_lo
	s_or_saveexec_b32 s73, s73
	v_mov_b32_e32 v27, 0x7f800001
	s_xor_b32 exec_lo, exec_lo, s73
	s_cbranch_execnz .LBB6_5274
.LBB6_4950:                             ;   in Loop: Header=BB6_3887 Depth=4
	s_or_b32 exec_lo, exec_lo, s73
	s_and_saveexec_b32 s73, s16
	s_cbranch_execz .LBB6_4952
.LBB6_4951:                             ;   in Loop: Header=BB6_3887 Depth=4
	v_and_b32_e32 v27, 7, v24
	v_lshrrev_b16 v34, 3, v24
	v_ffbh_u32_e32 v30, v27
	v_and_b32_e32 v34, 15, v34
	v_min_u32_e32 v30, 32, v30
	v_cmp_eq_u32_e32 vcc_lo, 0, v34
	v_subrev_nc_u32_e32 v37, 28, v30
	v_sub_nc_u32_e32 v30, 29, v30
	v_lshlrev_b32_e32 v37, v37, v24
	v_lshlrev_b32_e32 v24, 24, v24
	v_cndmask_b32_e32 v30, v34, v30, vcc_lo
	v_and_b32_e32 v37, 7, v37
	v_and_b32_e32 v24, 0x80000000, v24
	v_lshl_add_u32 v30, v30, 23, 0x3b800000
	v_cndmask_b32_e32 v27, v27, v37, vcc_lo
	v_lshlrev_b32_e32 v27, 20, v27
	v_or3_b32 v27, v24, v30, v27
.LBB6_4952:                             ;   in Loop: Header=BB6_3887 Depth=4
	s_or_b32 exec_lo, exec_lo, s73
	s_waitcnt vmcnt(2) lgkmcnt(2)
	v_cmp_gt_i16_sdwa s73, v23, v61 src0_sel:BYTE_0 src1_sel:DWORD
	s_mov_b32 s16, 0
	s_and_saveexec_b32 s74, s73
	s_xor_b32 s73, exec_lo, s74
	s_cbranch_execz .LBB6_5275
; %bb.4953:                             ;   in Loop: Header=BB6_3887 Depth=4
	v_cmp_eq_u16_sdwa s75, v23, v62 src0_sel:BYTE_0 src1_sel:DWORD
	s_mov_b32 s16, -1
	s_and_saveexec_b32 s74, s75
; %bb.4954:                             ;   in Loop: Header=BB6_3887 Depth=4
	s_xor_b32 s16, exec_lo, -1
; %bb.4955:                             ;   in Loop: Header=BB6_3887 Depth=4
	s_or_b32 exec_lo, exec_lo, s74
	s_and_b32 s16, s16, exec_lo
	s_or_saveexec_b32 s73, s73
	v_mov_b32_e32 v24, 0x7f800001
	s_xor_b32 exec_lo, exec_lo, s73
	s_cbranch_execnz .LBB6_5276
.LBB6_4956:                             ;   in Loop: Header=BB6_3887 Depth=4
	s_or_b32 exec_lo, exec_lo, s73
	s_and_saveexec_b32 s73, s16
	s_cbranch_execz .LBB6_4958
.LBB6_4957:                             ;   in Loop: Header=BB6_3887 Depth=4
	v_and_b32_e32 v24, 7, v23
	v_lshrrev_b16 v34, 3, v23
	v_ffbh_u32_e32 v30, v24
	v_and_b32_e32 v34, 15, v34
	v_min_u32_e32 v30, 32, v30
	v_cmp_eq_u32_e32 vcc_lo, 0, v34
	v_subrev_nc_u32_e32 v37, 28, v30
	v_sub_nc_u32_e32 v30, 29, v30
	v_lshlrev_b32_e32 v37, v37, v23
	v_lshlrev_b32_e32 v23, 24, v23
	v_cndmask_b32_e32 v30, v34, v30, vcc_lo
	v_and_b32_e32 v37, 7, v37
	v_and_b32_e32 v23, 0x80000000, v23
	v_lshl_add_u32 v30, v30, 23, 0x3b800000
	v_cndmask_b32_e32 v24, v24, v37, vcc_lo
	v_lshlrev_b32_e32 v24, 20, v24
	v_or3_b32 v24, v23, v30, v24
.LBB6_4958:                             ;   in Loop: Header=BB6_3887 Depth=4
	s_or_b32 exec_lo, exec_lo, s73
	v_max_f32_e32 v23, v24, v24
	v_max_f32_e32 v24, v27, v27
	v_min_f32_e32 v27, v24, v23
.LBB6_4959:                             ;   in Loop: Header=BB6_3887 Depth=4
	s_waitcnt vmcnt(2) lgkmcnt(2)
	v_and_b32_e32 v23, 0x7f800000, v27
	v_cmp_ne_u32_e32 vcc_lo, 0x7f800000, v23
	v_mov_b32_e32 v23, 0x80
	s_and_saveexec_b32 s73, vcc_lo
	s_cbranch_execz .LBB6_4967
; %bb.4960:                             ;   in Loop: Header=BB6_3887 Depth=4
	v_mov_b32_e32 v23, 0
	s_mov_b32 s74, exec_lo
	v_cmpx_ne_u32_e32 0, v27
	s_cbranch_execz .LBB6_4966
; %bb.4961:                             ;   in Loop: Header=BB6_3887 Depth=4
	v_bfe_u32 v23, v27, 23, 8
	v_and_b32_e32 v24, 0x7fffff, v27
	v_sub_nc_u32_e32 v30, 0x78, v23
	v_cmp_gt_u32_e32 vcc_lo, 0x79, v23
	v_or_b32_e32 v34, 0x800000, v24
	v_cndmask_b32_e32 v30, 0, v30, vcc_lo
	v_cmp_eq_u32_e32 vcc_lo, 0, v23
	v_add_nc_u32_e32 v23, 0xffffff89, v23
	v_cndmask_b32_e64 v30, v30, 0x77, vcc_lo
	v_cndmask_b32_e32 v24, v34, v24, vcc_lo
	v_cndmask_b32_e64 v23, v23, 0xffffff8a, vcc_lo
	v_lshl_add_u32 v34, 0x100000, v30, -1
	v_lshrrev_b32_e32 v37, v30, v24
	v_lshlrev_b32_e64 v50, v30, 0x80000
	v_add_nc_u32_e32 v30, v30, v23
	v_and_b32_e32 v24, v34, v24
	v_bfe_u32 v48, v37, 20, 1
	v_cmp_eq_u32_e64 s16, v24, v50
	v_add_nc_u32_e32 v34, -1, v48
	v_cndmask_b32_e64 v24, 0, v34, s16
	v_lshrrev_b32_e32 v34, 23, v37
	s_mov_b32 s16, exec_lo
	v_add_nc_u32_e32 v24, v24, v37
	v_xor_b32_e32 v34, 1, v34
	v_and_b32_e32 v23, 0xfffff, v24
	v_add_nc_u32_e32 v24, v23, v37
                                        ; implicit-def: $vgpr23
	v_cmpx_ne_u32_e64 v30, v34
	s_xor_b32 s16, exec_lo, s16
; %bb.4962:                             ;   in Loop: Header=BB6_3887 Depth=4
	v_cmp_lt_u32_e32 vcc_lo, 0xffffff, v24
	v_sub_nc_u32_e32 v23, v30, v34
	v_cndmask_b32_e64 v30, 0, 1, vcc_lo
	v_add_co_ci_u32_e64 v23, null, 0, v23, vcc_lo
	v_lshrrev_b32_e32 v24, v30, v24
; %bb.4963:                             ;   in Loop: Header=BB6_3887 Depth=4
	s_andn2_saveexec_b32 s16, s16
; %bb.4964:                             ;   in Loop: Header=BB6_3887 Depth=4
	v_bfe_u32 v23, v24, 23, 1
; %bb.4965:                             ;   in Loop: Header=BB6_3887 Depth=4
	s_or_b32 exec_lo, exec_lo, s16
	v_lshrrev_b32_e32 v24, 20, v24
	v_cmp_gt_i32_e32 vcc_lo, 16, v23
	v_min_i32_e32 v30, 15, v23
	v_and_b32_sdwa v27, v27, v62 dst_sel:DWORD dst_unused:UNUSED_PAD src0_sel:BYTE_3 src1_sel:DWORD
	v_cndmask_b32_e32 v24, 7, v24, vcc_lo
	v_lshlrev_b32_e32 v30, 3, v30
	v_and_b32_e32 v34, 7, v24
	v_or_b32_e32 v23, v23, v24
	v_or3_b32 v24, v30, v27, v34
	v_cmp_ne_u32_e32 vcc_lo, 0, v23
	v_cndmask_b32_e32 v23, 0, v24, vcc_lo
.LBB6_4966:                             ;   in Loop: Header=BB6_3887 Depth=4
	s_or_b32 exec_lo, exec_lo, s74
.LBB6_4967:                             ;   in Loop: Header=BB6_3887 Depth=4
	s_or_b32 exec_lo, exec_lo, s73
	v_cmp_gt_i16_sdwa s73, v21, v61 src0_sel:BYTE_0 src1_sel:DWORD
	s_andn2_b32 vcc_lo, exec_lo, s63
	s_mov_b32 s16, -1
                                        ; implicit-def: $vgpr24
	s_cbranch_vccnz .LBB6_4981
; %bb.4968:                             ;   in Loop: Header=BB6_3887 Depth=4
	s_mov_b32 s16, 0
	s_and_saveexec_b32 s74, s73
	s_xor_b32 s73, exec_lo, s74
	s_cbranch_execz .LBB6_5277
; %bb.4969:                             ;   in Loop: Header=BB6_3887 Depth=4
	v_cmp_eq_u16_sdwa s75, v21, v62 src0_sel:BYTE_0 src1_sel:DWORD
	s_mov_b32 s16, -1
	s_and_saveexec_b32 s74, s75
; %bb.4970:                             ;   in Loop: Header=BB6_3887 Depth=4
	s_xor_b32 s16, exec_lo, -1
; %bb.4971:                             ;   in Loop: Header=BB6_3887 Depth=4
	s_or_b32 exec_lo, exec_lo, s74
	s_and_b32 s16, s16, exec_lo
	s_or_saveexec_b32 s73, s73
	v_mov_b32_e32 v24, 0x7f800001
	s_xor_b32 exec_lo, exec_lo, s73
	s_cbranch_execnz .LBB6_5278
.LBB6_4972:                             ;   in Loop: Header=BB6_3887 Depth=4
	s_or_b32 exec_lo, exec_lo, s73
	s_and_saveexec_b32 s73, s16
	s_cbranch_execz .LBB6_4974
.LBB6_4973:                             ;   in Loop: Header=BB6_3887 Depth=4
	v_and_b32_e32 v24, 7, v21
	v_lshrrev_b16 v30, 3, v21
	v_lshlrev_b32_e32 v37, 24, v21
	v_ffbh_u32_e32 v27, v24
	v_and_b32_e32 v30, 15, v30
	v_min_u32_e32 v27, 32, v27
	v_cmp_eq_u32_e32 vcc_lo, 0, v30
	v_subrev_nc_u32_e32 v34, 28, v27
	v_sub_nc_u32_e32 v27, 29, v27
	v_lshlrev_b32_e32 v34, v34, v21
	v_cndmask_b32_e32 v27, v30, v27, vcc_lo
	v_and_b32_e32 v30, 0x80000000, v37
	v_and_b32_e32 v34, 7, v34
	v_lshl_add_u32 v27, v27, 23, 0x3b800000
	v_cndmask_b32_e32 v24, v24, v34, vcc_lo
	v_lshlrev_b32_e32 v24, 20, v24
	v_or3_b32 v24, v30, v27, v24
.LBB6_4974:                             ;   in Loop: Header=BB6_3887 Depth=4
	s_or_b32 exec_lo, exec_lo, s73
	s_waitcnt vmcnt(1) lgkmcnt(1)
	v_cmp_gt_i16_sdwa s73, v20, v61 src0_sel:BYTE_0 src1_sel:DWORD
	s_mov_b32 s16, 0
	s_and_saveexec_b32 s74, s73
	s_xor_b32 s73, exec_lo, s74
	s_cbranch_execz .LBB6_5279
; %bb.4975:                             ;   in Loop: Header=BB6_3887 Depth=4
	v_cmp_eq_u16_sdwa s75, v20, v62 src0_sel:BYTE_0 src1_sel:DWORD
	s_mov_b32 s16, -1
	s_and_saveexec_b32 s74, s75
; %bb.4976:                             ;   in Loop: Header=BB6_3887 Depth=4
	s_xor_b32 s16, exec_lo, -1
; %bb.4977:                             ;   in Loop: Header=BB6_3887 Depth=4
	s_or_b32 exec_lo, exec_lo, s74
	s_and_b32 s16, s16, exec_lo
	s_or_saveexec_b32 s73, s73
	v_mov_b32_e32 v27, 0x7f800001
	s_xor_b32 exec_lo, exec_lo, s73
	s_cbranch_execnz .LBB6_5280
.LBB6_4978:                             ;   in Loop: Header=BB6_3887 Depth=4
	s_or_b32 exec_lo, exec_lo, s73
	s_and_saveexec_b32 s73, s16
	s_cbranch_execz .LBB6_4980
.LBB6_4979:                             ;   in Loop: Header=BB6_3887 Depth=4
	v_and_b32_e32 v27, 7, v20
	v_lshrrev_b16 v34, 3, v20
	v_lshlrev_b32_e32 v48, 24, v20
	v_ffbh_u32_e32 v30, v27
	v_and_b32_e32 v34, 15, v34
	v_min_u32_e32 v30, 32, v30
	v_cmp_eq_u32_e32 vcc_lo, 0, v34
	v_subrev_nc_u32_e32 v37, 28, v30
	v_sub_nc_u32_e32 v30, 29, v30
	v_lshlrev_b32_e32 v37, v37, v20
	v_cndmask_b32_e32 v30, v34, v30, vcc_lo
	v_and_b32_e32 v34, 0x80000000, v48
	v_and_b32_e32 v37, 7, v37
	v_lshl_add_u32 v30, v30, 23, 0x3b800000
	v_cndmask_b32_e32 v27, v27, v37, vcc_lo
	v_lshlrev_b32_e32 v27, 20, v27
	v_or3_b32 v27, v34, v30, v27
.LBB6_4980:                             ;   in Loop: Header=BB6_3887 Depth=4
	s_or_b32 exec_lo, exec_lo, s73
	v_max_f32_e32 v27, v27, v27
	v_max_f32_e32 v24, v24, v24
	s_mov_b32 s16, 0
	v_max_f32_e32 v24, v24, v27
.LBB6_4981:                             ;   in Loop: Header=BB6_3887 Depth=4
	s_and_b32 vcc_lo, exec_lo, s16
	s_cbranch_vccz .LBB6_4995
; %bb.4982:                             ;   in Loop: Header=BB6_3887 Depth=4
	v_cmp_gt_i16_sdwa s73, v21, v61 src0_sel:BYTE_0 src1_sel:DWORD
	s_mov_b32 s16, 0
	s_and_saveexec_b32 s74, s73
	s_xor_b32 s73, exec_lo, s74
	s_cbranch_execz .LBB6_5281
; %bb.4983:                             ;   in Loop: Header=BB6_3887 Depth=4
	v_cmp_eq_u16_sdwa s75, v21, v62 src0_sel:BYTE_0 src1_sel:DWORD
	s_mov_b32 s16, -1
	s_and_saveexec_b32 s74, s75
; %bb.4984:                             ;   in Loop: Header=BB6_3887 Depth=4
	s_xor_b32 s16, exec_lo, -1
; %bb.4985:                             ;   in Loop: Header=BB6_3887 Depth=4
	s_or_b32 exec_lo, exec_lo, s74
	s_and_b32 s16, s16, exec_lo
	s_or_saveexec_b32 s73, s73
	v_mov_b32_e32 v24, 0x7f800001
	s_xor_b32 exec_lo, exec_lo, s73
	s_cbranch_execnz .LBB6_5282
.LBB6_4986:                             ;   in Loop: Header=BB6_3887 Depth=4
	s_or_b32 exec_lo, exec_lo, s73
	s_and_saveexec_b32 s73, s16
	s_cbranch_execz .LBB6_4988
.LBB6_4987:                             ;   in Loop: Header=BB6_3887 Depth=4
	v_and_b32_e32 v24, 7, v21
	v_lshrrev_b16 v30, 3, v21
	v_ffbh_u32_e32 v27, v24
	v_and_b32_e32 v30, 15, v30
	v_min_u32_e32 v27, 32, v27
	v_cmp_eq_u32_e32 vcc_lo, 0, v30
	v_subrev_nc_u32_e32 v34, 28, v27
	v_sub_nc_u32_e32 v27, 29, v27
	v_lshlrev_b32_e32 v34, v34, v21
	v_lshlrev_b32_e32 v21, 24, v21
	v_cndmask_b32_e32 v27, v30, v27, vcc_lo
	v_and_b32_e32 v34, 7, v34
	v_and_b32_e32 v21, 0x80000000, v21
	v_lshl_add_u32 v27, v27, 23, 0x3b800000
	v_cndmask_b32_e32 v24, v24, v34, vcc_lo
	v_lshlrev_b32_e32 v24, 20, v24
	v_or3_b32 v24, v21, v27, v24
.LBB6_4988:                             ;   in Loop: Header=BB6_3887 Depth=4
	s_or_b32 exec_lo, exec_lo, s73
	s_waitcnt vmcnt(1) lgkmcnt(1)
	v_cmp_gt_i16_sdwa s73, v20, v61 src0_sel:BYTE_0 src1_sel:DWORD
	s_mov_b32 s16, 0
	s_and_saveexec_b32 s74, s73
	s_xor_b32 s73, exec_lo, s74
	s_cbranch_execz .LBB6_5283
; %bb.4989:                             ;   in Loop: Header=BB6_3887 Depth=4
	v_cmp_eq_u16_sdwa s75, v20, v62 src0_sel:BYTE_0 src1_sel:DWORD
	s_mov_b32 s16, -1
	s_and_saveexec_b32 s74, s75
; %bb.4990:                             ;   in Loop: Header=BB6_3887 Depth=4
	s_xor_b32 s16, exec_lo, -1
; %bb.4991:                             ;   in Loop: Header=BB6_3887 Depth=4
	s_or_b32 exec_lo, exec_lo, s74
	s_and_b32 s16, s16, exec_lo
	s_or_saveexec_b32 s73, s73
	v_mov_b32_e32 v21, 0x7f800001
	s_xor_b32 exec_lo, exec_lo, s73
	s_cbranch_execnz .LBB6_5284
.LBB6_4992:                             ;   in Loop: Header=BB6_3887 Depth=4
	s_or_b32 exec_lo, exec_lo, s73
	s_and_saveexec_b32 s73, s16
	s_cbranch_execz .LBB6_4994
.LBB6_4993:                             ;   in Loop: Header=BB6_3887 Depth=4
	v_and_b32_e32 v21, 7, v20
	v_lshrrev_b16 v30, 3, v20
	v_ffbh_u32_e32 v27, v21
	v_and_b32_e32 v30, 15, v30
	v_min_u32_e32 v27, 32, v27
	v_cmp_eq_u32_e32 vcc_lo, 0, v30
	v_subrev_nc_u32_e32 v34, 28, v27
	v_sub_nc_u32_e32 v27, 29, v27
	v_lshlrev_b32_e32 v34, v34, v20
	v_lshlrev_b32_e32 v20, 24, v20
	v_cndmask_b32_e32 v27, v30, v27, vcc_lo
	v_and_b32_e32 v34, 7, v34
	v_and_b32_e32 v20, 0x80000000, v20
	v_lshl_add_u32 v27, v27, 23, 0x3b800000
	v_cndmask_b32_e32 v21, v21, v34, vcc_lo
	v_lshlrev_b32_e32 v21, 20, v21
	v_or3_b32 v21, v20, v27, v21
.LBB6_4994:                             ;   in Loop: Header=BB6_3887 Depth=4
	s_or_b32 exec_lo, exec_lo, s73
	v_max_f32_e32 v20, v21, v21
	v_max_f32_e32 v21, v24, v24
	v_min_f32_e32 v24, v21, v20
.LBB6_4995:                             ;   in Loop: Header=BB6_3887 Depth=4
	s_waitcnt vmcnt(1) lgkmcnt(1)
	v_and_b32_e32 v20, 0x7f800000, v24
	v_cmp_ne_u32_e32 vcc_lo, 0x7f800000, v20
	v_mov_b32_e32 v20, 0x80
	s_and_saveexec_b32 s73, vcc_lo
	s_cbranch_execz .LBB6_5003
; %bb.4996:                             ;   in Loop: Header=BB6_3887 Depth=4
	v_mov_b32_e32 v20, 0
	s_mov_b32 s74, exec_lo
	v_cmpx_ne_u32_e32 0, v24
	s_cbranch_execz .LBB6_5002
; %bb.4997:                             ;   in Loop: Header=BB6_3887 Depth=4
	v_bfe_u32 v20, v24, 23, 8
	v_and_b32_e32 v21, 0x7fffff, v24
	v_sub_nc_u32_e32 v27, 0x78, v20
	v_cmp_gt_u32_e32 vcc_lo, 0x79, v20
	v_or_b32_e32 v30, 0x800000, v21
	v_cndmask_b32_e32 v27, 0, v27, vcc_lo
	v_cmp_eq_u32_e32 vcc_lo, 0, v20
	v_add_nc_u32_e32 v20, 0xffffff89, v20
	v_cndmask_b32_e64 v27, v27, 0x77, vcc_lo
	v_cndmask_b32_e32 v21, v30, v21, vcc_lo
	v_cndmask_b32_e64 v20, v20, 0xffffff8a, vcc_lo
	v_lshl_add_u32 v30, 0x100000, v27, -1
	v_lshrrev_b32_e32 v34, v27, v21
	v_lshlrev_b32_e64 v48, v27, 0x80000
	v_add_nc_u32_e32 v27, v27, v20
	v_and_b32_e32 v21, v30, v21
	v_bfe_u32 v37, v34, 20, 1
	v_cmp_eq_u32_e64 s16, v21, v48
	v_add_nc_u32_e32 v30, -1, v37
	v_cndmask_b32_e64 v21, 0, v30, s16
	v_lshrrev_b32_e32 v30, 23, v34
	s_mov_b32 s16, exec_lo
	v_add_nc_u32_e32 v21, v21, v34
	v_xor_b32_e32 v30, 1, v30
	v_and_b32_e32 v20, 0xfffff, v21
	v_add_nc_u32_e32 v21, v20, v34
                                        ; implicit-def: $vgpr20
	v_cmpx_ne_u32_e64 v27, v30
	s_xor_b32 s16, exec_lo, s16
; %bb.4998:                             ;   in Loop: Header=BB6_3887 Depth=4
	v_cmp_lt_u32_e32 vcc_lo, 0xffffff, v21
	v_sub_nc_u32_e32 v20, v27, v30
	v_cndmask_b32_e64 v27, 0, 1, vcc_lo
	v_add_co_ci_u32_e64 v20, null, 0, v20, vcc_lo
	v_lshrrev_b32_e32 v21, v27, v21
; %bb.4999:                             ;   in Loop: Header=BB6_3887 Depth=4
	s_andn2_saveexec_b32 s16, s16
; %bb.5000:                             ;   in Loop: Header=BB6_3887 Depth=4
	v_bfe_u32 v20, v21, 23, 1
; %bb.5001:                             ;   in Loop: Header=BB6_3887 Depth=4
	s_or_b32 exec_lo, exec_lo, s16
	v_lshrrev_b32_e32 v21, 20, v21
	v_cmp_gt_i32_e32 vcc_lo, 16, v20
	v_min_i32_e32 v27, 15, v20
	v_and_b32_sdwa v24, v24, v62 dst_sel:DWORD dst_unused:UNUSED_PAD src0_sel:BYTE_3 src1_sel:DWORD
	v_cndmask_b32_e32 v21, 7, v21, vcc_lo
	v_lshlrev_b32_e32 v27, 3, v27
	v_and_b32_e32 v30, 7, v21
	v_or_b32_e32 v20, v20, v21
	v_or3_b32 v21, v27, v24, v30
	v_cmp_ne_u32_e32 vcc_lo, 0, v20
	v_cndmask_b32_e32 v20, 0, v21, vcc_lo
.LBB6_5002:                             ;   in Loop: Header=BB6_3887 Depth=4
	s_or_b32 exec_lo, exec_lo, s74
.LBB6_5003:                             ;   in Loop: Header=BB6_3887 Depth=4
	s_or_b32 exec_lo, exec_lo, s73
	v_cmp_gt_i16_sdwa s73, v19, v61 src0_sel:BYTE_0 src1_sel:DWORD
	s_andn2_b32 vcc_lo, exec_lo, s63
	s_mov_b32 s16, -1
                                        ; implicit-def: $vgpr21
	s_cbranch_vccnz .LBB6_5017
; %bb.5004:                             ;   in Loop: Header=BB6_3887 Depth=4
	s_mov_b32 s16, 0
	s_and_saveexec_b32 s74, s73
	s_xor_b32 s73, exec_lo, s74
	s_cbranch_execz .LBB6_5285
; %bb.5005:                             ;   in Loop: Header=BB6_3887 Depth=4
	v_cmp_eq_u16_sdwa s75, v19, v62 src0_sel:BYTE_0 src1_sel:DWORD
	s_mov_b32 s16, -1
	s_and_saveexec_b32 s74, s75
; %bb.5006:                             ;   in Loop: Header=BB6_3887 Depth=4
	s_xor_b32 s16, exec_lo, -1
; %bb.5007:                             ;   in Loop: Header=BB6_3887 Depth=4
	s_or_b32 exec_lo, exec_lo, s74
	s_and_b32 s16, s16, exec_lo
	s_or_saveexec_b32 s73, s73
	v_mov_b32_e32 v21, 0x7f800001
	s_xor_b32 exec_lo, exec_lo, s73
	s_cbranch_execnz .LBB6_5286
.LBB6_5008:                             ;   in Loop: Header=BB6_3887 Depth=4
	s_or_b32 exec_lo, exec_lo, s73
	s_and_saveexec_b32 s73, s16
	s_cbranch_execz .LBB6_5010
.LBB6_5009:                             ;   in Loop: Header=BB6_3887 Depth=4
	v_and_b32_e32 v21, 7, v19
	v_lshrrev_b16 v27, 3, v19
	v_lshlrev_b32_e32 v34, 24, v19
	v_ffbh_u32_e32 v24, v21
	v_and_b32_e32 v27, 15, v27
	v_min_u32_e32 v24, 32, v24
	v_cmp_eq_u32_e32 vcc_lo, 0, v27
	v_subrev_nc_u32_e32 v30, 28, v24
	v_sub_nc_u32_e32 v24, 29, v24
	v_lshlrev_b32_e32 v30, v30, v19
	v_cndmask_b32_e32 v24, v27, v24, vcc_lo
	v_and_b32_e32 v27, 0x80000000, v34
	v_and_b32_e32 v30, 7, v30
	v_lshl_add_u32 v24, v24, 23, 0x3b800000
	v_cndmask_b32_e32 v21, v21, v30, vcc_lo
	v_lshlrev_b32_e32 v21, 20, v21
	v_or3_b32 v21, v27, v24, v21
.LBB6_5010:                             ;   in Loop: Header=BB6_3887 Depth=4
	s_or_b32 exec_lo, exec_lo, s73
	s_waitcnt vmcnt(0) lgkmcnt(0)
	v_cmp_gt_i16_sdwa s73, v18, v61 src0_sel:BYTE_0 src1_sel:DWORD
	s_mov_b32 s16, 0
	s_and_saveexec_b32 s74, s73
	s_xor_b32 s73, exec_lo, s74
	s_cbranch_execz .LBB6_5287
; %bb.5011:                             ;   in Loop: Header=BB6_3887 Depth=4
	v_cmp_eq_u16_sdwa s75, v18, v62 src0_sel:BYTE_0 src1_sel:DWORD
	s_mov_b32 s16, -1
	s_and_saveexec_b32 s74, s75
; %bb.5012:                             ;   in Loop: Header=BB6_3887 Depth=4
	s_xor_b32 s16, exec_lo, -1
; %bb.5013:                             ;   in Loop: Header=BB6_3887 Depth=4
	s_or_b32 exec_lo, exec_lo, s74
	s_and_b32 s16, s16, exec_lo
	s_or_saveexec_b32 s73, s73
	v_mov_b32_e32 v24, 0x7f800001
	s_xor_b32 exec_lo, exec_lo, s73
	s_cbranch_execnz .LBB6_5288
.LBB6_5014:                             ;   in Loop: Header=BB6_3887 Depth=4
	s_or_b32 exec_lo, exec_lo, s73
	s_and_saveexec_b32 s73, s16
	s_cbranch_execz .LBB6_5016
.LBB6_5015:                             ;   in Loop: Header=BB6_3887 Depth=4
	v_and_b32_e32 v24, 7, v18
	v_lshrrev_b16 v30, 3, v18
	v_lshlrev_b32_e32 v37, 24, v18
	v_ffbh_u32_e32 v27, v24
	v_and_b32_e32 v30, 15, v30
	v_min_u32_e32 v27, 32, v27
	v_cmp_eq_u32_e32 vcc_lo, 0, v30
	v_subrev_nc_u32_e32 v34, 28, v27
	v_sub_nc_u32_e32 v27, 29, v27
	v_lshlrev_b32_e32 v34, v34, v18
	v_cndmask_b32_e32 v27, v30, v27, vcc_lo
	v_and_b32_e32 v30, 0x80000000, v37
	v_and_b32_e32 v34, 7, v34
	v_lshl_add_u32 v27, v27, 23, 0x3b800000
	v_cndmask_b32_e32 v24, v24, v34, vcc_lo
	v_lshlrev_b32_e32 v24, 20, v24
	v_or3_b32 v24, v30, v27, v24
.LBB6_5016:                             ;   in Loop: Header=BB6_3887 Depth=4
	s_or_b32 exec_lo, exec_lo, s73
	v_max_f32_e32 v24, v24, v24
	v_max_f32_e32 v21, v21, v21
	s_mov_b32 s16, 0
	v_max_f32_e32 v21, v21, v24
.LBB6_5017:                             ;   in Loop: Header=BB6_3887 Depth=4
	s_and_b32 vcc_lo, exec_lo, s16
	s_cbranch_vccz .LBB6_5031
; %bb.5018:                             ;   in Loop: Header=BB6_3887 Depth=4
	v_cmp_gt_i16_sdwa s73, v19, v61 src0_sel:BYTE_0 src1_sel:DWORD
	s_mov_b32 s16, 0
	s_and_saveexec_b32 s74, s73
	s_xor_b32 s73, exec_lo, s74
	s_cbranch_execz .LBB6_5289
; %bb.5019:                             ;   in Loop: Header=BB6_3887 Depth=4
	v_cmp_eq_u16_sdwa s75, v19, v62 src0_sel:BYTE_0 src1_sel:DWORD
	s_mov_b32 s16, -1
	s_and_saveexec_b32 s74, s75
; %bb.5020:                             ;   in Loop: Header=BB6_3887 Depth=4
	s_xor_b32 s16, exec_lo, -1
; %bb.5021:                             ;   in Loop: Header=BB6_3887 Depth=4
	s_or_b32 exec_lo, exec_lo, s74
	s_and_b32 s16, s16, exec_lo
	s_or_saveexec_b32 s73, s73
	v_mov_b32_e32 v21, 0x7f800001
	s_xor_b32 exec_lo, exec_lo, s73
	s_cbranch_execnz .LBB6_5290
.LBB6_5022:                             ;   in Loop: Header=BB6_3887 Depth=4
	s_or_b32 exec_lo, exec_lo, s73
	s_and_saveexec_b32 s73, s16
	s_cbranch_execz .LBB6_5024
.LBB6_5023:                             ;   in Loop: Header=BB6_3887 Depth=4
	v_and_b32_e32 v21, 7, v19
	v_lshrrev_b16 v27, 3, v19
	v_ffbh_u32_e32 v24, v21
	v_and_b32_e32 v27, 15, v27
	v_min_u32_e32 v24, 32, v24
	v_cmp_eq_u32_e32 vcc_lo, 0, v27
	v_subrev_nc_u32_e32 v30, 28, v24
	v_sub_nc_u32_e32 v24, 29, v24
	v_lshlrev_b32_e32 v30, v30, v19
	v_lshlrev_b32_e32 v19, 24, v19
	v_cndmask_b32_e32 v24, v27, v24, vcc_lo
	v_and_b32_e32 v30, 7, v30
	v_and_b32_e32 v19, 0x80000000, v19
	v_lshl_add_u32 v24, v24, 23, 0x3b800000
	v_cndmask_b32_e32 v21, v21, v30, vcc_lo
	v_lshlrev_b32_e32 v21, 20, v21
	v_or3_b32 v21, v19, v24, v21
.LBB6_5024:                             ;   in Loop: Header=BB6_3887 Depth=4
	s_or_b32 exec_lo, exec_lo, s73
	s_waitcnt vmcnt(0) lgkmcnt(0)
	v_cmp_gt_i16_sdwa s73, v18, v61 src0_sel:BYTE_0 src1_sel:DWORD
	s_mov_b32 s16, 0
	s_and_saveexec_b32 s74, s73
	s_xor_b32 s73, exec_lo, s74
	s_cbranch_execz .LBB6_5291
; %bb.5025:                             ;   in Loop: Header=BB6_3887 Depth=4
	v_cmp_eq_u16_sdwa s75, v18, v62 src0_sel:BYTE_0 src1_sel:DWORD
	s_mov_b32 s16, -1
	s_and_saveexec_b32 s74, s75
; %bb.5026:                             ;   in Loop: Header=BB6_3887 Depth=4
	s_xor_b32 s16, exec_lo, -1
; %bb.5027:                             ;   in Loop: Header=BB6_3887 Depth=4
	s_or_b32 exec_lo, exec_lo, s74
	s_and_b32 s16, s16, exec_lo
	s_or_saveexec_b32 s73, s73
	v_mov_b32_e32 v19, 0x7f800001
	s_xor_b32 exec_lo, exec_lo, s73
	s_cbranch_execnz .LBB6_5292
.LBB6_5028:                             ;   in Loop: Header=BB6_3887 Depth=4
	s_or_b32 exec_lo, exec_lo, s73
	s_and_saveexec_b32 s73, s16
	s_cbranch_execz .LBB6_5030
.LBB6_5029:                             ;   in Loop: Header=BB6_3887 Depth=4
	v_and_b32_e32 v19, 7, v18
	v_lshrrev_b16 v27, 3, v18
	v_ffbh_u32_e32 v24, v19
	v_and_b32_e32 v27, 15, v27
	v_min_u32_e32 v24, 32, v24
	v_cmp_eq_u32_e32 vcc_lo, 0, v27
	v_subrev_nc_u32_e32 v30, 28, v24
	v_sub_nc_u32_e32 v24, 29, v24
	v_lshlrev_b32_e32 v30, v30, v18
	v_lshlrev_b32_e32 v18, 24, v18
	v_cndmask_b32_e32 v24, v27, v24, vcc_lo
	v_and_b32_e32 v30, 7, v30
	v_and_b32_e32 v18, 0x80000000, v18
	v_lshl_add_u32 v24, v24, 23, 0x3b800000
	v_cndmask_b32_e32 v19, v19, v30, vcc_lo
	v_lshlrev_b32_e32 v19, 20, v19
	v_or3_b32 v19, v18, v24, v19
.LBB6_5030:                             ;   in Loop: Header=BB6_3887 Depth=4
	s_or_b32 exec_lo, exec_lo, s73
	v_max_f32_e32 v18, v19, v19
	v_max_f32_e32 v19, v21, v21
	v_min_f32_e32 v21, v19, v18
.LBB6_5031:                             ;   in Loop: Header=BB6_3887 Depth=4
	s_waitcnt vmcnt(0) lgkmcnt(0)
	v_and_b32_e32 v18, 0x7f800000, v21
	v_cmp_ne_u32_e32 vcc_lo, 0x7f800000, v18
	v_mov_b32_e32 v18, 0x80
	s_and_saveexec_b32 s73, vcc_lo
	s_cbranch_execz .LBB6_3886
; %bb.5032:                             ;   in Loop: Header=BB6_3887 Depth=4
	v_mov_b32_e32 v18, 0
	s_mov_b32 s74, exec_lo
	v_cmpx_ne_u32_e32 0, v21
	s_cbranch_execz .LBB6_3885
; %bb.5033:                             ;   in Loop: Header=BB6_3887 Depth=4
	v_bfe_u32 v18, v21, 23, 8
	v_and_b32_e32 v19, 0x7fffff, v21
	v_sub_nc_u32_e32 v24, 0x78, v18
	v_cmp_gt_u32_e32 vcc_lo, 0x79, v18
	v_or_b32_e32 v27, 0x800000, v19
	v_cndmask_b32_e32 v24, 0, v24, vcc_lo
	v_cmp_eq_u32_e32 vcc_lo, 0, v18
	v_add_nc_u32_e32 v18, 0xffffff89, v18
	v_cndmask_b32_e64 v24, v24, 0x77, vcc_lo
	v_cndmask_b32_e32 v19, v27, v19, vcc_lo
	v_cndmask_b32_e64 v18, v18, 0xffffff8a, vcc_lo
	v_lshl_add_u32 v27, 0x100000, v24, -1
	v_lshrrev_b32_e32 v30, v24, v19
	v_lshlrev_b32_e64 v37, v24, 0x80000
	v_add_nc_u32_e32 v24, v24, v18
	v_and_b32_e32 v19, v27, v19
	v_bfe_u32 v34, v30, 20, 1
	v_cmp_eq_u32_e64 s16, v19, v37
	v_add_nc_u32_e32 v27, -1, v34
	v_cndmask_b32_e64 v19, 0, v27, s16
	v_lshrrev_b32_e32 v27, 23, v30
	s_mov_b32 s16, exec_lo
	v_add_nc_u32_e32 v19, v19, v30
	v_xor_b32_e32 v27, 1, v27
	v_and_b32_e32 v18, 0xfffff, v19
	v_add_nc_u32_e32 v19, v18, v30
                                        ; implicit-def: $vgpr18
	v_cmpx_ne_u32_e64 v24, v27
	s_xor_b32 s16, exec_lo, s16
; %bb.5034:                             ;   in Loop: Header=BB6_3887 Depth=4
	v_cmp_lt_u32_e32 vcc_lo, 0xffffff, v19
	v_sub_nc_u32_e32 v18, v24, v27
	v_cndmask_b32_e64 v24, 0, 1, vcc_lo
	v_add_co_ci_u32_e64 v18, null, 0, v18, vcc_lo
	v_lshrrev_b32_e32 v19, v24, v19
; %bb.5035:                             ;   in Loop: Header=BB6_3887 Depth=4
	s_andn2_saveexec_b32 s16, s16
	s_cbranch_execz .LBB6_3884
; %bb.5036:                             ;   in Loop: Header=BB6_3887 Depth=4
	v_bfe_u32 v18, v19, 23, 1
	s_branch .LBB6_3884
.LBB6_5037:                             ;   in Loop: Header=BB6_3887 Depth=4
	s_or_saveexec_b32 s16, s16
	v_mov_b32_e32 v60, 0x7f800001
	s_xor_b32 exec_lo, exec_lo, s16
	s_cbranch_execz .LBB6_3892
.LBB6_5038:                             ;   in Loop: Header=BB6_3887 Depth=4
	v_cmp_ne_u16_sdwa s73, v46, v2 src0_sel:BYTE_0 src1_sel:DWORD
	v_mov_b32_e32 v60, 0
	s_andn2_b32 s74, s74, exec_lo
	s_and_b32 s73, s73, exec_lo
	s_or_b32 s74, s74, s73
	s_or_b32 exec_lo, exec_lo, s16
	s_and_saveexec_b32 s16, s74
	s_cbranch_execnz .LBB6_3893
	s_branch .LBB6_3894
.LBB6_5039:                             ;   in Loop: Header=BB6_3887 Depth=4
	s_or_saveexec_b32 s16, s16
	v_mov_b32_e32 v86, 0x7f800001
	s_xor_b32 exec_lo, exec_lo, s16
	s_cbranch_execz .LBB6_3898
.LBB6_5040:                             ;   in Loop: Header=BB6_3887 Depth=4
	v_cmp_ne_u16_sdwa s74, v22, v2 src0_sel:BYTE_0 src1_sel:DWORD
	v_mov_b32_e32 v86, 0
	s_andn2_b32 s73, s73, exec_lo
	s_and_b32 s74, s74, exec_lo
	s_or_b32 s73, s73, s74
	s_or_b32 exec_lo, exec_lo, s16
	s_and_saveexec_b32 s16, s73
	s_cbranch_execnz .LBB6_3899
	s_branch .LBB6_3900
.LBB6_5041:                             ;   in Loop: Header=BB6_3887 Depth=4
	s_or_saveexec_b32 s16, s16
	v_mov_b32_e32 v60, 0x7f800001
	s_xor_b32 exec_lo, exec_lo, s16
	s_cbranch_execz .LBB6_3906
.LBB6_5042:                             ;   in Loop: Header=BB6_3887 Depth=4
	v_cmp_ne_u16_sdwa s74, v46, v2 src0_sel:BYTE_0 src1_sel:DWORD
	v_mov_b32_e32 v60, 0
	s_andn2_b32 s73, s73, exec_lo
	s_and_b32 s74, s74, exec_lo
	s_or_b32 s73, s73, s74
	s_or_b32 exec_lo, exec_lo, s16
	s_and_saveexec_b32 s16, s73
	s_cbranch_execnz .LBB6_3907
	s_branch .LBB6_3908
.LBB6_5043:                             ;   in Loop: Header=BB6_3887 Depth=4
	s_or_saveexec_b32 s16, s16
	v_mov_b32_e32 v86, 0x7f800001
	s_xor_b32 exec_lo, exec_lo, s16
	s_cbranch_execz .LBB6_3912
.LBB6_5044:                             ;   in Loop: Header=BB6_3887 Depth=4
	v_cmp_ne_u16_sdwa s74, v22, v2 src0_sel:BYTE_0 src1_sel:DWORD
	v_mov_b32_e32 v86, 0
	s_andn2_b32 s73, s73, exec_lo
	s_and_b32 s74, s74, exec_lo
	s_or_b32 s73, s73, s74
	s_or_b32 exec_lo, exec_lo, s16
	s_and_saveexec_b32 s16, s73
	s_cbranch_execnz .LBB6_3913
	s_branch .LBB6_3914
.LBB6_5045:                             ;   in Loop: Header=BB6_3887 Depth=4
	s_or_saveexec_b32 s73, s73
	v_mov_b32_e32 v46, 0x7f800001
	s_xor_b32 exec_lo, exec_lo, s73
	s_cbranch_execz .LBB6_3928
.LBB6_5046:                             ;   in Loop: Header=BB6_3887 Depth=4
	v_cmp_ne_u16_sdwa s74, v74, v2 src0_sel:BYTE_0 src1_sel:DWORD
	v_mov_b32_e32 v46, 0
	s_andn2_b32 s16, s16, exec_lo
	s_and_b32 s74, s74, exec_lo
	s_or_b32 s16, s16, s74
	s_or_b32 exec_lo, exec_lo, s73
	s_and_saveexec_b32 s73, s16
	s_cbranch_execnz .LBB6_3929
	s_branch .LBB6_3930
.LBB6_5047:                             ;   in Loop: Header=BB6_3887 Depth=4
	s_or_saveexec_b32 s73, s73
	v_mov_b32_e32 v86, 0x7f800001
	s_xor_b32 exec_lo, exec_lo, s73
	s_cbranch_execz .LBB6_3934
.LBB6_5048:                             ;   in Loop: Header=BB6_3887 Depth=4
	v_cmp_ne_u16_sdwa s74, v25, v2 src0_sel:BYTE_0 src1_sel:DWORD
	v_mov_b32_e32 v86, 0
	s_andn2_b32 s16, s16, exec_lo
	s_and_b32 s74, s74, exec_lo
	s_or_b32 s16, s16, s74
	s_or_b32 exec_lo, exec_lo, s73
	s_and_saveexec_b32 s73, s16
	s_cbranch_execnz .LBB6_3935
	s_branch .LBB6_3936
.LBB6_5049:                             ;   in Loop: Header=BB6_3887 Depth=4
	s_or_saveexec_b32 s73, s73
	v_mov_b32_e32 v46, 0x7f800001
	s_xor_b32 exec_lo, exec_lo, s73
	s_cbranch_execz .LBB6_3942
.LBB6_5050:                             ;   in Loop: Header=BB6_3887 Depth=4
	v_cmp_ne_u16_sdwa s74, v74, v2 src0_sel:BYTE_0 src1_sel:DWORD
	v_mov_b32_e32 v46, 0
	s_andn2_b32 s16, s16, exec_lo
	s_and_b32 s74, s74, exec_lo
	s_or_b32 s16, s16, s74
	s_or_b32 exec_lo, exec_lo, s73
	s_and_saveexec_b32 s73, s16
	s_cbranch_execnz .LBB6_3943
	s_branch .LBB6_3944
.LBB6_5051:                             ;   in Loop: Header=BB6_3887 Depth=4
	s_or_saveexec_b32 s73, s73
	v_mov_b32_e32 v86, 0x7f800001
	s_xor_b32 exec_lo, exec_lo, s73
	s_cbranch_execz .LBB6_3948
.LBB6_5052:                             ;   in Loop: Header=BB6_3887 Depth=4
	v_cmp_ne_u16_sdwa s74, v25, v2 src0_sel:BYTE_0 src1_sel:DWORD
	v_mov_b32_e32 v86, 0
	s_andn2_b32 s16, s16, exec_lo
	s_and_b32 s74, s74, exec_lo
	s_or_b32 s16, s16, s74
	s_or_b32 exec_lo, exec_lo, s73
	s_and_saveexec_b32 s73, s16
	s_cbranch_execnz .LBB6_3949
	s_branch .LBB6_3950
.LBB6_5053:                             ;   in Loop: Header=BB6_3887 Depth=4
	s_or_saveexec_b32 s73, s73
	v_mov_b32_e32 v46, 0x7f800001
	s_xor_b32 exec_lo, exec_lo, s73
	s_cbranch_execz .LBB6_3964
.LBB6_5054:                             ;   in Loop: Header=BB6_3887 Depth=4
	v_cmp_ne_u16_sdwa s74, v125, v2 src0_sel:BYTE_0 src1_sel:DWORD
	v_mov_b32_e32 v46, 0
	s_andn2_b32 s16, s16, exec_lo
	s_and_b32 s74, s74, exec_lo
	s_or_b32 s16, s16, s74
	s_or_b32 exec_lo, exec_lo, s73
	s_and_saveexec_b32 s73, s16
	s_cbranch_execnz .LBB6_3965
	s_branch .LBB6_3966
.LBB6_5055:                             ;   in Loop: Header=BB6_3887 Depth=4
	s_or_saveexec_b32 s73, s73
	v_mov_b32_e32 v86, 0x7f800001
	s_xor_b32 exec_lo, exec_lo, s73
	s_cbranch_execz .LBB6_3970
.LBB6_5056:                             ;   in Loop: Header=BB6_3887 Depth=4
	v_cmp_ne_u16_sdwa s74, v28, v2 src0_sel:BYTE_0 src1_sel:DWORD
	v_mov_b32_e32 v86, 0
	s_andn2_b32 s16, s16, exec_lo
	s_and_b32 s74, s74, exec_lo
	s_or_b32 s16, s16, s74
	s_or_b32 exec_lo, exec_lo, s73
	s_and_saveexec_b32 s73, s16
	s_cbranch_execnz .LBB6_3971
	s_branch .LBB6_3972
.LBB6_5057:                             ;   in Loop: Header=BB6_3887 Depth=4
	s_or_saveexec_b32 s73, s73
	v_mov_b32_e32 v46, 0x7f800001
	s_xor_b32 exec_lo, exec_lo, s73
	s_cbranch_execz .LBB6_3978
.LBB6_5058:                             ;   in Loop: Header=BB6_3887 Depth=4
	v_cmp_ne_u16_sdwa s74, v125, v2 src0_sel:BYTE_0 src1_sel:DWORD
	v_mov_b32_e32 v46, 0
	s_andn2_b32 s16, s16, exec_lo
	s_and_b32 s74, s74, exec_lo
	s_or_b32 s16, s16, s74
	s_or_b32 exec_lo, exec_lo, s73
	s_and_saveexec_b32 s73, s16
	s_cbranch_execnz .LBB6_3979
	s_branch .LBB6_3980
.LBB6_5059:                             ;   in Loop: Header=BB6_3887 Depth=4
	s_or_saveexec_b32 s73, s73
	v_mov_b32_e32 v86, 0x7f800001
	s_xor_b32 exec_lo, exec_lo, s73
	s_cbranch_execz .LBB6_3984
.LBB6_5060:                             ;   in Loop: Header=BB6_3887 Depth=4
	v_cmp_ne_u16_sdwa s74, v28, v2 src0_sel:BYTE_0 src1_sel:DWORD
	v_mov_b32_e32 v86, 0
	s_andn2_b32 s16, s16, exec_lo
	s_and_b32 s74, s74, exec_lo
	s_or_b32 s16, s16, s74
	s_or_b32 exec_lo, exec_lo, s73
	s_and_saveexec_b32 s73, s16
	s_cbranch_execnz .LBB6_3985
	s_branch .LBB6_3986
.LBB6_5061:                             ;   in Loop: Header=BB6_3887 Depth=4
	s_or_saveexec_b32 s73, s73
	v_mov_b32_e32 v46, 0x7f800001
	s_xor_b32 exec_lo, exec_lo, s73
	s_cbranch_execz .LBB6_4000
.LBB6_5062:                             ;   in Loop: Header=BB6_3887 Depth=4
	v_cmp_ne_u16_sdwa s74, v124, v2 src0_sel:BYTE_0 src1_sel:DWORD
	v_mov_b32_e32 v46, 0
	s_andn2_b32 s16, s16, exec_lo
	s_and_b32 s74, s74, exec_lo
	s_or_b32 s16, s16, s74
	s_or_b32 exec_lo, exec_lo, s73
	s_and_saveexec_b32 s73, s16
	s_cbranch_execnz .LBB6_4001
	s_branch .LBB6_4002
.LBB6_5063:                             ;   in Loop: Header=BB6_3887 Depth=4
	s_or_saveexec_b32 s73, s73
	v_mov_b32_e32 v86, 0x7f800001
	s_xor_b32 exec_lo, exec_lo, s73
	s_cbranch_execz .LBB6_4006
.LBB6_5064:                             ;   in Loop: Header=BB6_3887 Depth=4
	v_cmp_ne_u16_sdwa s74, v32, v2 src0_sel:BYTE_0 src1_sel:DWORD
	v_mov_b32_e32 v86, 0
	s_andn2_b32 s16, s16, exec_lo
	s_and_b32 s74, s74, exec_lo
	s_or_b32 s16, s16, s74
	s_or_b32 exec_lo, exec_lo, s73
	s_and_saveexec_b32 s73, s16
	s_cbranch_execnz .LBB6_4007
	s_branch .LBB6_4008
.LBB6_5065:                             ;   in Loop: Header=BB6_3887 Depth=4
	s_or_saveexec_b32 s73, s73
	v_mov_b32_e32 v46, 0x7f800001
	s_xor_b32 exec_lo, exec_lo, s73
	s_cbranch_execz .LBB6_4014
.LBB6_5066:                             ;   in Loop: Header=BB6_3887 Depth=4
	v_cmp_ne_u16_sdwa s74, v124, v2 src0_sel:BYTE_0 src1_sel:DWORD
	v_mov_b32_e32 v46, 0
	s_andn2_b32 s16, s16, exec_lo
	s_and_b32 s74, s74, exec_lo
	s_or_b32 s16, s16, s74
	s_or_b32 exec_lo, exec_lo, s73
	s_and_saveexec_b32 s73, s16
	s_cbranch_execnz .LBB6_4015
	s_branch .LBB6_4016
.LBB6_5067:                             ;   in Loop: Header=BB6_3887 Depth=4
	s_or_saveexec_b32 s73, s73
	v_mov_b32_e32 v86, 0x7f800001
	s_xor_b32 exec_lo, exec_lo, s73
	s_cbranch_execz .LBB6_4020
.LBB6_5068:                             ;   in Loop: Header=BB6_3887 Depth=4
	v_cmp_ne_u16_sdwa s74, v32, v2 src0_sel:BYTE_0 src1_sel:DWORD
	v_mov_b32_e32 v86, 0
	s_andn2_b32 s16, s16, exec_lo
	s_and_b32 s74, s74, exec_lo
	s_or_b32 s16, s16, s74
	s_or_b32 exec_lo, exec_lo, s73
	s_and_saveexec_b32 s73, s16
	s_cbranch_execnz .LBB6_4021
	s_branch .LBB6_4022
.LBB6_5069:                             ;   in Loop: Header=BB6_3887 Depth=4
	s_or_saveexec_b32 s73, s73
	v_mov_b32_e32 v46, 0x7f800001
	s_xor_b32 exec_lo, exec_lo, s73
	s_cbranch_execz .LBB6_4036
.LBB6_5070:                             ;   in Loop: Header=BB6_3887 Depth=4
	v_cmp_ne_u16_sdwa s74, v88, v2 src0_sel:BYTE_0 src1_sel:DWORD
	v_mov_b32_e32 v46, 0
	s_andn2_b32 s16, s16, exec_lo
	s_and_b32 s74, s74, exec_lo
	s_or_b32 s16, s16, s74
	s_or_b32 exec_lo, exec_lo, s73
	s_and_saveexec_b32 s73, s16
	s_cbranch_execnz .LBB6_4037
	s_branch .LBB6_4038
.LBB6_5071:                             ;   in Loop: Header=BB6_3887 Depth=4
	s_or_saveexec_b32 s73, s73
	v_mov_b32_e32 v86, 0x7f800001
	s_xor_b32 exec_lo, exec_lo, s73
	s_cbranch_execz .LBB6_4042
.LBB6_5072:                             ;   in Loop: Header=BB6_3887 Depth=4
	v_cmp_ne_u16_sdwa s74, v35, v2 src0_sel:BYTE_0 src1_sel:DWORD
	v_mov_b32_e32 v86, 0
	s_andn2_b32 s16, s16, exec_lo
	s_and_b32 s74, s74, exec_lo
	s_or_b32 s16, s16, s74
	s_or_b32 exec_lo, exec_lo, s73
	s_and_saveexec_b32 s73, s16
	s_cbranch_execnz .LBB6_4043
	s_branch .LBB6_4044
.LBB6_5073:                             ;   in Loop: Header=BB6_3887 Depth=4
	s_or_saveexec_b32 s73, s73
	v_mov_b32_e32 v46, 0x7f800001
	s_xor_b32 exec_lo, exec_lo, s73
	s_cbranch_execz .LBB6_4050
.LBB6_5074:                             ;   in Loop: Header=BB6_3887 Depth=4
	v_cmp_ne_u16_sdwa s74, v88, v2 src0_sel:BYTE_0 src1_sel:DWORD
	v_mov_b32_e32 v46, 0
	s_andn2_b32 s16, s16, exec_lo
	s_and_b32 s74, s74, exec_lo
	s_or_b32 s16, s16, s74
	s_or_b32 exec_lo, exec_lo, s73
	s_and_saveexec_b32 s73, s16
	s_cbranch_execnz .LBB6_4051
	s_branch .LBB6_4052
.LBB6_5075:                             ;   in Loop: Header=BB6_3887 Depth=4
	s_or_saveexec_b32 s73, s73
	v_mov_b32_e32 v86, 0x7f800001
	s_xor_b32 exec_lo, exec_lo, s73
	s_cbranch_execz .LBB6_4056
.LBB6_5076:                             ;   in Loop: Header=BB6_3887 Depth=4
	v_cmp_ne_u16_sdwa s74, v35, v2 src0_sel:BYTE_0 src1_sel:DWORD
	v_mov_b32_e32 v86, 0
	s_andn2_b32 s16, s16, exec_lo
	s_and_b32 s74, s74, exec_lo
	s_or_b32 s16, s16, s74
	s_or_b32 exec_lo, exec_lo, s73
	s_and_saveexec_b32 s73, s16
	s_cbranch_execnz .LBB6_4057
	s_branch .LBB6_4058
.LBB6_5077:                             ;   in Loop: Header=BB6_3887 Depth=4
	s_or_saveexec_b32 s73, s73
	v_mov_b32_e32 v46, 0x7f800001
	s_xor_b32 exec_lo, exec_lo, s73
	s_cbranch_execz .LBB6_4072
.LBB6_5078:                             ;   in Loop: Header=BB6_3887 Depth=4
	v_cmp_ne_u16_sdwa s74, v123, v2 src0_sel:BYTE_0 src1_sel:DWORD
	v_mov_b32_e32 v46, 0
	s_andn2_b32 s16, s16, exec_lo
	s_and_b32 s74, s74, exec_lo
	s_or_b32 s16, s16, s74
	s_or_b32 exec_lo, exec_lo, s73
	s_and_saveexec_b32 s73, s16
	s_cbranch_execnz .LBB6_4073
	s_branch .LBB6_4074
.LBB6_5079:                             ;   in Loop: Header=BB6_3887 Depth=4
	s_or_saveexec_b32 s73, s73
	v_mov_b32_e32 v86, 0x7f800001
	s_xor_b32 exec_lo, exec_lo, s73
	s_cbranch_execz .LBB6_4078
.LBB6_5080:                             ;   in Loop: Header=BB6_3887 Depth=4
	v_cmp_ne_u16_sdwa s74, v38, v2 src0_sel:BYTE_0 src1_sel:DWORD
	v_mov_b32_e32 v86, 0
	s_andn2_b32 s16, s16, exec_lo
	s_and_b32 s74, s74, exec_lo
	s_or_b32 s16, s16, s74
	s_or_b32 exec_lo, exec_lo, s73
	s_and_saveexec_b32 s73, s16
	s_cbranch_execnz .LBB6_4079
	s_branch .LBB6_4080
.LBB6_5081:                             ;   in Loop: Header=BB6_3887 Depth=4
	s_or_saveexec_b32 s73, s73
	v_mov_b32_e32 v46, 0x7f800001
	s_xor_b32 exec_lo, exec_lo, s73
	s_cbranch_execz .LBB6_4086
.LBB6_5082:                             ;   in Loop: Header=BB6_3887 Depth=4
	v_cmp_ne_u16_sdwa s74, v123, v2 src0_sel:BYTE_0 src1_sel:DWORD
	v_mov_b32_e32 v46, 0
	s_andn2_b32 s16, s16, exec_lo
	s_and_b32 s74, s74, exec_lo
	s_or_b32 s16, s16, s74
	s_or_b32 exec_lo, exec_lo, s73
	s_and_saveexec_b32 s73, s16
	s_cbranch_execnz .LBB6_4087
	s_branch .LBB6_4088
.LBB6_5083:                             ;   in Loop: Header=BB6_3887 Depth=4
	s_or_saveexec_b32 s73, s73
	v_mov_b32_e32 v86, 0x7f800001
	s_xor_b32 exec_lo, exec_lo, s73
	s_cbranch_execz .LBB6_4092
.LBB6_5084:                             ;   in Loop: Header=BB6_3887 Depth=4
	v_cmp_ne_u16_sdwa s74, v38, v2 src0_sel:BYTE_0 src1_sel:DWORD
	v_mov_b32_e32 v86, 0
	s_andn2_b32 s16, s16, exec_lo
	s_and_b32 s74, s74, exec_lo
	s_or_b32 s16, s16, s74
	s_or_b32 exec_lo, exec_lo, s73
	s_and_saveexec_b32 s73, s16
	s_cbranch_execnz .LBB6_4093
	s_branch .LBB6_4094
.LBB6_5085:                             ;   in Loop: Header=BB6_3887 Depth=4
	s_or_saveexec_b32 s73, s73
	v_mov_b32_e32 v46, 0x7f800001
	s_xor_b32 exec_lo, exec_lo, s73
	s_cbranch_execz .LBB6_4108
.LBB6_5086:                             ;   in Loop: Header=BB6_3887 Depth=4
	v_cmp_ne_u16_sdwa s74, v122, v2 src0_sel:BYTE_0 src1_sel:DWORD
	v_mov_b32_e32 v46, 0
	s_andn2_b32 s16, s16, exec_lo
	s_and_b32 s74, s74, exec_lo
	s_or_b32 s16, s16, s74
	s_or_b32 exec_lo, exec_lo, s73
	s_and_saveexec_b32 s73, s16
	s_cbranch_execnz .LBB6_4109
	s_branch .LBB6_4110
.LBB6_5087:                             ;   in Loop: Header=BB6_3887 Depth=4
	s_or_saveexec_b32 s73, s73
	v_mov_b32_e32 v86, 0x7f800001
	s_xor_b32 exec_lo, exec_lo, s73
	s_cbranch_execz .LBB6_4114
.LBB6_5088:                             ;   in Loop: Header=BB6_3887 Depth=4
	v_cmp_ne_u16_sdwa s74, v49, v2 src0_sel:BYTE_0 src1_sel:DWORD
	v_mov_b32_e32 v86, 0
	s_andn2_b32 s16, s16, exec_lo
	s_and_b32 s74, s74, exec_lo
	s_or_b32 s16, s16, s74
	s_or_b32 exec_lo, exec_lo, s73
	s_and_saveexec_b32 s73, s16
	s_cbranch_execnz .LBB6_4115
	s_branch .LBB6_4116
.LBB6_5089:                             ;   in Loop: Header=BB6_3887 Depth=4
	s_or_saveexec_b32 s73, s73
	v_mov_b32_e32 v46, 0x7f800001
	s_xor_b32 exec_lo, exec_lo, s73
	s_cbranch_execz .LBB6_4122
.LBB6_5090:                             ;   in Loop: Header=BB6_3887 Depth=4
	v_cmp_ne_u16_sdwa s74, v122, v2 src0_sel:BYTE_0 src1_sel:DWORD
	v_mov_b32_e32 v46, 0
	s_andn2_b32 s16, s16, exec_lo
	s_and_b32 s74, s74, exec_lo
	s_or_b32 s16, s16, s74
	s_or_b32 exec_lo, exec_lo, s73
	s_and_saveexec_b32 s73, s16
	s_cbranch_execnz .LBB6_4123
	s_branch .LBB6_4124
.LBB6_5091:                             ;   in Loop: Header=BB6_3887 Depth=4
	s_or_saveexec_b32 s73, s73
	v_mov_b32_e32 v86, 0x7f800001
	s_xor_b32 exec_lo, exec_lo, s73
	s_cbranch_execz .LBB6_4128
.LBB6_5092:                             ;   in Loop: Header=BB6_3887 Depth=4
	v_cmp_ne_u16_sdwa s74, v49, v2 src0_sel:BYTE_0 src1_sel:DWORD
	v_mov_b32_e32 v86, 0
	s_andn2_b32 s16, s16, exec_lo
	s_and_b32 s74, s74, exec_lo
	s_or_b32 s16, s16, s74
	s_or_b32 exec_lo, exec_lo, s73
	s_and_saveexec_b32 s73, s16
	s_cbranch_execnz .LBB6_4129
	s_branch .LBB6_4130
.LBB6_5093:                             ;   in Loop: Header=BB6_3887 Depth=4
	s_or_saveexec_b32 s73, s73
	v_mov_b32_e32 v46, 0x7f800001
	s_xor_b32 exec_lo, exec_lo, s73
	s_cbranch_execz .LBB6_4144
.LBB6_5094:                             ;   in Loop: Header=BB6_3887 Depth=4
	v_cmp_ne_u16_sdwa s74, v121, v2 src0_sel:BYTE_0 src1_sel:DWORD
	v_mov_b32_e32 v46, 0
	s_andn2_b32 s16, s16, exec_lo
	s_and_b32 s74, s74, exec_lo
	s_or_b32 s16, s16, s74
	s_or_b32 exec_lo, exec_lo, s73
	s_and_saveexec_b32 s73, s16
	s_cbranch_execnz .LBB6_4145
	s_branch .LBB6_4146
.LBB6_5095:                             ;   in Loop: Header=BB6_3887 Depth=4
	s_or_saveexec_b32 s73, s73
	v_mov_b32_e32 v86, 0x7f800001
	s_xor_b32 exec_lo, exec_lo, s73
	s_cbranch_execz .LBB6_4150
.LBB6_5096:                             ;   in Loop: Header=BB6_3887 Depth=4
	v_cmp_ne_u16_sdwa s74, v51, v2 src0_sel:BYTE_0 src1_sel:DWORD
	v_mov_b32_e32 v86, 0
	s_andn2_b32 s16, s16, exec_lo
	s_and_b32 s74, s74, exec_lo
	s_or_b32 s16, s16, s74
	s_or_b32 exec_lo, exec_lo, s73
	s_and_saveexec_b32 s73, s16
	s_cbranch_execnz .LBB6_4151
	s_branch .LBB6_4152
.LBB6_5097:                             ;   in Loop: Header=BB6_3887 Depth=4
	s_or_saveexec_b32 s73, s73
	v_mov_b32_e32 v46, 0x7f800001
	s_xor_b32 exec_lo, exec_lo, s73
	s_cbranch_execz .LBB6_4158
.LBB6_5098:                             ;   in Loop: Header=BB6_3887 Depth=4
	v_cmp_ne_u16_sdwa s74, v121, v2 src0_sel:BYTE_0 src1_sel:DWORD
	v_mov_b32_e32 v46, 0
	s_andn2_b32 s16, s16, exec_lo
	s_and_b32 s74, s74, exec_lo
	s_or_b32 s16, s16, s74
	s_or_b32 exec_lo, exec_lo, s73
	s_and_saveexec_b32 s73, s16
	s_cbranch_execnz .LBB6_4159
	s_branch .LBB6_4160
.LBB6_5099:                             ;   in Loop: Header=BB6_3887 Depth=4
	s_or_saveexec_b32 s73, s73
	v_mov_b32_e32 v86, 0x7f800001
	s_xor_b32 exec_lo, exec_lo, s73
	s_cbranch_execz .LBB6_4164
.LBB6_5100:                             ;   in Loop: Header=BB6_3887 Depth=4
	v_cmp_ne_u16_sdwa s74, v51, v2 src0_sel:BYTE_0 src1_sel:DWORD
	v_mov_b32_e32 v86, 0
	s_andn2_b32 s16, s16, exec_lo
	s_and_b32 s74, s74, exec_lo
	s_or_b32 s16, s16, s74
	s_or_b32 exec_lo, exec_lo, s73
	s_and_saveexec_b32 s73, s16
	s_cbranch_execnz .LBB6_4165
	s_branch .LBB6_4166
.LBB6_5101:                             ;   in Loop: Header=BB6_3887 Depth=4
	s_or_saveexec_b32 s73, s73
	v_mov_b32_e32 v46, 0x7f800001
	s_xor_b32 exec_lo, exec_lo, s73
	s_cbranch_execz .LBB6_4180
.LBB6_5102:                             ;   in Loop: Header=BB6_3887 Depth=4
	v_cmp_ne_u16_sdwa s74, v99, v2 src0_sel:BYTE_0 src1_sel:DWORD
	v_mov_b32_e32 v46, 0
	s_andn2_b32 s16, s16, exec_lo
	s_and_b32 s74, s74, exec_lo
	s_or_b32 s16, s16, s74
	s_or_b32 exec_lo, exec_lo, s73
	s_and_saveexec_b32 s73, s16
	s_cbranch_execnz .LBB6_4181
	s_branch .LBB6_4182
.LBB6_5103:                             ;   in Loop: Header=BB6_3887 Depth=4
	s_or_saveexec_b32 s73, s73
	v_mov_b32_e32 v86, 0x7f800001
	s_xor_b32 exec_lo, exec_lo, s73
	s_cbranch_execz .LBB6_4186
.LBB6_5104:                             ;   in Loop: Header=BB6_3887 Depth=4
	v_cmp_ne_u16_sdwa s74, v1, v2 src0_sel:BYTE_0 src1_sel:DWORD
	v_mov_b32_e32 v86, 0
	s_andn2_b32 s16, s16, exec_lo
	s_and_b32 s74, s74, exec_lo
	s_or_b32 s16, s16, s74
	s_or_b32 exec_lo, exec_lo, s73
	s_and_saveexec_b32 s73, s16
	s_cbranch_execnz .LBB6_4187
	s_branch .LBB6_4188
.LBB6_5105:                             ;   in Loop: Header=BB6_3887 Depth=4
	s_or_saveexec_b32 s73, s73
	v_mov_b32_e32 v46, 0x7f800001
	s_xor_b32 exec_lo, exec_lo, s73
	s_cbranch_execz .LBB6_4194
.LBB6_5106:                             ;   in Loop: Header=BB6_3887 Depth=4
	v_cmp_ne_u16_sdwa s74, v99, v2 src0_sel:BYTE_0 src1_sel:DWORD
	v_mov_b32_e32 v46, 0
	s_andn2_b32 s16, s16, exec_lo
	s_and_b32 s74, s74, exec_lo
	s_or_b32 s16, s16, s74
	s_or_b32 exec_lo, exec_lo, s73
	s_and_saveexec_b32 s73, s16
	s_cbranch_execnz .LBB6_4195
	s_branch .LBB6_4196
.LBB6_5107:                             ;   in Loop: Header=BB6_3887 Depth=4
	s_or_saveexec_b32 s73, s73
	v_mov_b32_e32 v86, 0x7f800001
	s_xor_b32 exec_lo, exec_lo, s73
	s_cbranch_execz .LBB6_4200
.LBB6_5108:                             ;   in Loop: Header=BB6_3887 Depth=4
	v_cmp_ne_u16_sdwa s74, v1, v2 src0_sel:BYTE_0 src1_sel:DWORD
	v_mov_b32_e32 v86, 0
	s_andn2_b32 s16, s16, exec_lo
	s_and_b32 s74, s74, exec_lo
	s_or_b32 s16, s16, s74
	s_or_b32 exec_lo, exec_lo, s73
	s_and_saveexec_b32 s73, s16
	s_cbranch_execnz .LBB6_4201
	s_branch .LBB6_4202
.LBB6_5109:                             ;   in Loop: Header=BB6_3887 Depth=4
	s_or_saveexec_b32 s73, s73
	v_mov_b32_e32 v99, 0x7f800001
	s_xor_b32 exec_lo, exec_lo, s73
	s_cbranch_execz .LBB6_4216
.LBB6_5110:                             ;   in Loop: Header=BB6_3887 Depth=4
	v_cmp_ne_u16_sdwa s74, v98, v2 src0_sel:BYTE_0 src1_sel:DWORD
	v_mov_b32_e32 v99, 0
	s_andn2_b32 s16, s16, exec_lo
	s_and_b32 s74, s74, exec_lo
	s_or_b32 s16, s16, s74
	s_or_b32 exec_lo, exec_lo, s73
	s_and_saveexec_b32 s73, s16
	s_cbranch_execnz .LBB6_4217
	s_branch .LBB6_4218
.LBB6_5111:                             ;   in Loop: Header=BB6_3887 Depth=4
	s_or_saveexec_b32 s73, s73
	v_mov_b32_e32 v86, 0x7f800001
	s_xor_b32 exec_lo, exec_lo, s73
	s_cbranch_execz .LBB6_4222
.LBB6_5112:                             ;   in Loop: Header=BB6_3887 Depth=4
	v_cmp_ne_u16_sdwa s74, v82, v2 src0_sel:BYTE_0 src1_sel:DWORD
	v_mov_b32_e32 v86, 0
	s_andn2_b32 s16, s16, exec_lo
	s_and_b32 s74, s74, exec_lo
	s_or_b32 s16, s16, s74
	s_or_b32 exec_lo, exec_lo, s73
	s_and_saveexec_b32 s73, s16
	s_cbranch_execnz .LBB6_4223
	s_branch .LBB6_4224
.LBB6_5113:                             ;   in Loop: Header=BB6_3887 Depth=4
	s_or_saveexec_b32 s73, s73
	v_mov_b32_e32 v99, 0x7f800001
	s_xor_b32 exec_lo, exec_lo, s73
	s_cbranch_execz .LBB6_4230
.LBB6_5114:                             ;   in Loop: Header=BB6_3887 Depth=4
	v_cmp_ne_u16_sdwa s74, v98, v2 src0_sel:BYTE_0 src1_sel:DWORD
	v_mov_b32_e32 v99, 0
	s_andn2_b32 s16, s16, exec_lo
	s_and_b32 s74, s74, exec_lo
	s_or_b32 s16, s16, s74
	s_or_b32 exec_lo, exec_lo, s73
	s_and_saveexec_b32 s73, s16
	s_cbranch_execnz .LBB6_4231
	s_branch .LBB6_4232
.LBB6_5115:                             ;   in Loop: Header=BB6_3887 Depth=4
	s_or_saveexec_b32 s73, s73
	v_mov_b32_e32 v86, 0x7f800001
	s_xor_b32 exec_lo, exec_lo, s73
	s_cbranch_execz .LBB6_4236
.LBB6_5116:                             ;   in Loop: Header=BB6_3887 Depth=4
	v_cmp_ne_u16_sdwa s74, v82, v2 src0_sel:BYTE_0 src1_sel:DWORD
	v_mov_b32_e32 v86, 0
	s_andn2_b32 s16, s16, exec_lo
	s_and_b32 s74, s74, exec_lo
	s_or_b32 s16, s16, s74
	s_or_b32 exec_lo, exec_lo, s73
	s_and_saveexec_b32 s73, s16
	s_cbranch_execnz .LBB6_4237
	s_branch .LBB6_4238
.LBB6_5117:                             ;   in Loop: Header=BB6_3887 Depth=4
	s_or_saveexec_b32 s73, s73
	v_mov_b32_e32 v98, 0x7f800001
	s_xor_b32 exec_lo, exec_lo, s73
	s_cbranch_execz .LBB6_4252
.LBB6_5118:                             ;   in Loop: Header=BB6_3887 Depth=4
	v_cmp_ne_u16_sdwa s74, v120, v2 src0_sel:BYTE_0 src1_sel:DWORD
	v_mov_b32_e32 v98, 0
	s_andn2_b32 s16, s16, exec_lo
	s_and_b32 s74, s74, exec_lo
	s_or_b32 s16, s16, s74
	s_or_b32 exec_lo, exec_lo, s73
	s_and_saveexec_b32 s73, s16
	s_cbranch_execnz .LBB6_4253
	s_branch .LBB6_4254
.LBB6_5119:                             ;   in Loop: Header=BB6_3887 Depth=4
	s_or_saveexec_b32 s73, s73
	v_mov_b32_e32 v86, 0x7f800001
	s_xor_b32 exec_lo, exec_lo, s73
	s_cbranch_execz .LBB6_4258
.LBB6_5120:                             ;   in Loop: Header=BB6_3887 Depth=4
	v_cmp_ne_u16_sdwa s74, v85, v2 src0_sel:BYTE_0 src1_sel:DWORD
	v_mov_b32_e32 v86, 0
	s_andn2_b32 s16, s16, exec_lo
	s_and_b32 s74, s74, exec_lo
	s_or_b32 s16, s16, s74
	s_or_b32 exec_lo, exec_lo, s73
	s_and_saveexec_b32 s73, s16
	s_cbranch_execnz .LBB6_4259
	s_branch .LBB6_4260
.LBB6_5121:                             ;   in Loop: Header=BB6_3887 Depth=4
	s_or_saveexec_b32 s73, s73
	v_mov_b32_e32 v98, 0x7f800001
	s_xor_b32 exec_lo, exec_lo, s73
	s_cbranch_execz .LBB6_4266
.LBB6_5122:                             ;   in Loop: Header=BB6_3887 Depth=4
	v_cmp_ne_u16_sdwa s74, v120, v2 src0_sel:BYTE_0 src1_sel:DWORD
	v_mov_b32_e32 v98, 0
	s_andn2_b32 s16, s16, exec_lo
	s_and_b32 s74, s74, exec_lo
	s_or_b32 s16, s16, s74
	s_or_b32 exec_lo, exec_lo, s73
	s_and_saveexec_b32 s73, s16
	s_cbranch_execnz .LBB6_4267
	s_branch .LBB6_4268
.LBB6_5123:                             ;   in Loop: Header=BB6_3887 Depth=4
	s_or_saveexec_b32 s73, s73
	v_mov_b32_e32 v86, 0x7f800001
	s_xor_b32 exec_lo, exec_lo, s73
	s_cbranch_execz .LBB6_4272
.LBB6_5124:                             ;   in Loop: Header=BB6_3887 Depth=4
	v_cmp_ne_u16_sdwa s74, v85, v2 src0_sel:BYTE_0 src1_sel:DWORD
	v_mov_b32_e32 v86, 0
	s_andn2_b32 s16, s16, exec_lo
	s_and_b32 s74, s74, exec_lo
	s_or_b32 s16, s16, s74
	s_or_b32 exec_lo, exec_lo, s73
	s_and_saveexec_b32 s73, s16
	s_cbranch_execnz .LBB6_4273
	s_branch .LBB6_4274
.LBB6_5125:                             ;   in Loop: Header=BB6_3887 Depth=4
	s_or_saveexec_b32 s73, s73
	v_mov_b32_e32 v98, 0x7f800001
	s_xor_b32 exec_lo, exec_lo, s73
	s_cbranch_execz .LBB6_4288
.LBB6_5126:                             ;   in Loop: Header=BB6_3887 Depth=4
	v_cmp_ne_u16_sdwa s74, v111, v2 src0_sel:BYTE_0 src1_sel:DWORD
	v_mov_b32_e32 v98, 0
	s_andn2_b32 s16, s16, exec_lo
	s_and_b32 s74, s74, exec_lo
	s_or_b32 s16, s16, s74
	s_or_b32 exec_lo, exec_lo, s73
	s_and_saveexec_b32 s73, s16
	s_cbranch_execnz .LBB6_4289
	s_branch .LBB6_4290
.LBB6_5127:                             ;   in Loop: Header=BB6_3887 Depth=4
	s_or_saveexec_b32 s73, s73
	v_mov_b32_e32 v86, 0x7f800001
	s_xor_b32 exec_lo, exec_lo, s73
	s_cbranch_execz .LBB6_4294
.LBB6_5128:                             ;   in Loop: Header=BB6_3887 Depth=4
	v_cmp_ne_u16_sdwa s74, v113, v2 src0_sel:BYTE_0 src1_sel:DWORD
	v_mov_b32_e32 v86, 0
	s_andn2_b32 s16, s16, exec_lo
	s_and_b32 s74, s74, exec_lo
	s_or_b32 s16, s16, s74
	s_or_b32 exec_lo, exec_lo, s73
	s_and_saveexec_b32 s73, s16
	s_cbranch_execnz .LBB6_4295
	s_branch .LBB6_4296
.LBB6_5129:                             ;   in Loop: Header=BB6_3887 Depth=4
	s_or_saveexec_b32 s73, s73
	v_mov_b32_e32 v98, 0x7f800001
	s_xor_b32 exec_lo, exec_lo, s73
	s_cbranch_execz .LBB6_4302
.LBB6_5130:                             ;   in Loop: Header=BB6_3887 Depth=4
	v_cmp_ne_u16_sdwa s74, v111, v2 src0_sel:BYTE_0 src1_sel:DWORD
	v_mov_b32_e32 v98, 0
	s_andn2_b32 s16, s16, exec_lo
	s_and_b32 s74, s74, exec_lo
	s_or_b32 s16, s16, s74
	s_or_b32 exec_lo, exec_lo, s73
	s_and_saveexec_b32 s73, s16
	s_cbranch_execnz .LBB6_4303
	s_branch .LBB6_4304
.LBB6_5131:                             ;   in Loop: Header=BB6_3887 Depth=4
	s_or_saveexec_b32 s73, s73
	v_mov_b32_e32 v86, 0x7f800001
	s_xor_b32 exec_lo, exec_lo, s73
	s_cbranch_execz .LBB6_4308
.LBB6_5132:                             ;   in Loop: Header=BB6_3887 Depth=4
	v_cmp_ne_u16_sdwa s74, v113, v2 src0_sel:BYTE_0 src1_sel:DWORD
	v_mov_b32_e32 v86, 0
	s_andn2_b32 s16, s16, exec_lo
	s_and_b32 s74, s74, exec_lo
	s_or_b32 s16, s16, s74
	s_or_b32 exec_lo, exec_lo, s73
	s_and_saveexec_b32 s73, s16
	s_cbranch_execnz .LBB6_4309
	s_branch .LBB6_4310
.LBB6_5133:                             ;   in Loop: Header=BB6_3887 Depth=4
	s_or_saveexec_b32 s73, s73
	v_mov_b32_e32 v98, 0x7f800001
	s_xor_b32 exec_lo, exec_lo, s73
	s_cbranch_execz .LBB6_4324
.LBB6_5134:                             ;   in Loop: Header=BB6_3887 Depth=4
	v_cmp_ne_u16_sdwa s74, v110, v2 src0_sel:BYTE_0 src1_sel:DWORD
	v_mov_b32_e32 v98, 0
	s_andn2_b32 s16, s16, exec_lo
	s_and_b32 s74, s74, exec_lo
	s_or_b32 s16, s16, s74
	s_or_b32 exec_lo, exec_lo, s73
	s_and_saveexec_b32 s73, s16
	s_cbranch_execnz .LBB6_4325
	s_branch .LBB6_4326
.LBB6_5135:                             ;   in Loop: Header=BB6_3887 Depth=4
	s_or_saveexec_b32 s73, s73
	v_mov_b32_e32 v86, 0x7f800001
	s_xor_b32 exec_lo, exec_lo, s73
	s_cbranch_execz .LBB6_4330
.LBB6_5136:                             ;   in Loop: Header=BB6_3887 Depth=4
	v_cmp_ne_u16_sdwa s74, v116, v2 src0_sel:BYTE_0 src1_sel:DWORD
	v_mov_b32_e32 v86, 0
	s_andn2_b32 s16, s16, exec_lo
	s_and_b32 s74, s74, exec_lo
	s_or_b32 s16, s16, s74
	s_or_b32 exec_lo, exec_lo, s73
	s_and_saveexec_b32 s73, s16
	s_cbranch_execnz .LBB6_4331
	s_branch .LBB6_4332
.LBB6_5137:                             ;   in Loop: Header=BB6_3887 Depth=4
	s_or_saveexec_b32 s73, s73
	v_mov_b32_e32 v98, 0x7f800001
	s_xor_b32 exec_lo, exec_lo, s73
	s_cbranch_execz .LBB6_4338
.LBB6_5138:                             ;   in Loop: Header=BB6_3887 Depth=4
	v_cmp_ne_u16_sdwa s74, v110, v2 src0_sel:BYTE_0 src1_sel:DWORD
	v_mov_b32_e32 v98, 0
	s_andn2_b32 s16, s16, exec_lo
	s_and_b32 s74, s74, exec_lo
	s_or_b32 s16, s16, s74
	s_or_b32 exec_lo, exec_lo, s73
	s_and_saveexec_b32 s73, s16
	s_cbranch_execnz .LBB6_4339
	s_branch .LBB6_4340
.LBB6_5139:                             ;   in Loop: Header=BB6_3887 Depth=4
	s_or_saveexec_b32 s73, s73
	v_mov_b32_e32 v86, 0x7f800001
	s_xor_b32 exec_lo, exec_lo, s73
	s_cbranch_execz .LBB6_4344
.LBB6_5140:                             ;   in Loop: Header=BB6_3887 Depth=4
	v_cmp_ne_u16_sdwa s74, v116, v2 src0_sel:BYTE_0 src1_sel:DWORD
	v_mov_b32_e32 v86, 0
	s_andn2_b32 s16, s16, exec_lo
	s_and_b32 s74, s74, exec_lo
	s_or_b32 s16, s16, s74
	s_or_b32 exec_lo, exec_lo, s73
	s_and_saveexec_b32 s73, s16
	s_cbranch_execnz .LBB6_4345
	s_branch .LBB6_4346
.LBB6_5141:                             ;   in Loop: Header=BB6_3887 Depth=4
	s_or_saveexec_b32 s73, s73
	v_mov_b32_e32 v98, 0x7f800001
	s_xor_b32 exec_lo, exec_lo, s73
	s_cbranch_execz .LBB6_4360
.LBB6_5142:                             ;   in Loop: Header=BB6_3887 Depth=4
	v_cmp_ne_u16_sdwa s74, v57, v2 src0_sel:BYTE_0 src1_sel:DWORD
	v_mov_b32_e32 v98, 0
	s_andn2_b32 s16, s16, exec_lo
	s_and_b32 s74, s74, exec_lo
	s_or_b32 s16, s16, s74
	s_or_b32 exec_lo, exec_lo, s73
	s_and_saveexec_b32 s73, s16
	s_cbranch_execnz .LBB6_4361
	s_branch .LBB6_4362
.LBB6_5143:                             ;   in Loop: Header=BB6_3887 Depth=4
	s_or_saveexec_b32 s73, s73
	v_mov_b32_e32 v86, 0x7f800001
	s_xor_b32 exec_lo, exec_lo, s73
	s_cbranch_execz .LBB6_4366
.LBB6_5144:                             ;   in Loop: Header=BB6_3887 Depth=4
	v_cmp_ne_u16_sdwa s74, v119, v2 src0_sel:BYTE_0 src1_sel:DWORD
	v_mov_b32_e32 v86, 0
	s_andn2_b32 s16, s16, exec_lo
	s_and_b32 s74, s74, exec_lo
	s_or_b32 s16, s16, s74
	s_or_b32 exec_lo, exec_lo, s73
	s_and_saveexec_b32 s73, s16
	s_cbranch_execnz .LBB6_4367
	s_branch .LBB6_4368
.LBB6_5145:                             ;   in Loop: Header=BB6_3887 Depth=4
	s_or_saveexec_b32 s73, s73
	v_mov_b32_e32 v98, 0x7f800001
	s_xor_b32 exec_lo, exec_lo, s73
	s_cbranch_execz .LBB6_4374
.LBB6_5146:                             ;   in Loop: Header=BB6_3887 Depth=4
	v_cmp_ne_u16_sdwa s74, v57, v2 src0_sel:BYTE_0 src1_sel:DWORD
	v_mov_b32_e32 v98, 0
	s_andn2_b32 s16, s16, exec_lo
	s_and_b32 s74, s74, exec_lo
	s_or_b32 s16, s16, s74
	s_or_b32 exec_lo, exec_lo, s73
	s_and_saveexec_b32 s73, s16
	s_cbranch_execnz .LBB6_4375
	s_branch .LBB6_4376
.LBB6_5147:                             ;   in Loop: Header=BB6_3887 Depth=4
	s_or_saveexec_b32 s73, s73
	v_mov_b32_e32 v86, 0x7f800001
	s_xor_b32 exec_lo, exec_lo, s73
	s_cbranch_execz .LBB6_4380
.LBB6_5148:                             ;   in Loop: Header=BB6_3887 Depth=4
	v_cmp_ne_u16_sdwa s74, v119, v2 src0_sel:BYTE_0 src1_sel:DWORD
	v_mov_b32_e32 v86, 0
	s_andn2_b32 s16, s16, exec_lo
	s_and_b32 s74, s74, exec_lo
	s_or_b32 s16, s16, s74
	s_or_b32 exec_lo, exec_lo, s73
	s_and_saveexec_b32 s73, s16
	s_cbranch_execnz .LBB6_4381
	s_branch .LBB6_4382
.LBB6_5149:                             ;   in Loop: Header=BB6_3887 Depth=4
	s_or_saveexec_b32 s73, s73
	v_mov_b32_e32 v98, 0x7f800001
	s_xor_b32 exec_lo, exec_lo, s73
	s_cbranch_execz .LBB6_4396
.LBB6_5150:                             ;   in Loop: Header=BB6_3887 Depth=4
	v_cmp_ne_u16_sdwa s74, v109, v2 src0_sel:BYTE_0 src1_sel:DWORD
	v_mov_b32_e32 v98, 0
	s_andn2_b32 s16, s16, exec_lo
	s_and_b32 s74, s74, exec_lo
	s_or_b32 s16, s16, s74
	s_or_b32 exec_lo, exec_lo, s73
	s_and_saveexec_b32 s73, s16
	s_cbranch_execnz .LBB6_4397
	s_branch .LBB6_4398
.LBB6_5151:                             ;   in Loop: Header=BB6_3887 Depth=4
	s_or_saveexec_b32 s73, s73
	v_mov_b32_e32 v86, 0x7f800001
	s_xor_b32 exec_lo, exec_lo, s73
	s_cbranch_execz .LBB6_4402
.LBB6_5152:                             ;   in Loop: Header=BB6_3887 Depth=4
	v_cmp_ne_u16_sdwa s74, v56, v2 src0_sel:BYTE_0 src1_sel:DWORD
	v_mov_b32_e32 v86, 0
	s_andn2_b32 s16, s16, exec_lo
	s_and_b32 s74, s74, exec_lo
	s_or_b32 s16, s16, s74
	s_or_b32 exec_lo, exec_lo, s73
	s_and_saveexec_b32 s73, s16
	s_cbranch_execnz .LBB6_4403
	s_branch .LBB6_4404
.LBB6_5153:                             ;   in Loop: Header=BB6_3887 Depth=4
	s_or_saveexec_b32 s73, s73
	v_mov_b32_e32 v98, 0x7f800001
	s_xor_b32 exec_lo, exec_lo, s73
	s_cbranch_execz .LBB6_4410
.LBB6_5154:                             ;   in Loop: Header=BB6_3887 Depth=4
	v_cmp_ne_u16_sdwa s74, v109, v2 src0_sel:BYTE_0 src1_sel:DWORD
	v_mov_b32_e32 v98, 0
	s_andn2_b32 s16, s16, exec_lo
	s_and_b32 s74, s74, exec_lo
	s_or_b32 s16, s16, s74
	s_or_b32 exec_lo, exec_lo, s73
	s_and_saveexec_b32 s73, s16
	s_cbranch_execnz .LBB6_4411
	s_branch .LBB6_4412
.LBB6_5155:                             ;   in Loop: Header=BB6_3887 Depth=4
	s_or_saveexec_b32 s73, s73
	v_mov_b32_e32 v86, 0x7f800001
	s_xor_b32 exec_lo, exec_lo, s73
	s_cbranch_execz .LBB6_4416
.LBB6_5156:                             ;   in Loop: Header=BB6_3887 Depth=4
	v_cmp_ne_u16_sdwa s74, v56, v2 src0_sel:BYTE_0 src1_sel:DWORD
	v_mov_b32_e32 v86, 0
	s_andn2_b32 s16, s16, exec_lo
	s_and_b32 s74, s74, exec_lo
	s_or_b32 s16, s16, s74
	s_or_b32 exec_lo, exec_lo, s73
	s_and_saveexec_b32 s73, s16
	s_cbranch_execnz .LBB6_4417
	s_branch .LBB6_4418
.LBB6_5157:                             ;   in Loop: Header=BB6_3887 Depth=4
	s_or_saveexec_b32 s73, s73
	v_mov_b32_e32 v98, 0x7f800001
	s_xor_b32 exec_lo, exec_lo, s73
	s_cbranch_execz .LBB6_4432
.LBB6_5158:                             ;   in Loop: Header=BB6_3887 Depth=4
	v_cmp_ne_u16_sdwa s74, v108, v2 src0_sel:BYTE_0 src1_sel:DWORD
	v_mov_b32_e32 v98, 0
	s_andn2_b32 s16, s16, exec_lo
	s_and_b32 s74, s74, exec_lo
	s_or_b32 s16, s16, s74
	s_or_b32 exec_lo, exec_lo, s73
	s_and_saveexec_b32 s73, s16
	s_cbranch_execnz .LBB6_4433
	s_branch .LBB6_4434
.LBB6_5159:                             ;   in Loop: Header=BB6_3887 Depth=4
	s_or_saveexec_b32 s73, s73
	v_mov_b32_e32 v86, 0x7f800001
	s_xor_b32 exec_lo, exec_lo, s73
	s_cbranch_execz .LBB6_4438
.LBB6_5160:                             ;   in Loop: Header=BB6_3887 Depth=4
	v_cmp_ne_u16_sdwa s74, v107, v2 src0_sel:BYTE_0 src1_sel:DWORD
	v_mov_b32_e32 v86, 0
	s_andn2_b32 s16, s16, exec_lo
	s_and_b32 s74, s74, exec_lo
	s_or_b32 s16, s16, s74
	s_or_b32 exec_lo, exec_lo, s73
	s_and_saveexec_b32 s73, s16
	s_cbranch_execnz .LBB6_4439
	s_branch .LBB6_4440
.LBB6_5161:                             ;   in Loop: Header=BB6_3887 Depth=4
	s_or_saveexec_b32 s73, s73
	v_mov_b32_e32 v98, 0x7f800001
	s_xor_b32 exec_lo, exec_lo, s73
	s_cbranch_execz .LBB6_4446
.LBB6_5162:                             ;   in Loop: Header=BB6_3887 Depth=4
	v_cmp_ne_u16_sdwa s74, v108, v2 src0_sel:BYTE_0 src1_sel:DWORD
	v_mov_b32_e32 v98, 0
	s_andn2_b32 s16, s16, exec_lo
	s_and_b32 s74, s74, exec_lo
	s_or_b32 s16, s16, s74
	s_or_b32 exec_lo, exec_lo, s73
	s_and_saveexec_b32 s73, s16
	s_cbranch_execnz .LBB6_4447
	s_branch .LBB6_4448
.LBB6_5163:                             ;   in Loop: Header=BB6_3887 Depth=4
	s_or_saveexec_b32 s73, s73
	v_mov_b32_e32 v86, 0x7f800001
	s_xor_b32 exec_lo, exec_lo, s73
	s_cbranch_execz .LBB6_4452
.LBB6_5164:                             ;   in Loop: Header=BB6_3887 Depth=4
	v_cmp_ne_u16_sdwa s74, v107, v2 src0_sel:BYTE_0 src1_sel:DWORD
	v_mov_b32_e32 v86, 0
	s_andn2_b32 s16, s16, exec_lo
	s_and_b32 s74, s74, exec_lo
	s_or_b32 s16, s16, s74
	s_or_b32 exec_lo, exec_lo, s73
	s_and_saveexec_b32 s73, s16
	s_cbranch_execnz .LBB6_4453
	s_branch .LBB6_4454
.LBB6_5165:                             ;   in Loop: Header=BB6_3887 Depth=4
	s_or_saveexec_b32 s73, s73
	v_mov_b32_e32 v98, 0x7f800001
	s_xor_b32 exec_lo, exec_lo, s73
	s_cbranch_execz .LBB6_4468
.LBB6_5166:                             ;   in Loop: Header=BB6_3887 Depth=4
	v_cmp_ne_u16_sdwa s74, v41, v2 src0_sel:BYTE_0 src1_sel:DWORD
	v_mov_b32_e32 v98, 0
	s_andn2_b32 s16, s16, exec_lo
	s_and_b32 s74, s74, exec_lo
	s_or_b32 s16, s16, s74
	s_or_b32 exec_lo, exec_lo, s73
	s_and_saveexec_b32 s73, s16
	s_cbranch_execnz .LBB6_4469
	s_branch .LBB6_4470
.LBB6_5167:                             ;   in Loop: Header=BB6_3887 Depth=4
	s_or_saveexec_b32 s73, s73
	v_mov_b32_e32 v86, 0x7f800001
	s_xor_b32 exec_lo, exec_lo, s73
	s_cbranch_execz .LBB6_4474
.LBB6_5168:                             ;   in Loop: Header=BB6_3887 Depth=4
	v_cmp_ne_u16_sdwa s74, v40, v2 src0_sel:BYTE_0 src1_sel:DWORD
	v_mov_b32_e32 v86, 0
	s_andn2_b32 s16, s16, exec_lo
	s_and_b32 s74, s74, exec_lo
	s_or_b32 s16, s16, s74
	s_or_b32 exec_lo, exec_lo, s73
	s_and_saveexec_b32 s73, s16
	s_cbranch_execnz .LBB6_4475
	s_branch .LBB6_4476
.LBB6_5169:                             ;   in Loop: Header=BB6_3887 Depth=4
	s_or_saveexec_b32 s73, s73
	v_mov_b32_e32 v98, 0x7f800001
	s_xor_b32 exec_lo, exec_lo, s73
	s_cbranch_execz .LBB6_4482
.LBB6_5170:                             ;   in Loop: Header=BB6_3887 Depth=4
	v_cmp_ne_u16_sdwa s74, v41, v2 src0_sel:BYTE_0 src1_sel:DWORD
	v_mov_b32_e32 v98, 0
	s_andn2_b32 s16, s16, exec_lo
	s_and_b32 s74, s74, exec_lo
	s_or_b32 s16, s16, s74
	s_or_b32 exec_lo, exec_lo, s73
	s_and_saveexec_b32 s73, s16
	s_cbranch_execnz .LBB6_4483
	s_branch .LBB6_4484
.LBB6_5171:                             ;   in Loop: Header=BB6_3887 Depth=4
	s_or_saveexec_b32 s73, s73
	v_mov_b32_e32 v86, 0x7f800001
	s_xor_b32 exec_lo, exec_lo, s73
	s_cbranch_execz .LBB6_4488
.LBB6_5172:                             ;   in Loop: Header=BB6_3887 Depth=4
	v_cmp_ne_u16_sdwa s74, v40, v2 src0_sel:BYTE_0 src1_sel:DWORD
	v_mov_b32_e32 v86, 0
	s_andn2_b32 s16, s16, exec_lo
	s_and_b32 s74, s74, exec_lo
	s_or_b32 s16, s16, s74
	s_or_b32 exec_lo, exec_lo, s73
	s_and_saveexec_b32 s73, s16
	s_cbranch_execnz .LBB6_4489
	s_branch .LBB6_4490
.LBB6_5173:                             ;   in Loop: Header=BB6_3887 Depth=4
	s_or_saveexec_b32 s73, s73
	v_mov_b32_e32 v98, 0x7f800001
	s_xor_b32 exec_lo, exec_lo, s73
	s_cbranch_execz .LBB6_4504
.LBB6_5174:                             ;   in Loop: Header=BB6_3887 Depth=4
	v_cmp_ne_u16_sdwa s74, v118, v2 src0_sel:BYTE_0 src1_sel:DWORD
	v_mov_b32_e32 v98, 0
	s_andn2_b32 s16, s16, exec_lo
	s_and_b32 s74, s74, exec_lo
	s_or_b32 s16, s16, s74
	s_or_b32 exec_lo, exec_lo, s73
	s_and_saveexec_b32 s73, s16
	s_cbranch_execnz .LBB6_4505
	s_branch .LBB6_4506
.LBB6_5175:                             ;   in Loop: Header=BB6_3887 Depth=4
	s_or_saveexec_b32 s73, s73
	v_mov_b32_e32 v86, 0x7f800001
	s_xor_b32 exec_lo, exec_lo, s73
	s_cbranch_execz .LBB6_4510
.LBB6_5176:                             ;   in Loop: Header=BB6_3887 Depth=4
	v_cmp_ne_u16_sdwa s74, v117, v2 src0_sel:BYTE_0 src1_sel:DWORD
	v_mov_b32_e32 v86, 0
	s_andn2_b32 s16, s16, exec_lo
	s_and_b32 s74, s74, exec_lo
	s_or_b32 s16, s16, s74
	s_or_b32 exec_lo, exec_lo, s73
	s_and_saveexec_b32 s73, s16
	s_cbranch_execnz .LBB6_4511
	s_branch .LBB6_4512
.LBB6_5177:                             ;   in Loop: Header=BB6_3887 Depth=4
	s_or_saveexec_b32 s73, s73
	v_mov_b32_e32 v98, 0x7f800001
	s_xor_b32 exec_lo, exec_lo, s73
	s_cbranch_execz .LBB6_4518
.LBB6_5178:                             ;   in Loop: Header=BB6_3887 Depth=4
	v_cmp_ne_u16_sdwa s74, v118, v2 src0_sel:BYTE_0 src1_sel:DWORD
	v_mov_b32_e32 v98, 0
	s_andn2_b32 s16, s16, exec_lo
	s_and_b32 s74, s74, exec_lo
	s_or_b32 s16, s16, s74
	s_or_b32 exec_lo, exec_lo, s73
	s_and_saveexec_b32 s73, s16
	s_cbranch_execnz .LBB6_4519
	s_branch .LBB6_4520
.LBB6_5179:                             ;   in Loop: Header=BB6_3887 Depth=4
	s_or_saveexec_b32 s73, s73
	v_mov_b32_e32 v86, 0x7f800001
	s_xor_b32 exec_lo, exec_lo, s73
	s_cbranch_execz .LBB6_4524
.LBB6_5180:                             ;   in Loop: Header=BB6_3887 Depth=4
	v_cmp_ne_u16_sdwa s74, v117, v2 src0_sel:BYTE_0 src1_sel:DWORD
	v_mov_b32_e32 v86, 0
	s_andn2_b32 s16, s16, exec_lo
	s_and_b32 s74, s74, exec_lo
	s_or_b32 s16, s16, s74
	s_or_b32 exec_lo, exec_lo, s73
	s_and_saveexec_b32 s73, s16
	s_cbranch_execnz .LBB6_4525
	s_branch .LBB6_4526
.LBB6_5181:                             ;   in Loop: Header=BB6_3887 Depth=4
	s_or_saveexec_b32 s73, s73
	v_mov_b32_e32 v98, 0x7f800001
	s_xor_b32 exec_lo, exec_lo, s73
	s_cbranch_execz .LBB6_4540
.LBB6_5182:                             ;   in Loop: Header=BB6_3887 Depth=4
	v_cmp_ne_u16_sdwa s74, v115, v2 src0_sel:BYTE_0 src1_sel:DWORD
	v_mov_b32_e32 v98, 0
	s_andn2_b32 s16, s16, exec_lo
	s_and_b32 s74, s74, exec_lo
	s_or_b32 s16, s16, s74
	s_or_b32 exec_lo, exec_lo, s73
	s_and_saveexec_b32 s73, s16
	s_cbranch_execnz .LBB6_4541
	s_branch .LBB6_4542
.LBB6_5183:                             ;   in Loop: Header=BB6_3887 Depth=4
	s_or_saveexec_b32 s73, s73
	v_mov_b32_e32 v86, 0x7f800001
	s_xor_b32 exec_lo, exec_lo, s73
	s_cbranch_execz .LBB6_4546
.LBB6_5184:                             ;   in Loop: Header=BB6_3887 Depth=4
	v_cmp_ne_u16_sdwa s74, v114, v2 src0_sel:BYTE_0 src1_sel:DWORD
	v_mov_b32_e32 v86, 0
	s_andn2_b32 s16, s16, exec_lo
	s_and_b32 s74, s74, exec_lo
	s_or_b32 s16, s16, s74
	s_or_b32 exec_lo, exec_lo, s73
	s_and_saveexec_b32 s73, s16
	s_cbranch_execnz .LBB6_4547
	s_branch .LBB6_4548
.LBB6_5185:                             ;   in Loop: Header=BB6_3887 Depth=4
	s_or_saveexec_b32 s73, s73
	v_mov_b32_e32 v98, 0x7f800001
	s_xor_b32 exec_lo, exec_lo, s73
	s_cbranch_execz .LBB6_4554
.LBB6_5186:                             ;   in Loop: Header=BB6_3887 Depth=4
	v_cmp_ne_u16_sdwa s74, v115, v2 src0_sel:BYTE_0 src1_sel:DWORD
	v_mov_b32_e32 v98, 0
	s_andn2_b32 s16, s16, exec_lo
	s_and_b32 s74, s74, exec_lo
	s_or_b32 s16, s16, s74
	s_or_b32 exec_lo, exec_lo, s73
	s_and_saveexec_b32 s73, s16
	s_cbranch_execnz .LBB6_4555
	s_branch .LBB6_4556
.LBB6_5187:                             ;   in Loop: Header=BB6_3887 Depth=4
	s_or_saveexec_b32 s73, s73
	v_mov_b32_e32 v86, 0x7f800001
	s_xor_b32 exec_lo, exec_lo, s73
	s_cbranch_execz .LBB6_4560
.LBB6_5188:                             ;   in Loop: Header=BB6_3887 Depth=4
	v_cmp_ne_u16_sdwa s74, v114, v2 src0_sel:BYTE_0 src1_sel:DWORD
	v_mov_b32_e32 v86, 0
	s_andn2_b32 s16, s16, exec_lo
	s_and_b32 s74, s74, exec_lo
	s_or_b32 s16, s16, s74
	s_or_b32 exec_lo, exec_lo, s73
	s_and_saveexec_b32 s73, s16
	s_cbranch_execnz .LBB6_4561
	s_branch .LBB6_4562
.LBB6_5189:                             ;   in Loop: Header=BB6_3887 Depth=4
	s_or_saveexec_b32 s73, s73
	v_mov_b32_e32 v98, 0x7f800001
	s_xor_b32 exec_lo, exec_lo, s73
	s_cbranch_execz .LBB6_4576
.LBB6_5190:                             ;   in Loop: Header=BB6_3887 Depth=4
	v_cmp_ne_u16_sdwa s74, v112, v2 src0_sel:BYTE_0 src1_sel:DWORD
	v_mov_b32_e32 v98, 0
	s_andn2_b32 s16, s16, exec_lo
	s_and_b32 s74, s74, exec_lo
	s_or_b32 s16, s16, s74
	s_or_b32 exec_lo, exec_lo, s73
	s_and_saveexec_b32 s73, s16
	s_cbranch_execnz .LBB6_4577
	s_branch .LBB6_4578
.LBB6_5191:                             ;   in Loop: Header=BB6_3887 Depth=4
	s_or_saveexec_b32 s73, s73
	v_mov_b32_e32 v86, 0x7f800001
	s_xor_b32 exec_lo, exec_lo, s73
	s_cbranch_execz .LBB6_4582
.LBB6_5192:                             ;   in Loop: Header=BB6_3887 Depth=4
	v_cmp_ne_u16_sdwa s74, v101, v2 src0_sel:BYTE_0 src1_sel:DWORD
	v_mov_b32_e32 v86, 0
	s_andn2_b32 s16, s16, exec_lo
	s_and_b32 s74, s74, exec_lo
	s_or_b32 s16, s16, s74
	s_or_b32 exec_lo, exec_lo, s73
	s_and_saveexec_b32 s73, s16
	s_cbranch_execnz .LBB6_4583
	s_branch .LBB6_4584
.LBB6_5193:                             ;   in Loop: Header=BB6_3887 Depth=4
	s_or_saveexec_b32 s73, s73
	v_mov_b32_e32 v98, 0x7f800001
	s_xor_b32 exec_lo, exec_lo, s73
	s_cbranch_execz .LBB6_4590
.LBB6_5194:                             ;   in Loop: Header=BB6_3887 Depth=4
	v_cmp_ne_u16_sdwa s74, v112, v2 src0_sel:BYTE_0 src1_sel:DWORD
	v_mov_b32_e32 v98, 0
	s_andn2_b32 s16, s16, exec_lo
	s_and_b32 s74, s74, exec_lo
	s_or_b32 s16, s16, s74
	s_or_b32 exec_lo, exec_lo, s73
	s_and_saveexec_b32 s73, s16
	s_cbranch_execnz .LBB6_4591
	s_branch .LBB6_4592
.LBB6_5195:                             ;   in Loop: Header=BB6_3887 Depth=4
	s_or_saveexec_b32 s73, s73
	v_mov_b32_e32 v86, 0x7f800001
	s_xor_b32 exec_lo, exec_lo, s73
	s_cbranch_execz .LBB6_4596
.LBB6_5196:                             ;   in Loop: Header=BB6_3887 Depth=4
	v_cmp_ne_u16_sdwa s74, v101, v2 src0_sel:BYTE_0 src1_sel:DWORD
	v_mov_b32_e32 v86, 0
	s_andn2_b32 s16, s16, exec_lo
	s_and_b32 s74, s74, exec_lo
	s_or_b32 s16, s16, s74
	s_or_b32 exec_lo, exec_lo, s73
	s_and_saveexec_b32 s73, s16
	s_cbranch_execnz .LBB6_4597
	s_branch .LBB6_4598
.LBB6_5197:                             ;   in Loop: Header=BB6_3887 Depth=4
	s_or_saveexec_b32 s73, s73
	v_mov_b32_e32 v98, 0x7f800001
	s_xor_b32 exec_lo, exec_lo, s73
	s_cbranch_execz .LBB6_4612
.LBB6_5198:                             ;   in Loop: Header=BB6_3887 Depth=4
	v_cmp_ne_u16_sdwa s74, v84, v2 src0_sel:BYTE_0 src1_sel:DWORD
	v_mov_b32_e32 v98, 0
	s_andn2_b32 s16, s16, exec_lo
	s_and_b32 s74, s74, exec_lo
	s_or_b32 s16, s16, s74
	s_or_b32 exec_lo, exec_lo, s73
	s_and_saveexec_b32 s73, s16
	s_cbranch_execnz .LBB6_4613
	s_branch .LBB6_4614
.LBB6_5199:                             ;   in Loop: Header=BB6_3887 Depth=4
	s_or_saveexec_b32 s73, s73
	v_mov_b32_e32 v86, 0x7f800001
	s_xor_b32 exec_lo, exec_lo, s73
	s_cbranch_execz .LBB6_4618
.LBB6_5200:                             ;   in Loop: Header=BB6_3887 Depth=4
	v_cmp_ne_u16_sdwa s74, v83, v2 src0_sel:BYTE_0 src1_sel:DWORD
	v_mov_b32_e32 v86, 0
	s_andn2_b32 s16, s16, exec_lo
	s_and_b32 s74, s74, exec_lo
	s_or_b32 s16, s16, s74
	s_or_b32 exec_lo, exec_lo, s73
	s_and_saveexec_b32 s73, s16
	s_cbranch_execnz .LBB6_4619
	s_branch .LBB6_4620
.LBB6_5201:                             ;   in Loop: Header=BB6_3887 Depth=4
	s_or_saveexec_b32 s73, s73
	v_mov_b32_e32 v98, 0x7f800001
	s_xor_b32 exec_lo, exec_lo, s73
	s_cbranch_execz .LBB6_4626
.LBB6_5202:                             ;   in Loop: Header=BB6_3887 Depth=4
	v_cmp_ne_u16_sdwa s74, v84, v2 src0_sel:BYTE_0 src1_sel:DWORD
	v_mov_b32_e32 v98, 0
	s_andn2_b32 s16, s16, exec_lo
	s_and_b32 s74, s74, exec_lo
	s_or_b32 s16, s16, s74
	s_or_b32 exec_lo, exec_lo, s73
	s_and_saveexec_b32 s73, s16
	s_cbranch_execnz .LBB6_4627
	s_branch .LBB6_4628
.LBB6_5203:                             ;   in Loop: Header=BB6_3887 Depth=4
	s_or_saveexec_b32 s73, s73
	v_mov_b32_e32 v84, 0x7f800001
	s_xor_b32 exec_lo, exec_lo, s73
	s_cbranch_execz .LBB6_4632
.LBB6_5204:                             ;   in Loop: Header=BB6_3887 Depth=4
	v_cmp_ne_u16_sdwa s74, v83, v2 src0_sel:BYTE_0 src1_sel:DWORD
	v_mov_b32_e32 v84, 0
	s_andn2_b32 s16, s16, exec_lo
	s_and_b32 s74, s74, exec_lo
	s_or_b32 s16, s16, s74
	s_or_b32 exec_lo, exec_lo, s73
	s_and_saveexec_b32 s73, s16
	s_cbranch_execnz .LBB6_4633
	s_branch .LBB6_4634
.LBB6_5205:                             ;   in Loop: Header=BB6_3887 Depth=4
	s_or_saveexec_b32 s73, s73
	v_mov_b32_e32 v84, 0x7f800001
	s_xor_b32 exec_lo, exec_lo, s73
	s_cbranch_execz .LBB6_4648
.LBB6_5206:                             ;   in Loop: Header=BB6_3887 Depth=4
	v_cmp_ne_u16_sdwa s74, v55, v2 src0_sel:BYTE_0 src1_sel:DWORD
	v_mov_b32_e32 v84, 0
	s_andn2_b32 s16, s16, exec_lo
	s_and_b32 s74, s74, exec_lo
	s_or_b32 s16, s16, s74
	s_or_b32 exec_lo, exec_lo, s73
	s_and_saveexec_b32 s73, s16
	s_cbranch_execnz .LBB6_4649
	s_branch .LBB6_4650
.LBB6_5207:                             ;   in Loop: Header=BB6_3887 Depth=4
	s_or_saveexec_b32 s73, s73
	v_mov_b32_e32 v86, 0x7f800001
	s_xor_b32 exec_lo, exec_lo, s73
	s_cbranch_execz .LBB6_4654
.LBB6_5208:                             ;   in Loop: Header=BB6_3887 Depth=4
	v_cmp_ne_u16_sdwa s74, v54, v2 src0_sel:BYTE_0 src1_sel:DWORD
	v_mov_b32_e32 v86, 0
	s_andn2_b32 s16, s16, exec_lo
	s_and_b32 s74, s74, exec_lo
	s_or_b32 s16, s16, s74
	s_or_b32 exec_lo, exec_lo, s73
	s_and_saveexec_b32 s73, s16
	s_cbranch_execnz .LBB6_4655
	s_branch .LBB6_4656
.LBB6_5209:                             ;   in Loop: Header=BB6_3887 Depth=4
	s_or_saveexec_b32 s73, s73
	v_mov_b32_e32 v84, 0x7f800001
	s_xor_b32 exec_lo, exec_lo, s73
	s_cbranch_execz .LBB6_4662
.LBB6_5210:                             ;   in Loop: Header=BB6_3887 Depth=4
	v_cmp_ne_u16_sdwa s74, v55, v2 src0_sel:BYTE_0 src1_sel:DWORD
	v_mov_b32_e32 v84, 0
	s_andn2_b32 s16, s16, exec_lo
	s_and_b32 s74, s74, exec_lo
	s_or_b32 s16, s16, s74
	s_or_b32 exec_lo, exec_lo, s73
	s_and_saveexec_b32 s73, s16
	s_cbranch_execnz .LBB6_4663
	s_branch .LBB6_4664
.LBB6_5211:                             ;   in Loop: Header=BB6_3887 Depth=4
	s_or_saveexec_b32 s73, s73
	v_mov_b32_e32 v55, 0x7f800001
	s_xor_b32 exec_lo, exec_lo, s73
	s_cbranch_execz .LBB6_4668
.LBB6_5212:                             ;   in Loop: Header=BB6_3887 Depth=4
	v_cmp_ne_u16_sdwa s74, v54, v2 src0_sel:BYTE_0 src1_sel:DWORD
	v_mov_b32_e32 v55, 0
	s_andn2_b32 s16, s16, exec_lo
	s_and_b32 s74, s74, exec_lo
	s_or_b32 s16, s16, s74
	s_or_b32 exec_lo, exec_lo, s73
	s_and_saveexec_b32 s73, s16
	s_cbranch_execnz .LBB6_4669
	s_branch .LBB6_4670
.LBB6_5213:                             ;   in Loop: Header=BB6_3887 Depth=4
	s_or_saveexec_b32 s73, s73
	v_mov_b32_e32 v55, 0x7f800001
	s_xor_b32 exec_lo, exec_lo, s73
	s_cbranch_execz .LBB6_4684
.LBB6_5214:                             ;   in Loop: Header=BB6_3887 Depth=4
	v_cmp_ne_u16_sdwa s74, v53, v2 src0_sel:BYTE_0 src1_sel:DWORD
	v_mov_b32_e32 v55, 0
	s_andn2_b32 s16, s16, exec_lo
	s_and_b32 s74, s74, exec_lo
	s_or_b32 s16, s16, s74
	s_or_b32 exec_lo, exec_lo, s73
	s_and_saveexec_b32 s73, s16
	s_cbranch_execnz .LBB6_4685
	s_branch .LBB6_4686
.LBB6_5215:                             ;   in Loop: Header=BB6_3887 Depth=4
	s_or_saveexec_b32 s73, s73
	v_mov_b32_e32 v84, 0x7f800001
	s_xor_b32 exec_lo, exec_lo, s73
	s_cbranch_execz .LBB6_4690
.LBB6_5216:                             ;   in Loop: Header=BB6_3887 Depth=4
	v_cmp_ne_u16_sdwa s74, v52, v2 src0_sel:BYTE_0 src1_sel:DWORD
	v_mov_b32_e32 v84, 0
	s_andn2_b32 s16, s16, exec_lo
	s_and_b32 s74, s74, exec_lo
	s_or_b32 s16, s16, s74
	s_or_b32 exec_lo, exec_lo, s73
	s_and_saveexec_b32 s73, s16
	s_cbranch_execnz .LBB6_4691
	s_branch .LBB6_4692
.LBB6_5217:                             ;   in Loop: Header=BB6_3887 Depth=4
	s_or_saveexec_b32 s73, s73
	v_mov_b32_e32 v55, 0x7f800001
	s_xor_b32 exec_lo, exec_lo, s73
	s_cbranch_execz .LBB6_4698
.LBB6_5218:                             ;   in Loop: Header=BB6_3887 Depth=4
	v_cmp_ne_u16_sdwa s74, v53, v2 src0_sel:BYTE_0 src1_sel:DWORD
	v_mov_b32_e32 v55, 0
	s_andn2_b32 s16, s16, exec_lo
	s_and_b32 s74, s74, exec_lo
	s_or_b32 s16, s16, s74
	s_or_b32 exec_lo, exec_lo, s73
	s_and_saveexec_b32 s73, s16
	s_cbranch_execnz .LBB6_4699
	s_branch .LBB6_4700
.LBB6_5219:                             ;   in Loop: Header=BB6_3887 Depth=4
	s_or_saveexec_b32 s73, s73
	v_mov_b32_e32 v53, 0x7f800001
	s_xor_b32 exec_lo, exec_lo, s73
	s_cbranch_execz .LBB6_4704
.LBB6_5220:                             ;   in Loop: Header=BB6_3887 Depth=4
	v_cmp_ne_u16_sdwa s74, v52, v2 src0_sel:BYTE_0 src1_sel:DWORD
	v_mov_b32_e32 v53, 0
	s_andn2_b32 s16, s16, exec_lo
	s_and_b32 s74, s74, exec_lo
	s_or_b32 s16, s16, s74
	s_or_b32 exec_lo, exec_lo, s73
	s_and_saveexec_b32 s73, s16
	s_cbranch_execnz .LBB6_4705
	s_branch .LBB6_4706
.LBB6_5221:                             ;   in Loop: Header=BB6_3887 Depth=4
	s_or_saveexec_b32 s73, s73
	v_mov_b32_e32 v53, 0x7f800001
	s_xor_b32 exec_lo, exec_lo, s73
	s_cbranch_execz .LBB6_4720
.LBB6_5222:                             ;   in Loop: Header=BB6_3887 Depth=4
	v_cmp_ne_u16_sdwa s74, v50, v2 src0_sel:BYTE_0 src1_sel:DWORD
	v_mov_b32_e32 v53, 0
	s_andn2_b32 s16, s16, exec_lo
	s_and_b32 s74, s74, exec_lo
	s_or_b32 s16, s16, s74
	s_or_b32 exec_lo, exec_lo, s73
	s_and_saveexec_b32 s73, s16
	s_cbranch_execnz .LBB6_4721
	s_branch .LBB6_4722
.LBB6_5223:                             ;   in Loop: Header=BB6_3887 Depth=4
	s_or_saveexec_b32 s73, s73
	v_mov_b32_e32 v55, 0x7f800001
	s_xor_b32 exec_lo, exec_lo, s73
	s_cbranch_execz .LBB6_4726
.LBB6_5224:                             ;   in Loop: Header=BB6_3887 Depth=4
	v_cmp_ne_u16_sdwa s74, v31, v2 src0_sel:BYTE_0 src1_sel:DWORD
	v_mov_b32_e32 v55, 0
	s_andn2_b32 s16, s16, exec_lo
	s_and_b32 s74, s74, exec_lo
	s_or_b32 s16, s16, s74
	s_or_b32 exec_lo, exec_lo, s73
	s_and_saveexec_b32 s73, s16
	s_cbranch_execnz .LBB6_4727
	s_branch .LBB6_4728
.LBB6_5225:                             ;   in Loop: Header=BB6_3887 Depth=4
	s_or_saveexec_b32 s73, s73
	v_mov_b32_e32 v53, 0x7f800001
	s_xor_b32 exec_lo, exec_lo, s73
	s_cbranch_execz .LBB6_4734
.LBB6_5226:                             ;   in Loop: Header=BB6_3887 Depth=4
	v_cmp_ne_u16_sdwa s74, v50, v2 src0_sel:BYTE_0 src1_sel:DWORD
	v_mov_b32_e32 v53, 0
	s_andn2_b32 s16, s16, exec_lo
	s_and_b32 s74, s74, exec_lo
	s_or_b32 s16, s16, s74
	s_or_b32 exec_lo, exec_lo, s73
	s_and_saveexec_b32 s73, s16
	s_cbranch_execnz .LBB6_4735
	s_branch .LBB6_4736
.LBB6_5227:                             ;   in Loop: Header=BB6_3887 Depth=4
	s_or_saveexec_b32 s73, s73
	v_mov_b32_e32 v50, 0x7f800001
	s_xor_b32 exec_lo, exec_lo, s73
	s_cbranch_execz .LBB6_4740
.LBB6_5228:                             ;   in Loop: Header=BB6_3887 Depth=4
	v_cmp_ne_u16_sdwa s74, v31, v2 src0_sel:BYTE_0 src1_sel:DWORD
	v_mov_b32_e32 v50, 0
	s_andn2_b32 s16, s16, exec_lo
	s_and_b32 s74, s74, exec_lo
	s_or_b32 s16, s16, s74
	s_or_b32 exec_lo, exec_lo, s73
	s_and_saveexec_b32 s73, s16
	s_cbranch_execnz .LBB6_4741
	s_branch .LBB6_4742
.LBB6_5229:                             ;   in Loop: Header=BB6_3887 Depth=4
	s_or_saveexec_b32 s73, s73
	v_mov_b32_e32 v50, 0x7f800001
	s_xor_b32 exec_lo, exec_lo, s73
	s_cbranch_execz .LBB6_4756
.LBB6_5230:                             ;   in Loop: Header=BB6_3887 Depth=4
	v_cmp_ne_u16_sdwa s74, v48, v2 src0_sel:BYTE_0 src1_sel:DWORD
	v_mov_b32_e32 v50, 0
	s_andn2_b32 s16, s16, exec_lo
	s_and_b32 s74, s74, exec_lo
	s_or_b32 s16, s16, s74
	s_or_b32 exec_lo, exec_lo, s73
	s_and_saveexec_b32 s73, s16
	s_cbranch_execnz .LBB6_4757
	s_branch .LBB6_4758
.LBB6_5231:                             ;   in Loop: Header=BB6_3887 Depth=4
	s_or_saveexec_b32 s73, s73
	v_mov_b32_e32 v53, 0x7f800001
	s_xor_b32 exec_lo, exec_lo, s73
	s_cbranch_execz .LBB6_4762
.LBB6_5232:                             ;   in Loop: Header=BB6_3887 Depth=4
	v_cmp_ne_u16_sdwa s74, v39, v2 src0_sel:BYTE_0 src1_sel:DWORD
	v_mov_b32_e32 v53, 0
	s_andn2_b32 s16, s16, exec_lo
	s_and_b32 s74, s74, exec_lo
	s_or_b32 s16, s16, s74
	s_or_b32 exec_lo, exec_lo, s73
	s_and_saveexec_b32 s73, s16
	s_cbranch_execnz .LBB6_4763
	s_branch .LBB6_4764
.LBB6_5233:                             ;   in Loop: Header=BB6_3887 Depth=4
	s_or_saveexec_b32 s73, s73
	v_mov_b32_e32 v50, 0x7f800001
	s_xor_b32 exec_lo, exec_lo, s73
	s_cbranch_execz .LBB6_4770
.LBB6_5234:                             ;   in Loop: Header=BB6_3887 Depth=4
	v_cmp_ne_u16_sdwa s74, v48, v2 src0_sel:BYTE_0 src1_sel:DWORD
	v_mov_b32_e32 v50, 0
	s_andn2_b32 s16, s16, exec_lo
	s_and_b32 s74, s74, exec_lo
	s_or_b32 s16, s16, s74
	s_or_b32 exec_lo, exec_lo, s73
	s_and_saveexec_b32 s73, s16
	s_cbranch_execnz .LBB6_4771
	s_branch .LBB6_4772
.LBB6_5235:                             ;   in Loop: Header=BB6_3887 Depth=4
	s_or_saveexec_b32 s73, s73
	v_mov_b32_e32 v48, 0x7f800001
	s_xor_b32 exec_lo, exec_lo, s73
	s_cbranch_execz .LBB6_4776
.LBB6_5236:                             ;   in Loop: Header=BB6_3887 Depth=4
	v_cmp_ne_u16_sdwa s74, v39, v2 src0_sel:BYTE_0 src1_sel:DWORD
	v_mov_b32_e32 v48, 0
	s_andn2_b32 s16, s16, exec_lo
	s_and_b32 s74, s74, exec_lo
	s_or_b32 s16, s16, s74
	s_or_b32 exec_lo, exec_lo, s73
	s_and_saveexec_b32 s73, s16
	s_cbranch_execnz .LBB6_4777
	s_branch .LBB6_4778
.LBB6_5237:                             ;   in Loop: Header=BB6_3887 Depth=4
	s_or_saveexec_b32 s73, s73
	v_mov_b32_e32 v48, 0x7f800001
	s_xor_b32 exec_lo, exec_lo, s73
	s_cbranch_execz .LBB6_4792
.LBB6_5238:                             ;   in Loop: Header=BB6_3887 Depth=4
	v_cmp_ne_u16_sdwa s74, v37, v2 src0_sel:BYTE_0 src1_sel:DWORD
	v_mov_b32_e32 v48, 0
	s_andn2_b32 s16, s16, exec_lo
	s_and_b32 s74, s74, exec_lo
	s_or_b32 s16, s16, s74
	s_or_b32 exec_lo, exec_lo, s73
	s_and_saveexec_b32 s73, s16
	s_cbranch_execnz .LBB6_4793
	s_branch .LBB6_4794
.LBB6_5239:                             ;   in Loop: Header=BB6_3887 Depth=4
	s_or_saveexec_b32 s73, s73
	v_mov_b32_e32 v50, 0x7f800001
	s_xor_b32 exec_lo, exec_lo, s73
	s_cbranch_execz .LBB6_4798
.LBB6_5240:                             ;   in Loop: Header=BB6_3887 Depth=4
	v_cmp_ne_u16_sdwa s74, v36, v2 src0_sel:BYTE_0 src1_sel:DWORD
	v_mov_b32_e32 v50, 0
	s_andn2_b32 s16, s16, exec_lo
	s_and_b32 s74, s74, exec_lo
	s_or_b32 s16, s16, s74
	s_or_b32 exec_lo, exec_lo, s73
	s_and_saveexec_b32 s73, s16
	s_cbranch_execnz .LBB6_4799
	s_branch .LBB6_4800
.LBB6_5241:                             ;   in Loop: Header=BB6_3887 Depth=4
	s_or_saveexec_b32 s73, s73
	v_mov_b32_e32 v48, 0x7f800001
	s_xor_b32 exec_lo, exec_lo, s73
	s_cbranch_execz .LBB6_4806
.LBB6_5242:                             ;   in Loop: Header=BB6_3887 Depth=4
	v_cmp_ne_u16_sdwa s74, v37, v2 src0_sel:BYTE_0 src1_sel:DWORD
	v_mov_b32_e32 v48, 0
	s_andn2_b32 s16, s16, exec_lo
	s_and_b32 s74, s74, exec_lo
	s_or_b32 s16, s16, s74
	s_or_b32 exec_lo, exec_lo, s73
	s_and_saveexec_b32 s73, s16
	s_cbranch_execnz .LBB6_4807
	s_branch .LBB6_4808
.LBB6_5243:                             ;   in Loop: Header=BB6_3887 Depth=4
	s_or_saveexec_b32 s73, s73
	v_mov_b32_e32 v37, 0x7f800001
	s_xor_b32 exec_lo, exec_lo, s73
	s_cbranch_execz .LBB6_4812
.LBB6_5244:                             ;   in Loop: Header=BB6_3887 Depth=4
	v_cmp_ne_u16_sdwa s74, v36, v2 src0_sel:BYTE_0 src1_sel:DWORD
	v_mov_b32_e32 v37, 0
	s_andn2_b32 s16, s16, exec_lo
	s_and_b32 s74, s74, exec_lo
	s_or_b32 s16, s16, s74
	s_or_b32 exec_lo, exec_lo, s73
	s_and_saveexec_b32 s73, s16
	s_cbranch_execnz .LBB6_4813
	s_branch .LBB6_4814
.LBB6_5245:                             ;   in Loop: Header=BB6_3887 Depth=4
	s_or_saveexec_b32 s73, s73
	v_mov_b32_e32 v37, 0x7f800001
	s_xor_b32 exec_lo, exec_lo, s73
	s_cbranch_execz .LBB6_4828
.LBB6_5246:                             ;   in Loop: Header=BB6_3887 Depth=4
	v_cmp_ne_u16_sdwa s74, v34, v2 src0_sel:BYTE_0 src1_sel:DWORD
	v_mov_b32_e32 v37, 0
	s_andn2_b32 s16, s16, exec_lo
	s_and_b32 s74, s74, exec_lo
	s_or_b32 s16, s16, s74
	s_or_b32 exec_lo, exec_lo, s73
	s_and_saveexec_b32 s73, s16
	s_cbranch_execnz .LBB6_4829
	s_branch .LBB6_4830
.LBB6_5247:                             ;   in Loop: Header=BB6_3887 Depth=4
	s_or_saveexec_b32 s73, s73
	v_mov_b32_e32 v48, 0x7f800001
	s_xor_b32 exec_lo, exec_lo, s73
	s_cbranch_execz .LBB6_4834
.LBB6_5248:                             ;   in Loop: Header=BB6_3887 Depth=4
	v_cmp_ne_u16_sdwa s74, v33, v2 src0_sel:BYTE_0 src1_sel:DWORD
	v_mov_b32_e32 v48, 0
	s_andn2_b32 s16, s16, exec_lo
	s_and_b32 s74, s74, exec_lo
	s_or_b32 s16, s16, s74
	s_or_b32 exec_lo, exec_lo, s73
	s_and_saveexec_b32 s73, s16
	s_cbranch_execnz .LBB6_4835
	s_branch .LBB6_4836
.LBB6_5249:                             ;   in Loop: Header=BB6_3887 Depth=4
	s_or_saveexec_b32 s73, s73
	v_mov_b32_e32 v37, 0x7f800001
	s_xor_b32 exec_lo, exec_lo, s73
	s_cbranch_execz .LBB6_4842
.LBB6_5250:                             ;   in Loop: Header=BB6_3887 Depth=4
	v_cmp_ne_u16_sdwa s74, v34, v2 src0_sel:BYTE_0 src1_sel:DWORD
	v_mov_b32_e32 v37, 0
	s_andn2_b32 s16, s16, exec_lo
	s_and_b32 s74, s74, exec_lo
	s_or_b32 s16, s16, s74
	s_or_b32 exec_lo, exec_lo, s73
	s_and_saveexec_b32 s73, s16
	s_cbranch_execnz .LBB6_4843
	s_branch .LBB6_4844
.LBB6_5251:                             ;   in Loop: Header=BB6_3887 Depth=4
	s_or_saveexec_b32 s73, s73
	v_mov_b32_e32 v34, 0x7f800001
	s_xor_b32 exec_lo, exec_lo, s73
	s_cbranch_execz .LBB6_4848
.LBB6_5252:                             ;   in Loop: Header=BB6_3887 Depth=4
	v_cmp_ne_u16_sdwa s74, v33, v2 src0_sel:BYTE_0 src1_sel:DWORD
	v_mov_b32_e32 v34, 0
	s_andn2_b32 s16, s16, exec_lo
	s_and_b32 s74, s74, exec_lo
	s_or_b32 s16, s16, s74
	s_or_b32 exec_lo, exec_lo, s73
	s_and_saveexec_b32 s73, s16
	s_cbranch_execnz .LBB6_4849
	s_branch .LBB6_4850
.LBB6_5253:                             ;   in Loop: Header=BB6_3887 Depth=4
	s_or_saveexec_b32 s73, s73
	v_mov_b32_e32 v34, 0x7f800001
	s_xor_b32 exec_lo, exec_lo, s73
	s_cbranch_execz .LBB6_4864
.LBB6_5254:                             ;   in Loop: Header=BB6_3887 Depth=4
	v_cmp_ne_u16_sdwa s74, v30, v2 src0_sel:BYTE_0 src1_sel:DWORD
	v_mov_b32_e32 v34, 0
	s_andn2_b32 s16, s16, exec_lo
	s_and_b32 s74, s74, exec_lo
	s_or_b32 s16, s16, s74
	s_or_b32 exec_lo, exec_lo, s73
	s_and_saveexec_b32 s73, s16
	s_cbranch_execnz .LBB6_4865
	s_branch .LBB6_4866
.LBB6_5255:                             ;   in Loop: Header=BB6_3887 Depth=4
	s_or_saveexec_b32 s73, s73
	v_mov_b32_e32 v37, 0x7f800001
	s_xor_b32 exec_lo, exec_lo, s73
	s_cbranch_execz .LBB6_4870
.LBB6_5256:                             ;   in Loop: Header=BB6_3887 Depth=4
	v_cmp_ne_u16_sdwa s74, v29, v2 src0_sel:BYTE_0 src1_sel:DWORD
	v_mov_b32_e32 v37, 0
	s_andn2_b32 s16, s16, exec_lo
	s_and_b32 s74, s74, exec_lo
	s_or_b32 s16, s16, s74
	s_or_b32 exec_lo, exec_lo, s73
	s_and_saveexec_b32 s73, s16
	s_cbranch_execnz .LBB6_4871
	s_branch .LBB6_4872
.LBB6_5257:                             ;   in Loop: Header=BB6_3887 Depth=4
	s_or_saveexec_b32 s73, s73
	v_mov_b32_e32 v34, 0x7f800001
	s_xor_b32 exec_lo, exec_lo, s73
	s_cbranch_execz .LBB6_4878
.LBB6_5258:                             ;   in Loop: Header=BB6_3887 Depth=4
	v_cmp_ne_u16_sdwa s74, v30, v2 src0_sel:BYTE_0 src1_sel:DWORD
	v_mov_b32_e32 v34, 0
	s_andn2_b32 s16, s16, exec_lo
	s_and_b32 s74, s74, exec_lo
	s_or_b32 s16, s16, s74
	s_or_b32 exec_lo, exec_lo, s73
	s_and_saveexec_b32 s73, s16
	s_cbranch_execnz .LBB6_4879
	s_branch .LBB6_4880
.LBB6_5259:                             ;   in Loop: Header=BB6_3887 Depth=4
	s_or_saveexec_b32 s73, s73
	v_mov_b32_e32 v30, 0x7f800001
	s_xor_b32 exec_lo, exec_lo, s73
	s_cbranch_execz .LBB6_4884
.LBB6_5260:                             ;   in Loop: Header=BB6_3887 Depth=4
	v_cmp_ne_u16_sdwa s74, v29, v2 src0_sel:BYTE_0 src1_sel:DWORD
	v_mov_b32_e32 v30, 0
	s_andn2_b32 s16, s16, exec_lo
	s_and_b32 s74, s74, exec_lo
	s_or_b32 s16, s16, s74
	s_or_b32 exec_lo, exec_lo, s73
	s_and_saveexec_b32 s73, s16
	s_cbranch_execnz .LBB6_4885
	s_branch .LBB6_4886
.LBB6_5261:                             ;   in Loop: Header=BB6_3887 Depth=4
	s_or_saveexec_b32 s73, s73
	v_mov_b32_e32 v30, 0x7f800001
	s_xor_b32 exec_lo, exec_lo, s73
	s_cbranch_execz .LBB6_4900
.LBB6_5262:                             ;   in Loop: Header=BB6_3887 Depth=4
	v_cmp_ne_u16_sdwa s74, v27, v2 src0_sel:BYTE_0 src1_sel:DWORD
	v_mov_b32_e32 v30, 0
	s_andn2_b32 s16, s16, exec_lo
	s_and_b32 s74, s74, exec_lo
	s_or_b32 s16, s16, s74
	s_or_b32 exec_lo, exec_lo, s73
	s_and_saveexec_b32 s73, s16
	s_cbranch_execnz .LBB6_4901
	s_branch .LBB6_4902
.LBB6_5263:                             ;   in Loop: Header=BB6_3887 Depth=4
	s_or_saveexec_b32 s73, s73
	v_mov_b32_e32 v34, 0x7f800001
	s_xor_b32 exec_lo, exec_lo, s73
	s_cbranch_execz .LBB6_4906
.LBB6_5264:                             ;   in Loop: Header=BB6_3887 Depth=4
	v_cmp_ne_u16_sdwa s74, v26, v2 src0_sel:BYTE_0 src1_sel:DWORD
	v_mov_b32_e32 v34, 0
	s_andn2_b32 s16, s16, exec_lo
	s_and_b32 s74, s74, exec_lo
	s_or_b32 s16, s16, s74
	s_or_b32 exec_lo, exec_lo, s73
	s_and_saveexec_b32 s73, s16
	s_cbranch_execnz .LBB6_4907
	s_branch .LBB6_4908
.LBB6_5265:                             ;   in Loop: Header=BB6_3887 Depth=4
	s_or_saveexec_b32 s73, s73
	v_mov_b32_e32 v30, 0x7f800001
	s_xor_b32 exec_lo, exec_lo, s73
	s_cbranch_execz .LBB6_4914
.LBB6_5266:                             ;   in Loop: Header=BB6_3887 Depth=4
	v_cmp_ne_u16_sdwa s74, v27, v2 src0_sel:BYTE_0 src1_sel:DWORD
	v_mov_b32_e32 v30, 0
	s_andn2_b32 s16, s16, exec_lo
	s_and_b32 s74, s74, exec_lo
	s_or_b32 s16, s16, s74
	s_or_b32 exec_lo, exec_lo, s73
	s_and_saveexec_b32 s73, s16
	s_cbranch_execnz .LBB6_4915
	s_branch .LBB6_4916
.LBB6_5267:                             ;   in Loop: Header=BB6_3887 Depth=4
	s_or_saveexec_b32 s73, s73
	v_mov_b32_e32 v27, 0x7f800001
	s_xor_b32 exec_lo, exec_lo, s73
	s_cbranch_execz .LBB6_4920
.LBB6_5268:                             ;   in Loop: Header=BB6_3887 Depth=4
	v_cmp_ne_u16_sdwa s74, v26, v2 src0_sel:BYTE_0 src1_sel:DWORD
	v_mov_b32_e32 v27, 0
	s_andn2_b32 s16, s16, exec_lo
	s_and_b32 s74, s74, exec_lo
	s_or_b32 s16, s16, s74
	s_or_b32 exec_lo, exec_lo, s73
	s_and_saveexec_b32 s73, s16
	s_cbranch_execnz .LBB6_4921
	s_branch .LBB6_4922
.LBB6_5269:                             ;   in Loop: Header=BB6_3887 Depth=4
	s_or_saveexec_b32 s73, s73
	v_mov_b32_e32 v27, 0x7f800001
	s_xor_b32 exec_lo, exec_lo, s73
	s_cbranch_execz .LBB6_4936
.LBB6_5270:                             ;   in Loop: Header=BB6_3887 Depth=4
	v_cmp_ne_u16_sdwa s74, v24, v2 src0_sel:BYTE_0 src1_sel:DWORD
	v_mov_b32_e32 v27, 0
	s_andn2_b32 s16, s16, exec_lo
	s_and_b32 s74, s74, exec_lo
	s_or_b32 s16, s16, s74
	s_or_b32 exec_lo, exec_lo, s73
	s_and_saveexec_b32 s73, s16
	s_cbranch_execnz .LBB6_4937
	s_branch .LBB6_4938
.LBB6_5271:                             ;   in Loop: Header=BB6_3887 Depth=4
	s_or_saveexec_b32 s73, s73
	v_mov_b32_e32 v30, 0x7f800001
	s_xor_b32 exec_lo, exec_lo, s73
	s_cbranch_execz .LBB6_4942
.LBB6_5272:                             ;   in Loop: Header=BB6_3887 Depth=4
	v_cmp_ne_u16_sdwa s74, v23, v2 src0_sel:BYTE_0 src1_sel:DWORD
	v_mov_b32_e32 v30, 0
	s_andn2_b32 s16, s16, exec_lo
	s_and_b32 s74, s74, exec_lo
	s_or_b32 s16, s16, s74
	s_or_b32 exec_lo, exec_lo, s73
	s_and_saveexec_b32 s73, s16
	s_cbranch_execnz .LBB6_4943
	s_branch .LBB6_4944
.LBB6_5273:                             ;   in Loop: Header=BB6_3887 Depth=4
	s_or_saveexec_b32 s73, s73
	v_mov_b32_e32 v27, 0x7f800001
	s_xor_b32 exec_lo, exec_lo, s73
	s_cbranch_execz .LBB6_4950
.LBB6_5274:                             ;   in Loop: Header=BB6_3887 Depth=4
	v_cmp_ne_u16_sdwa s74, v24, v2 src0_sel:BYTE_0 src1_sel:DWORD
	v_mov_b32_e32 v27, 0
	s_andn2_b32 s16, s16, exec_lo
	s_and_b32 s74, s74, exec_lo
	s_or_b32 s16, s16, s74
	s_or_b32 exec_lo, exec_lo, s73
	s_and_saveexec_b32 s73, s16
	s_cbranch_execnz .LBB6_4951
	s_branch .LBB6_4952
.LBB6_5275:                             ;   in Loop: Header=BB6_3887 Depth=4
	s_or_saveexec_b32 s73, s73
	v_mov_b32_e32 v24, 0x7f800001
	s_xor_b32 exec_lo, exec_lo, s73
	s_cbranch_execz .LBB6_4956
.LBB6_5276:                             ;   in Loop: Header=BB6_3887 Depth=4
	v_cmp_ne_u16_sdwa s74, v23, v2 src0_sel:BYTE_0 src1_sel:DWORD
	v_mov_b32_e32 v24, 0
	s_andn2_b32 s16, s16, exec_lo
	s_and_b32 s74, s74, exec_lo
	s_or_b32 s16, s16, s74
	s_or_b32 exec_lo, exec_lo, s73
	s_and_saveexec_b32 s73, s16
	s_cbranch_execnz .LBB6_4957
	s_branch .LBB6_4958
.LBB6_5277:                             ;   in Loop: Header=BB6_3887 Depth=4
	s_or_saveexec_b32 s73, s73
	v_mov_b32_e32 v24, 0x7f800001
	s_xor_b32 exec_lo, exec_lo, s73
	s_cbranch_execz .LBB6_4972
.LBB6_5278:                             ;   in Loop: Header=BB6_3887 Depth=4
	v_cmp_ne_u16_sdwa s74, v21, v2 src0_sel:BYTE_0 src1_sel:DWORD
	v_mov_b32_e32 v24, 0
	s_andn2_b32 s16, s16, exec_lo
	s_and_b32 s74, s74, exec_lo
	s_or_b32 s16, s16, s74
	s_or_b32 exec_lo, exec_lo, s73
	s_and_saveexec_b32 s73, s16
	s_cbranch_execnz .LBB6_4973
	s_branch .LBB6_4974
.LBB6_5279:                             ;   in Loop: Header=BB6_3887 Depth=4
	s_or_saveexec_b32 s73, s73
	v_mov_b32_e32 v27, 0x7f800001
	s_xor_b32 exec_lo, exec_lo, s73
	s_cbranch_execz .LBB6_4978
.LBB6_5280:                             ;   in Loop: Header=BB6_3887 Depth=4
	v_cmp_ne_u16_sdwa s74, v20, v2 src0_sel:BYTE_0 src1_sel:DWORD
	v_mov_b32_e32 v27, 0
	s_andn2_b32 s16, s16, exec_lo
	s_and_b32 s74, s74, exec_lo
	s_or_b32 s16, s16, s74
	s_or_b32 exec_lo, exec_lo, s73
	s_and_saveexec_b32 s73, s16
	s_cbranch_execnz .LBB6_4979
	s_branch .LBB6_4980
.LBB6_5281:                             ;   in Loop: Header=BB6_3887 Depth=4
	s_or_saveexec_b32 s73, s73
	v_mov_b32_e32 v24, 0x7f800001
	s_xor_b32 exec_lo, exec_lo, s73
	s_cbranch_execz .LBB6_4986
.LBB6_5282:                             ;   in Loop: Header=BB6_3887 Depth=4
	v_cmp_ne_u16_sdwa s74, v21, v2 src0_sel:BYTE_0 src1_sel:DWORD
	v_mov_b32_e32 v24, 0
	s_andn2_b32 s16, s16, exec_lo
	s_and_b32 s74, s74, exec_lo
	s_or_b32 s16, s16, s74
	s_or_b32 exec_lo, exec_lo, s73
	s_and_saveexec_b32 s73, s16
	s_cbranch_execnz .LBB6_4987
	s_branch .LBB6_4988
.LBB6_5283:                             ;   in Loop: Header=BB6_3887 Depth=4
	s_or_saveexec_b32 s73, s73
	v_mov_b32_e32 v21, 0x7f800001
	s_xor_b32 exec_lo, exec_lo, s73
	s_cbranch_execz .LBB6_4992
.LBB6_5284:                             ;   in Loop: Header=BB6_3887 Depth=4
	v_cmp_ne_u16_sdwa s74, v20, v2 src0_sel:BYTE_0 src1_sel:DWORD
	v_mov_b32_e32 v21, 0
	s_andn2_b32 s16, s16, exec_lo
	s_and_b32 s74, s74, exec_lo
	s_or_b32 s16, s16, s74
	s_or_b32 exec_lo, exec_lo, s73
	s_and_saveexec_b32 s73, s16
	s_cbranch_execnz .LBB6_4993
	s_branch .LBB6_4994
.LBB6_5285:                             ;   in Loop: Header=BB6_3887 Depth=4
	s_or_saveexec_b32 s73, s73
	v_mov_b32_e32 v21, 0x7f800001
	s_xor_b32 exec_lo, exec_lo, s73
	s_cbranch_execz .LBB6_5008
.LBB6_5286:                             ;   in Loop: Header=BB6_3887 Depth=4
	v_cmp_ne_u16_sdwa s74, v19, v2 src0_sel:BYTE_0 src1_sel:DWORD
	v_mov_b32_e32 v21, 0
	s_andn2_b32 s16, s16, exec_lo
	s_and_b32 s74, s74, exec_lo
	s_or_b32 s16, s16, s74
	s_or_b32 exec_lo, exec_lo, s73
	s_and_saveexec_b32 s73, s16
	s_cbranch_execnz .LBB6_5009
	s_branch .LBB6_5010
.LBB6_5287:                             ;   in Loop: Header=BB6_3887 Depth=4
	s_or_saveexec_b32 s73, s73
	v_mov_b32_e32 v24, 0x7f800001
	s_xor_b32 exec_lo, exec_lo, s73
	s_cbranch_execz .LBB6_5014
.LBB6_5288:                             ;   in Loop: Header=BB6_3887 Depth=4
	v_cmp_ne_u16_sdwa s74, v18, v2 src0_sel:BYTE_0 src1_sel:DWORD
	v_mov_b32_e32 v24, 0
	s_andn2_b32 s16, s16, exec_lo
	s_and_b32 s74, s74, exec_lo
	s_or_b32 s16, s16, s74
	s_or_b32 exec_lo, exec_lo, s73
	s_and_saveexec_b32 s73, s16
	s_cbranch_execnz .LBB6_5015
	s_branch .LBB6_5016
.LBB6_5289:                             ;   in Loop: Header=BB6_3887 Depth=4
	s_or_saveexec_b32 s73, s73
	v_mov_b32_e32 v21, 0x7f800001
	s_xor_b32 exec_lo, exec_lo, s73
	s_cbranch_execz .LBB6_5022
.LBB6_5290:                             ;   in Loop: Header=BB6_3887 Depth=4
	v_cmp_ne_u16_sdwa s74, v19, v2 src0_sel:BYTE_0 src1_sel:DWORD
	v_mov_b32_e32 v21, 0
	s_andn2_b32 s16, s16, exec_lo
	s_and_b32 s74, s74, exec_lo
	s_or_b32 s16, s16, s74
	s_or_b32 exec_lo, exec_lo, s73
	s_and_saveexec_b32 s73, s16
	s_cbranch_execnz .LBB6_5023
	s_branch .LBB6_5024
.LBB6_5291:                             ;   in Loop: Header=BB6_3887 Depth=4
	s_or_saveexec_b32 s73, s73
	v_mov_b32_e32 v19, 0x7f800001
	s_xor_b32 exec_lo, exec_lo, s73
	s_cbranch_execz .LBB6_5028
.LBB6_5292:                             ;   in Loop: Header=BB6_3887 Depth=4
	v_cmp_ne_u16_sdwa s74, v18, v2 src0_sel:BYTE_0 src1_sel:DWORD
	v_mov_b32_e32 v19, 0
	s_andn2_b32 s16, s16, exec_lo
	s_and_b32 s74, s74, exec_lo
	s_or_b32 s16, s16, s74
	s_or_b32 exec_lo, exec_lo, s73
	s_and_saveexec_b32 s73, s16
	s_cbranch_execnz .LBB6_5029
	s_branch .LBB6_5030
.LBB6_5293:                             ;   in Loop: Header=BB6_272 Depth=3
	s_or_b32 exec_lo, exec_lo, s72
.LBB6_5294:                             ;   in Loop: Header=BB6_272 Depth=3
	s_or_b32 exec_lo, exec_lo, s62
	v_lshlrev_b32_e32 v1, 10, v17
	v_cmp_ne_u32_e32 vcc_lo, v5, v1
	s_and_b32 exec_lo, exec_lo, vcc_lo
	s_cbranch_execz .LBB6_5342
; %bb.5295:                             ;   in Loop: Header=BB6_272 Depth=3
	v_lshlrev_b32_e32 v8, 5, v15
	v_lshlrev_b32_e32 v9, 5, v16
	v_sub_nc_u32_e32 v8, v14, v8
	v_sub_nc_u32_e32 v8, v8, v9
	v_add_nc_u32_e32 v8, v1, v8
	v_sub_nc_u32_e32 v1, v5, v8
	v_cmp_lt_i32_e32 vcc_lo, 0, v1
	s_and_b32 exec_lo, exec_lo, vcc_lo
	s_cbranch_execz .LBB6_5342
; %bb.5296:                             ;   in Loop: Header=BB6_272 Depth=3
	s_trap 2
	ds_read_b128 v[9:12], v0
	ds_read_b64 v[13:14], v0
	v_add_nc_u32_e32 v4, v8, v4
	s_bitcmp1_b32 s61, 0
	s_mov_b32 s61, 0
	s_cselect_b32 s62, -1, 0
	v_ashrrev_i32_e32 v5, 31, v4
	s_waitcnt lgkmcnt(1)
	v_add_co_u32 v8, vcc_lo, v9, v4
	v_add_co_ci_u32_e64 v9, null, v10, v5, vcc_lo
	v_add_co_u32 v10, vcc_lo, v11, v4
	v_add_co_ci_u32_e64 v11, null, v12, v5, vcc_lo
	s_waitcnt lgkmcnt(0)
	v_add_co_u32 v12, vcc_lo, v13, v4
	v_add_co_ci_u32_e64 v13, null, v14, v5, vcc_lo
	s_branch .LBB6_5300
.LBB6_5297:                             ;   in Loop: Header=BB6_5300 Depth=4
	s_or_b32 exec_lo, exec_lo, s16
	v_lshrrev_b32_e32 v5, 20, v5
	v_cmp_gt_i32_e32 vcc_lo, 16, v4
	v_min_i32_e32 v14, 15, v4
	v_and_b32_sdwa v15, v15, v62 dst_sel:DWORD dst_unused:UNUSED_PAD src0_sel:BYTE_3 src1_sel:DWORD
	v_cndmask_b32_e32 v5, 7, v5, vcc_lo
	v_lshlrev_b32_e32 v14, 3, v14
	v_and_b32_e32 v16, 7, v5
	v_or_b32_e32 v4, v4, v5
	v_or3_b32 v5, v14, v15, v16
	v_cmp_ne_u32_e32 vcc_lo, 0, v4
	v_cndmask_b32_e32 v4, 0, v5, vcc_lo
.LBB6_5298:                             ;   in Loop: Header=BB6_5300 Depth=4
	s_or_b32 exec_lo, exec_lo, s72
.LBB6_5299:                             ;   in Loop: Header=BB6_5300 Depth=4
	s_or_b32 exec_lo, exec_lo, s63
	v_sub_nc_u32_e32 v1, v1, v58
	v_add_co_u32 v8, vcc_lo, v8, v58
	v_add_co_ci_u32_e64 v9, null, 0, v9, vcc_lo
	v_add_co_u32 v10, vcc_lo, v10, v58
	flat_store_byte v[12:13], v4 glc slc
	v_add_co_ci_u32_e64 v11, null, 0, v11, vcc_lo
	v_cmp_gt_i32_e32 vcc_lo, 1, v1
	v_add_co_u32 v12, s16, v12, v58
	v_add_co_ci_u32_e64 v13, null, 0, v13, s16
	s_or_b32 s61, vcc_lo, s61
	s_andn2_b32 exec_lo, exec_lo, s61
	s_cbranch_execz .LBB6_5342
.LBB6_5300:                             ;   Parent Loop BB6_47 Depth=1
                                        ;     Parent Loop BB6_269 Depth=2
                                        ;       Parent Loop BB6_272 Depth=3
                                        ; =>      This Inner Loop Header: Depth=4
	flat_load_ubyte v5, v[10:11] slc
	s_waitcnt vmcnt(1) lgkmcnt(2)
	flat_load_ubyte v14, v[8:9] slc
	s_mov_b32 s16, -1
	s_waitcnt vmcnt(1) lgkmcnt(1)
	v_and_b32_e32 v4, 7, v5
	v_bfe_u32 v17, v5, 3, 4
	v_lshlrev_b32_e32 v18, 24, v5
	v_ffbh_u32_e32 v15, v4
	v_cmp_eq_u32_e32 vcc_lo, 0, v17
	v_min_u32_e32 v15, 32, v15
	v_subrev_nc_u32_e32 v16, 28, v15
	v_sub_nc_u32_e32 v15, 29, v15
	v_lshlrev_b32_e32 v16, v16, v5
	v_cndmask_b32_e32 v15, v17, v15, vcc_lo
	v_and_b32_e32 v16, 7, v16
	v_lshl_add_u32 v15, v15, 23, 0x3b800000
	v_cndmask_b32_e32 v4, v4, v16, vcc_lo
	v_and_b32_e32 v16, 0x80000000, v18
	s_and_b32 vcc_lo, exec_lo, s62
	v_lshlrev_b32_e32 v4, 20, v4
	v_or3_b32 v4, v16, v15, v4
                                        ; implicit-def: $vgpr15
	s_cbranch_vccz .LBB6_5314
; %bb.5301:                             ;   in Loop: Header=BB6_5300 Depth=4
	s_waitcnt vmcnt(0) lgkmcnt(0)
	v_cmp_gt_i16_sdwa s63, v14, v61 src0_sel:BYTE_0 src1_sel:DWORD
	s_mov_b32 s16, 0
	s_and_saveexec_b32 s72, s63
	s_xor_b32 s63, exec_lo, s72
	s_cbranch_execz .LBB6_5334
; %bb.5302:                             ;   in Loop: Header=BB6_5300 Depth=4
	v_cmp_eq_u16_sdwa s73, v14, v62 src0_sel:BYTE_0 src1_sel:DWORD
	s_mov_b32 s16, -1
	s_and_saveexec_b32 s72, s73
; %bb.5303:                             ;   in Loop: Header=BB6_5300 Depth=4
	s_xor_b32 s16, exec_lo, -1
; %bb.5304:                             ;   in Loop: Header=BB6_5300 Depth=4
	s_or_b32 exec_lo, exec_lo, s72
	s_and_b32 s16, s16, exec_lo
	s_or_saveexec_b32 s63, s63
	v_mov_b32_e32 v15, 0x7f800001
	s_xor_b32 exec_lo, exec_lo, s63
	s_cbranch_execnz .LBB6_5335
.LBB6_5305:                             ;   in Loop: Header=BB6_5300 Depth=4
	s_or_b32 exec_lo, exec_lo, s63
	s_and_saveexec_b32 s63, s16
	s_cbranch_execz .LBB6_5307
.LBB6_5306:                             ;   in Loop: Header=BB6_5300 Depth=4
	v_and_b32_e32 v15, 7, v14
	v_lshrrev_b16 v17, 3, v14
	v_lshlrev_b32_e32 v19, 24, v14
	v_ffbh_u32_e32 v16, v15
	v_and_b32_e32 v17, 15, v17
	v_min_u32_e32 v16, 32, v16
	v_cmp_eq_u32_e32 vcc_lo, 0, v17
	v_subrev_nc_u32_e32 v18, 28, v16
	v_sub_nc_u32_e32 v16, 29, v16
	v_lshlrev_b32_e32 v18, v18, v14
	v_cndmask_b32_e32 v16, v17, v16, vcc_lo
	v_and_b32_e32 v17, 0x80000000, v19
	v_and_b32_e32 v18, 7, v18
	v_lshl_add_u32 v16, v16, 23, 0x3b800000
	v_cndmask_b32_e32 v15, v15, v18, vcc_lo
	v_lshlrev_b32_e32 v15, 20, v15
	v_or3_b32 v15, v17, v16, v15
.LBB6_5307:                             ;   in Loop: Header=BB6_5300 Depth=4
	s_or_b32 exec_lo, exec_lo, s63
	v_cmp_gt_i16_sdwa s63, v5, v61 src0_sel:BYTE_0 src1_sel:DWORD
	s_mov_b32 s16, 0
	s_and_saveexec_b32 s72, s63
	s_xor_b32 s63, exec_lo, s72
	s_cbranch_execz .LBB6_5336
; %bb.5308:                             ;   in Loop: Header=BB6_5300 Depth=4
	v_cmp_eq_u16_sdwa s73, v5, v62 src0_sel:BYTE_0 src1_sel:DWORD
	s_mov_b32 s16, -1
	s_and_saveexec_b32 s72, s73
; %bb.5309:                             ;   in Loop: Header=BB6_5300 Depth=4
	s_xor_b32 s16, exec_lo, -1
; %bb.5310:                             ;   in Loop: Header=BB6_5300 Depth=4
	s_or_b32 exec_lo, exec_lo, s72
	s_and_b32 s16, s16, exec_lo
	s_or_saveexec_b32 s63, s63
	v_mov_b32_e32 v16, 0x7f800001
	s_xor_b32 exec_lo, exec_lo, s63
	s_cbranch_execnz .LBB6_5337
.LBB6_5311:                             ;   in Loop: Header=BB6_5300 Depth=4
	s_or_b32 exec_lo, exec_lo, s63
	s_and_saveexec_b32 s63, s16
.LBB6_5312:                             ;   in Loop: Header=BB6_5300 Depth=4
	v_mov_b32_e32 v16, v4
.LBB6_5313:                             ;   in Loop: Header=BB6_5300 Depth=4
	s_or_b32 exec_lo, exec_lo, s63
	v_max_f32_e32 v16, v16, v16
	v_max_f32_e32 v15, v15, v15
	s_mov_b32 s16, 0
	v_max_f32_e32 v15, v15, v16
.LBB6_5314:                             ;   in Loop: Header=BB6_5300 Depth=4
	s_and_b32 vcc_lo, exec_lo, s16
	s_cbranch_vccz .LBB6_5328
; %bb.5315:                             ;   in Loop: Header=BB6_5300 Depth=4
	s_waitcnt vmcnt(0) lgkmcnt(0)
	v_cmp_gt_i16_sdwa s63, v14, v61 src0_sel:BYTE_0 src1_sel:DWORD
	s_mov_b32 s16, 0
	s_and_saveexec_b32 s72, s63
	s_xor_b32 s63, exec_lo, s72
	s_cbranch_execz .LBB6_5338
; %bb.5316:                             ;   in Loop: Header=BB6_5300 Depth=4
	v_cmp_eq_u16_sdwa s73, v14, v62 src0_sel:BYTE_0 src1_sel:DWORD
	s_mov_b32 s16, -1
	s_and_saveexec_b32 s72, s73
; %bb.5317:                             ;   in Loop: Header=BB6_5300 Depth=4
	s_xor_b32 s16, exec_lo, -1
; %bb.5318:                             ;   in Loop: Header=BB6_5300 Depth=4
	s_or_b32 exec_lo, exec_lo, s72
	s_and_b32 s16, s16, exec_lo
	s_or_saveexec_b32 s63, s63
	v_mov_b32_e32 v15, 0x7f800001
	s_xor_b32 exec_lo, exec_lo, s63
	s_cbranch_execnz .LBB6_5339
.LBB6_5319:                             ;   in Loop: Header=BB6_5300 Depth=4
	s_or_b32 exec_lo, exec_lo, s63
	s_and_saveexec_b32 s63, s16
	s_cbranch_execz .LBB6_5321
.LBB6_5320:                             ;   in Loop: Header=BB6_5300 Depth=4
	v_and_b32_e32 v15, 7, v14
	v_lshrrev_b16 v17, 3, v14
	v_ffbh_u32_e32 v16, v15
	v_and_b32_e32 v17, 15, v17
	v_min_u32_e32 v16, 32, v16
	v_cmp_eq_u32_e32 vcc_lo, 0, v17
	v_subrev_nc_u32_e32 v18, 28, v16
	v_sub_nc_u32_e32 v16, 29, v16
	v_lshlrev_b32_e32 v18, v18, v14
	v_lshlrev_b32_e32 v14, 24, v14
	v_cndmask_b32_e32 v16, v17, v16, vcc_lo
	v_and_b32_e32 v18, 7, v18
	v_and_b32_e32 v14, 0x80000000, v14
	v_lshl_add_u32 v16, v16, 23, 0x3b800000
	v_cndmask_b32_e32 v15, v15, v18, vcc_lo
	v_lshlrev_b32_e32 v15, 20, v15
	v_or3_b32 v15, v14, v16, v15
.LBB6_5321:                             ;   in Loop: Header=BB6_5300 Depth=4
	s_or_b32 exec_lo, exec_lo, s63
	v_cmp_gt_i16_sdwa s63, v5, v61 src0_sel:BYTE_0 src1_sel:DWORD
	s_mov_b32 s16, 0
	s_and_saveexec_b32 s72, s63
	s_xor_b32 s63, exec_lo, s72
	s_cbranch_execz .LBB6_5340
; %bb.5322:                             ;   in Loop: Header=BB6_5300 Depth=4
	v_cmp_eq_u16_sdwa s73, v5, v62 src0_sel:BYTE_0 src1_sel:DWORD
	s_mov_b32 s16, -1
	s_and_saveexec_b32 s72, s73
; %bb.5323:                             ;   in Loop: Header=BB6_5300 Depth=4
	s_xor_b32 s16, exec_lo, -1
; %bb.5324:                             ;   in Loop: Header=BB6_5300 Depth=4
	s_or_b32 exec_lo, exec_lo, s72
	s_and_b32 s16, s16, exec_lo
                                        ; implicit-def: $vgpr5
	s_or_saveexec_b32 s63, s63
	v_mov_b32_e32 v14, 0x7f800001
	s_xor_b32 exec_lo, exec_lo, s63
	s_cbranch_execnz .LBB6_5341
.LBB6_5325:                             ;   in Loop: Header=BB6_5300 Depth=4
	s_or_b32 exec_lo, exec_lo, s63
	s_and_saveexec_b32 s63, s16
.LBB6_5326:                             ;   in Loop: Header=BB6_5300 Depth=4
	v_mov_b32_e32 v14, v4
.LBB6_5327:                             ;   in Loop: Header=BB6_5300 Depth=4
	s_or_b32 exec_lo, exec_lo, s63
	v_max_f32_e32 v4, v14, v14
	v_max_f32_e32 v5, v15, v15
	v_min_f32_e32 v15, v5, v4
.LBB6_5328:                             ;   in Loop: Header=BB6_5300 Depth=4
	v_and_b32_e32 v4, 0x7f800000, v15
	v_cmp_ne_u32_e32 vcc_lo, 0x7f800000, v4
	v_mov_b32_e32 v4, 0x80
	s_and_saveexec_b32 s63, vcc_lo
	s_cbranch_execz .LBB6_5299
; %bb.5329:                             ;   in Loop: Header=BB6_5300 Depth=4
	v_mov_b32_e32 v4, 0
	s_mov_b32 s72, exec_lo
	v_cmpx_ne_u32_e32 0, v15
	s_cbranch_execz .LBB6_5298
; %bb.5330:                             ;   in Loop: Header=BB6_5300 Depth=4
	v_bfe_u32 v4, v15, 23, 8
	v_and_b32_e32 v5, 0x7fffff, v15
	s_waitcnt vmcnt(0) lgkmcnt(0)
	v_sub_nc_u32_e32 v14, 0x78, v4
	v_cmp_gt_u32_e32 vcc_lo, 0x79, v4
	v_or_b32_e32 v16, 0x800000, v5
	v_cndmask_b32_e32 v14, 0, v14, vcc_lo
	v_cmp_eq_u32_e32 vcc_lo, 0, v4
	v_add_nc_u32_e32 v4, 0xffffff89, v4
	v_cndmask_b32_e64 v14, v14, 0x77, vcc_lo
	v_cndmask_b32_e32 v5, v16, v5, vcc_lo
	v_cndmask_b32_e64 v4, v4, 0xffffff8a, vcc_lo
	v_lshl_add_u32 v16, 0x100000, v14, -1
	v_lshrrev_b32_e32 v17, v14, v5
	v_lshlrev_b32_e64 v19, v14, 0x80000
	v_add_nc_u32_e32 v14, v14, v4
	v_and_b32_e32 v5, v16, v5
	v_bfe_u32 v18, v17, 20, 1
	v_cmp_eq_u32_e64 s16, v5, v19
	v_add_nc_u32_e32 v16, -1, v18
	v_cndmask_b32_e64 v5, 0, v16, s16
	v_lshrrev_b32_e32 v16, 23, v17
	s_mov_b32 s16, exec_lo
	v_add_nc_u32_e32 v5, v5, v17
	v_xor_b32_e32 v16, 1, v16
	v_and_b32_e32 v4, 0xfffff, v5
	v_add_nc_u32_e32 v5, v4, v17
                                        ; implicit-def: $vgpr4
	v_cmpx_ne_u32_e64 v14, v16
	s_xor_b32 s16, exec_lo, s16
; %bb.5331:                             ;   in Loop: Header=BB6_5300 Depth=4
	v_cmp_lt_u32_e32 vcc_lo, 0xffffff, v5
	v_sub_nc_u32_e32 v4, v14, v16
	v_cndmask_b32_e64 v14, 0, 1, vcc_lo
	v_add_co_ci_u32_e64 v4, null, 0, v4, vcc_lo
	v_lshrrev_b32_e32 v5, v14, v5
; %bb.5332:                             ;   in Loop: Header=BB6_5300 Depth=4
	s_andn2_saveexec_b32 s16, s16
	s_cbranch_execz .LBB6_5297
; %bb.5333:                             ;   in Loop: Header=BB6_5300 Depth=4
	v_bfe_u32 v4, v5, 23, 1
	s_branch .LBB6_5297
.LBB6_5334:                             ;   in Loop: Header=BB6_5300 Depth=4
	s_or_saveexec_b32 s63, s63
	v_mov_b32_e32 v15, 0x7f800001
	s_xor_b32 exec_lo, exec_lo, s63
	s_cbranch_execz .LBB6_5305
.LBB6_5335:                             ;   in Loop: Header=BB6_5300 Depth=4
	v_cmp_ne_u16_sdwa s72, v14, v2 src0_sel:BYTE_0 src1_sel:DWORD
	v_mov_b32_e32 v15, 0
	s_andn2_b32 s16, s16, exec_lo
	s_and_b32 s72, s72, exec_lo
	s_or_b32 s16, s16, s72
	s_or_b32 exec_lo, exec_lo, s63
	s_and_saveexec_b32 s63, s16
	s_cbranch_execnz .LBB6_5306
	s_branch .LBB6_5307
.LBB6_5336:                             ;   in Loop: Header=BB6_5300 Depth=4
	s_or_saveexec_b32 s63, s63
	v_mov_b32_e32 v16, 0x7f800001
	s_xor_b32 exec_lo, exec_lo, s63
	s_cbranch_execz .LBB6_5311
.LBB6_5337:                             ;   in Loop: Header=BB6_5300 Depth=4
	v_cmp_ne_u16_sdwa s72, v5, v2 src0_sel:BYTE_0 src1_sel:DWORD
	v_mov_b32_e32 v16, 0
	s_andn2_b32 s16, s16, exec_lo
	s_and_b32 s72, s72, exec_lo
	s_or_b32 s16, s16, s72
	s_or_b32 exec_lo, exec_lo, s63
	s_and_saveexec_b32 s63, s16
	s_cbranch_execnz .LBB6_5312
	s_branch .LBB6_5313
.LBB6_5338:                             ;   in Loop: Header=BB6_5300 Depth=4
	s_or_saveexec_b32 s63, s63
	v_mov_b32_e32 v15, 0x7f800001
	s_xor_b32 exec_lo, exec_lo, s63
	s_cbranch_execz .LBB6_5319
.LBB6_5339:                             ;   in Loop: Header=BB6_5300 Depth=4
	v_cmp_ne_u16_sdwa s72, v14, v2 src0_sel:BYTE_0 src1_sel:DWORD
	v_mov_b32_e32 v15, 0
	s_andn2_b32 s16, s16, exec_lo
	s_and_b32 s72, s72, exec_lo
	s_or_b32 s16, s16, s72
	s_or_b32 exec_lo, exec_lo, s63
	s_and_saveexec_b32 s63, s16
	s_cbranch_execnz .LBB6_5320
	s_branch .LBB6_5321
.LBB6_5340:                             ;   in Loop: Header=BB6_5300 Depth=4
	s_or_saveexec_b32 s63, s63
	v_mov_b32_e32 v14, 0x7f800001
	s_xor_b32 exec_lo, exec_lo, s63
	s_cbranch_execz .LBB6_5325
.LBB6_5341:                             ;   in Loop: Header=BB6_5300 Depth=4
	v_cmp_ne_u16_sdwa s72, v5, v2 src0_sel:BYTE_0 src1_sel:DWORD
	v_mov_b32_e32 v14, 0
	s_andn2_b32 s16, s16, exec_lo
	s_and_b32 s72, s72, exec_lo
	s_or_b32 s16, s16, s72
	s_or_b32 exec_lo, exec_lo, s63
	s_and_saveexec_b32 s63, s16
	s_cbranch_execnz .LBB6_5326
	s_branch .LBB6_5327
.LBB6_5342:                             ;   in Loop: Header=BB6_272 Depth=3
	s_or_b32 exec_lo, exec_lo, s17
	v_cmp_lt_i32_e64 s16, 0, v3
	s_and_saveexec_b32 s17, s6
	s_cbranch_execnz .LBB6_5343
; %bb.16191:                            ;   in Loop: Header=BB6_272 Depth=3
	s_getpc_b64 s[34:35]
.Lpost_getpc36:
	s_add_u32 s34, s34, (.LBB6_347-.Lpost_getpc36)&4294967295
	s_addc_u32 s35, s35, (.LBB6_347-.Lpost_getpc36)>>32
	s_setpc_b64 s[34:35]
.LBB6_5343:                             ;   in Loop: Header=BB6_272 Depth=3
	s_and_saveexec_b32 s61, s29
	s_xor_b32 s61, exec_lo, s61
	s_cbranch_execz .LBB6_5358
; %bb.5344:                             ;   in Loop: Header=BB6_272 Depth=3
	s_and_saveexec_b32 s62, s11
	s_cbranch_execz .LBB6_5357
; %bb.5345:                             ;   in Loop: Header=BB6_272 Depth=3
	s_mov_b32 s72, exec_lo
	s_mov_b32 s63, exec_lo
	v_mbcnt_lo_u32_b32 v1, s72, 0
	s_waitcnt vmcnt(0) lgkmcnt(0)
	s_waitcnt_vscnt null, 0x0
	buffer_gl1_inv
	buffer_gl0_inv
	v_cmpx_eq_u32_e32 0, v1
	s_cbranch_execz .LBB6_5347
; %bb.5346:                             ;   in Loop: Header=BB6_272 Depth=3
	s_bcnt1_i32_b32 s72, s72
	v_mov_b32_e32 v4, v2
	v_mov_b32_e32 v3, s72
	ds_add_u64 v0, v[3:4]
	s_trap 2
.LBB6_5347:                             ;   in Loop: Header=BB6_272 Depth=3
	s_or_b32 exec_lo, exec_lo, s63
	s_trap 2
	ds_read_b64 v[3:4], v0
	s_waitcnt lgkmcnt(0)
	buffer_gl0_inv
	v_add_co_u32 v70, vcc_lo, v70, v47
	v_add_co_ci_u32_e64 v71, null, 0, v71, vcc_lo
	s_mov_b32 s63, exec_lo
	v_cmpx_lt_u64_e64 v[3:4], v[70:71]
	s_cbranch_execz .LBB6_5356
; %bb.5348:                             ;   in Loop: Header=BB6_272 Depth=3
	s_mov_b32 s72, 0
	s_mov_b32 s75, 0
                                        ; implicit-def: $sgpr73
                                        ; implicit-def: $sgpr74
	s_inst_prefetch 0x1
	s_branch .LBB6_5350
	.p2align	6
.LBB6_5349:                             ;   in Loop: Header=BB6_5350 Depth=4
	s_or_b32 exec_lo, exec_lo, s77
	s_and_b32 s76, exec_lo, s78
	s_or_b32 s72, s76, s72
	s_andn2_b32 s73, s73, exec_lo
	s_and_b32 s76, s74, exec_lo
	s_or_b32 s73, s73, s76
	s_andn2_b32 exec_lo, exec_lo, s72
	s_cbranch_execz .LBB6_5354
.LBB6_5350:                             ;   Parent Loop BB6_47 Depth=1
                                        ;     Parent Loop BB6_269 Depth=2
                                        ;       Parent Loop BB6_272 Depth=3
                                        ; =>      This Inner Loop Header: Depth=4
	s_add_i32 s75, s75, 1
	s_cmpk_lg_i32 s75, 0x2710
	s_cselect_b32 s76, -1, 0
	s_and_b32 vcc_lo, exec_lo, s76
	s_cbranch_vccz .LBB6_5352
; %bb.5351:                             ;   in Loop: Header=BB6_5350 Depth=4
	s_mov_b32 s78, -1
	s_or_b32 s74, s74, exec_lo
	s_and_saveexec_b32 s77, s76
	s_cbranch_execz .LBB6_5349
	s_branch .LBB6_5353
	.p2align	6
.LBB6_5352:                             ;   in Loop: Header=BB6_5350 Depth=4
	s_trap 2
	ds_read_b64 v[3:4], v0
	s_andn2_b32 s76, s76, exec_lo
	s_mov_b32 s75, 0
	s_waitcnt lgkmcnt(0)
	flat_load_dword v1, v[3:4] glc dlc
	s_waitcnt vmcnt(0) lgkmcnt(0)
	buffer_gl1_inv
	buffer_gl0_inv
	v_cmp_eq_u32_e32 vcc_lo, 0, v1
	s_and_b32 s77, vcc_lo, exec_lo
	s_or_b32 s76, s76, s77
	s_mov_b32 s78, -1
	s_or_b32 s74, s74, exec_lo
	s_and_saveexec_b32 s77, s76
	s_cbranch_execz .LBB6_5349
.LBB6_5353:                             ;   in Loop: Header=BB6_5350 Depth=4
	s_sleep 1
	s_trap 2
	ds_read_b64 v[3:4], v0
	s_waitcnt lgkmcnt(0)
	buffer_gl0_inv
	s_andn2_b32 s74, s74, exec_lo
	v_cmp_ge_u64_e32 vcc_lo, v[3:4], v[70:71]
	s_orn2_b32 s78, vcc_lo, exec_lo
	s_branch .LBB6_5349
.LBB6_5354:                             ;   in Loop: Header=BB6_272 Depth=3
	s_inst_prefetch 0x2
	s_or_b32 exec_lo, exec_lo, s72
	s_and_saveexec_b32 s72, s73
	s_xor_b32 s72, exec_lo, s72
	s_cbranch_execz .LBB6_5356
; %bb.5355:                             ;   in Loop: Header=BB6_272 Depth=3
	ds_write_b32 v0, v59
	s_trap 2
.LBB6_5356:                             ;   in Loop: Header=BB6_272 Depth=3
	s_or_b32 exec_lo, exec_lo, s63
	;;#ASMSTART
	s_wakeup
	;;#ASMEND
.LBB6_5357:                             ;   in Loop: Header=BB6_272 Depth=3
	s_or_b32 exec_lo, exec_lo, s62
.LBB6_5358:                             ;   in Loop: Header=BB6_272 Depth=3
	s_andn2_saveexec_b32 s61, s61
	s_cbranch_execz .LBB6_5360
; %bb.5359:                             ;   in Loop: Header=BB6_272 Depth=3
	s_waitcnt vmcnt(0) lgkmcnt(0)
	s_waitcnt_vscnt null, 0x0
	buffer_gl1_inv
	buffer_gl0_inv
	s_barrier
.LBB6_5360:                             ;   in Loop: Header=BB6_272 Depth=3
	s_or_b32 exec_lo, exec_lo, s61
	s_or_b32 exec_lo, exec_lo, s17
                                        ; implicit-def: $vgpr1
	s_and_saveexec_b32 s17, s15
	s_xor_b32 s17, exec_lo, s17
	s_cbranch_execz .LBB6_5361
; %bb.16193:                            ;   in Loop: Header=BB6_272 Depth=3
	s_getpc_b64 s[34:35]
.Lpost_getpc37:
	s_add_u32 s34, s34, (.LBB6_348-.Lpost_getpc37)&4294967295
	s_addc_u32 s35, s35, (.LBB6_348-.Lpost_getpc37)>>32
	s_setpc_b64 s[34:35]
.LBB6_5361:                             ;   in Loop: Header=BB6_272 Depth=3
	s_andn2_saveexec_b32 s16, s17
	s_cbranch_execz .LBB6_5380
.LBB6_5362:                             ;   in Loop: Header=BB6_272 Depth=3
	s_and_saveexec_b32 s17, s29
	s_xor_b32 s17, exec_lo, s17
	s_cbranch_execz .LBB6_5377
; %bb.5363:                             ;   in Loop: Header=BB6_272 Depth=3
	s_and_saveexec_b32 s61, s11
	s_cbranch_execz .LBB6_5376
; %bb.5364:                             ;   in Loop: Header=BB6_272 Depth=3
	s_mov_b32 s63, exec_lo
	s_mov_b32 s62, exec_lo
	v_mbcnt_lo_u32_b32 v1, s63, 0
	;;#ASMSTART
	s_waitcnt lgkmcnt(0) vmcnt(0)
	;;#ASMEND
	v_cmpx_eq_u32_e32 0, v1
	s_cbranch_execz .LBB6_5366
; %bb.5365:                             ;   in Loop: Header=BB6_272 Depth=3
	s_bcnt1_i32_b32 s63, s63
	v_mov_b32_e32 v4, v2
	v_mov_b32_e32 v3, s63
	s_waitcnt vmcnt(0) lgkmcnt(0)
	s_waitcnt_vscnt null, 0x0
	ds_add_u64 v0, v[3:4]
	s_trap 2
.LBB6_5366:                             ;   in Loop: Header=BB6_272 Depth=3
	s_or_b32 exec_lo, exec_lo, s62
	s_trap 2
	ds_read_b64 v[3:4], v0
	s_waitcnt vmcnt(0) lgkmcnt(0)
	buffer_gl0_inv
	v_add_co_u32 v70, vcc_lo, v70, v47
	v_add_co_ci_u32_e64 v71, null, 0, v71, vcc_lo
	s_mov_b32 s62, exec_lo
	v_cmpx_lt_u64_e64 v[3:4], v[70:71]
	s_cbranch_execz .LBB6_5375
; %bb.5367:                             ;   in Loop: Header=BB6_272 Depth=3
	s_mov_b32 s63, 0
	s_mov_b32 s74, 0
                                        ; implicit-def: $sgpr72
                                        ; implicit-def: $sgpr73
	s_inst_prefetch 0x1
	s_branch .LBB6_5369
	.p2align	6
.LBB6_5368:                             ;   in Loop: Header=BB6_5369 Depth=4
	s_or_b32 exec_lo, exec_lo, s76
	s_and_b32 s75, exec_lo, s77
	s_or_b32 s63, s75, s63
	s_andn2_b32 s72, s72, exec_lo
	s_and_b32 s75, s73, exec_lo
	s_or_b32 s72, s72, s75
	s_andn2_b32 exec_lo, exec_lo, s63
	s_cbranch_execz .LBB6_5373
.LBB6_5369:                             ;   Parent Loop BB6_47 Depth=1
                                        ;     Parent Loop BB6_269 Depth=2
                                        ;       Parent Loop BB6_272 Depth=3
                                        ; =>      This Inner Loop Header: Depth=4
	s_add_i32 s74, s74, 1
	s_cmpk_lg_i32 s74, 0x2710
	s_cselect_b32 s75, -1, 0
	s_and_b32 vcc_lo, exec_lo, s75
	s_cbranch_vccz .LBB6_5371
; %bb.5370:                             ;   in Loop: Header=BB6_5369 Depth=4
	s_mov_b32 s77, -1
	s_or_b32 s73, s73, exec_lo
	s_and_saveexec_b32 s76, s75
	s_cbranch_execz .LBB6_5368
	s_branch .LBB6_5372
	.p2align	6
.LBB6_5371:                             ;   in Loop: Header=BB6_5369 Depth=4
	s_trap 2
	ds_read_b64 v[3:4], v0
	s_andn2_b32 s75, s75, exec_lo
	s_mov_b32 s74, 0
	s_waitcnt lgkmcnt(0)
	s_waitcnt_vscnt null, 0x0
	flat_load_dword v1, v[3:4] glc dlc
	s_waitcnt vmcnt(0) lgkmcnt(0)
	buffer_gl1_inv
	buffer_gl0_inv
	v_cmp_eq_u32_e32 vcc_lo, 0, v1
	s_and_b32 s76, vcc_lo, exec_lo
	s_or_b32 s75, s75, s76
	s_mov_b32 s77, -1
	s_or_b32 s73, s73, exec_lo
	s_and_saveexec_b32 s76, s75
	s_cbranch_execz .LBB6_5368
.LBB6_5372:                             ;   in Loop: Header=BB6_5369 Depth=4
	s_sleep 1
	s_trap 2
	ds_read_b64 v[3:4], v0
	s_waitcnt lgkmcnt(0)
	buffer_gl0_inv
	s_andn2_b32 s73, s73, exec_lo
	v_cmp_ge_u64_e32 vcc_lo, v[3:4], v[70:71]
	s_orn2_b32 s77, vcc_lo, exec_lo
	s_branch .LBB6_5368
.LBB6_5373:                             ;   in Loop: Header=BB6_272 Depth=3
	s_inst_prefetch 0x2
	s_or_b32 exec_lo, exec_lo, s63
	s_and_saveexec_b32 s63, s72
	s_xor_b32 s63, exec_lo, s63
	s_cbranch_execz .LBB6_5375
; %bb.5374:                             ;   in Loop: Header=BB6_272 Depth=3
	ds_write_b32 v0, v59
	s_trap 2
.LBB6_5375:                             ;   in Loop: Header=BB6_272 Depth=3
	s_or_b32 exec_lo, exec_lo, s62
	;;#ASMSTART
	s_wakeup
	;;#ASMEND
.LBB6_5376:                             ;   in Loop: Header=BB6_272 Depth=3
	s_or_b32 exec_lo, exec_lo, s61
.LBB6_5377:                             ;   in Loop: Header=BB6_272 Depth=3
	s_andn2_saveexec_b32 s17, s17
	s_cbranch_execz .LBB6_5379
; %bb.5378:                             ;   in Loop: Header=BB6_272 Depth=3
	;;#ASMSTART
	s_waitcnt lgkmcnt(0) vmcnt(0)
	;;#ASMEND
	s_barrier
.LBB6_5379:                             ;   in Loop: Header=BB6_272 Depth=3
	s_or_b32 exec_lo, exec_lo, s17
	v_and_b32_e32 v1, 16, v44
.LBB6_5380:                             ;   in Loop: Header=BB6_272 Depth=3
	s_or_b32 exec_lo, exec_lo, s16
	v_cmp_ne_u32_e32 vcc_lo, 0, v1
	s_xor_b32 s16, s7, -1
	s_and_b32 s17, vcc_lo, s16
	s_and_saveexec_b32 s16, s17
	s_cbranch_execz .LBB6_5382
; %bb.5381:                             ;   in Loop: Header=BB6_272 Depth=3
	s_waitcnt vmcnt(0) lgkmcnt(0)
	s_waitcnt_vscnt null, 0x0
	flat_store_dword v[68:69], v59
.LBB6_5382:                             ;   in Loop: Header=BB6_272 Depth=3
	s_or_b32 exec_lo, exec_lo, s16
	v_and_b32_e32 v1, 48, v44
	s_mov_b32 s16, exec_lo
	v_cmpx_ne_u32_e32 0, v1
	s_cbranch_execnz .LBB6_5383
; %bb.16195:                            ;   in Loop: Header=BB6_272 Depth=3
	s_getpc_b64 s[34:35]
.Lpost_getpc38:
	s_add_u32 s34, s34, (.LBB6_271-.Lpost_getpc38)&4294967295
	s_addc_u32 s35, s35, (.LBB6_271-.Lpost_getpc38)>>32
	s_setpc_b64 s[34:35]
.LBB6_5383:                             ;   in Loop: Header=BB6_272 Depth=3
	v_add_co_u32 v96, vcc_lo, v96, 2
	v_add_co_ci_u32_e64 v97, null, 0, v97, vcc_lo
	s_waitcnt vmcnt(0) lgkmcnt(0)
	s_waitcnt_vscnt null, 0x0
	flat_store_dwordx2 v[64:65], v[96:97]
; %bb.16163:                            ;   in Loop: Header=BB6_272 Depth=3
	s_getpc_b64 s[34:35]
.Lpost_getpc22:
	s_add_u32 s34, s34, (.LBB6_271-.Lpost_getpc22)&4294967295
	s_addc_u32 s35, s35, (.LBB6_271-.Lpost_getpc22)>>32
	s_setpc_b64 s[34:35]
.LBB6_5384:                             ;   in Loop: Header=BB6_269 Depth=2
	s_or_b32 exec_lo, exec_lo, s21
.LBB6_5385:                             ;   in Loop: Header=BB6_269 Depth=2
	s_or_b32 exec_lo, exec_lo, s19
	v_cmp_gt_i32_e32 vcc_lo, 2, v1
	s_mov_b32 s17, exec_lo
	v_ashrrev_i32_e32 v16, 31, v45
	s_and_b32 s16, s17, vcc_lo
	s_mov_b32 exec_lo, s16
	s_cbranch_execnz .LBB6_5386
; %bb.16197:                            ;   in Loop: Header=BB6_269 Depth=2
	s_getpc_b64 s[34:35]
.Lpost_getpc39:
	s_add_u32 s34, s34, (.LBB6_268-.Lpost_getpc39)&4294967295
	s_addc_u32 s35, s35, (.LBB6_268-.Lpost_getpc39)>>32
	s_setpc_b64 s[34:35]
.LBB6_5386:                             ;   in Loop: Header=BB6_269 Depth=2
	v_cmp_eq_u32_e64 s21, 0, v1
	s_mov_b32 s19, 0
	s_branch .LBB6_5388
.LBB6_5387:                             ;   in Loop: Header=BB6_5388 Depth=3
	s_or_b32 exec_lo, exec_lo, s16
	v_add_nc_u32_e32 v43, v100, v43
	s_mov_b32 s21, 0
	s_andn2_b32 exec_lo, exec_lo, s19
	s_cbranch_execnz .LBB6_5388
; %bb.16199:                            ;   in Loop: Header=BB6_269 Depth=2
	s_getpc_b64 s[34:35]
.Lpost_getpc40:
	s_add_u32 s34, s34, (.LBB6_267-.Lpost_getpc40)&4294967295
	s_addc_u32 s35, s35, (.LBB6_267-.Lpost_getpc40)>>32
	s_setpc_b64 s[34:35]
.LBB6_5388:                             ;   Parent Loop BB6_47 Depth=1
                                        ;     Parent Loop BB6_269 Depth=2
                                        ; =>    This Loop Header: Depth=3
                                        ;         Child Loop BB6_5394 Depth 4
                                        ;         Child Loop BB6_5422 Depth 4
	;; [unrolled: 1-line block ×3, first 2 shown]
	v_sub_nc_u32_e32 v1, v42, v43
	v_and_b32_e32 v3, 12, v44
	s_mov_b32 s22, exec_lo
	v_min_i32_e32 v100, v100, v1
	v_cmpx_ne_u32_e32 0, v3
	s_cbranch_execz .LBB6_5414
; %bb.5389:                             ;   in Loop: Header=BB6_5388 Depth=3
	v_and_b32_e32 v1, 8, v44
	s_mov_b32 s23, exec_lo
	s_waitcnt vmcnt(0) lgkmcnt(1)
	v_add_co_u32 v3, vcc_lo, v80, v1
	v_add_co_ci_u32_e64 v4, null, 0, v81, vcc_lo
	v_add_co_u32 v8, vcc_lo, v96, 2
	v_add_co_ci_u32_e64 v9, null, 0, v97, vcc_lo
	v_cmpx_lt_u64_e64 v[3:4], v[8:9]
	s_cbranch_execz .LBB6_5401
; %bb.5390:                             ;   in Loop: Header=BB6_5388 Depth=3
	v_and_b32_e32 v3, 64, v44
	s_mov_b32 s61, 0
	s_mov_b32 s73, 0
                                        ; implicit-def: $sgpr62
                                        ; implicit-def: $sgpr63
                                        ; implicit-def: $sgpr72
	v_cmp_eq_u32_e32 vcc_lo, 0, v3
	s_branch .LBB6_5394
.LBB6_5391:                             ;   in Loop: Header=BB6_5394 Depth=4
	s_waitcnt vmcnt(0) lgkmcnt(0)
	v_add_co_u32 v4, s16, v80, v1
	v_add_co_ci_u32_e64 v5, null, 0, v81, s16
	s_or_b32 s76, s76, exec_lo
	v_cmp_ge_u64_e64 s16, v[4:5], v[8:9]
	s_orn2_b32 s75, s16, exec_lo
.LBB6_5392:                             ;   in Loop: Header=BB6_5394 Depth=4
	s_or_b32 exec_lo, exec_lo, s78
	s_andn2_b32 s16, s72, exec_lo
	s_and_b32 s72, s76, exec_lo
	s_andn2_b32 s63, s63, exec_lo
	s_and_b32 s75, s75, exec_lo
	s_or_b32 s72, s16, s72
	s_or_b32 s63, s63, s75
.LBB6_5393:                             ;   in Loop: Header=BB6_5394 Depth=4
	s_or_b32 exec_lo, exec_lo, s74
	s_and_b32 s16, exec_lo, s63
	s_or_b32 s61, s16, s61
	s_andn2_b32 s16, s62, exec_lo
	s_and_b32 s62, s72, exec_lo
	s_or_b32 s62, s16, s62
	s_andn2_b32 exec_lo, exec_lo, s61
	s_cbranch_execz .LBB6_5398
.LBB6_5394:                             ;   Parent Loop BB6_47 Depth=1
                                        ;     Parent Loop BB6_269 Depth=2
                                        ;       Parent Loop BB6_5388 Depth=3
                                        ; =>      This Inner Loop Header: Depth=4
	s_sleep 1
	s_waitcnt vmcnt(0) lgkmcnt(0)
	flat_load_dwordx2 v[80:81], v[64:65] glc dlc
	s_or_b32 s72, s72, exec_lo
	s_or_b32 s63, s63, exec_lo
                                        ; implicit-def: $vgpr3
	s_and_saveexec_b32 s74, vcc_lo
	s_cbranch_execz .LBB6_5393
; %bb.5395:                             ;   in Loop: Header=BB6_5394 Depth=4
	s_cmpk_lt_i32 s73, 0x270f
	s_mov_b32 s75, -1
	s_cselect_b32 s77, -1, 0
	s_cmpk_gt_i32 s73, 0x270e
	s_cbranch_scc0 .LBB6_5397
; %bb.5396:                             ;   in Loop: Header=BB6_5394 Depth=4
	s_trap 2
	ds_read_b64 v[3:4], v0
	s_andn2_b32 s73, s77, exec_lo
	s_mov_b32 s76, 0
	s_waitcnt vmcnt(0) lgkmcnt(0)
	s_waitcnt_vscnt null, 0x0
	flat_load_dword v3, v[3:4] glc dlc
	s_waitcnt vmcnt(0) lgkmcnt(0)
	buffer_gl1_inv
	buffer_gl0_inv
	v_cmp_eq_u32_e64 s16, 0, v3
	s_and_b32 s16, s16, exec_lo
	s_or_b32 s77, s73, s16
	s_mov_b32 s73, 0
	s_and_saveexec_b32 s78, s77
	s_cbranch_execz .LBB6_5392
	s_branch .LBB6_5391
.LBB6_5397:                             ;   in Loop: Header=BB6_5394 Depth=4
	s_add_i32 s73, s73, 1
	s_mov_b32 s76, -1
                                        ; implicit-def: $vgpr3
	s_and_saveexec_b32 s78, s77
	s_cbranch_execz .LBB6_5392
	s_branch .LBB6_5391
.LBB6_5398:                             ;   in Loop: Header=BB6_5388 Depth=3
	s_or_b32 exec_lo, exec_lo, s61
	s_xor_b32 s16, s62, -1
	s_and_saveexec_b32 s61, s16
	s_xor_b32 s16, exec_lo, s61
	s_cbranch_execz .LBB6_5400
; %bb.5399:                             ;   in Loop: Header=BB6_5388 Depth=3
	v_or_b32_e32 v44, 64, v44
	s_waitcnt vmcnt(0) lgkmcnt(0)
	s_waitcnt_vscnt null, 0x0
	ds_write_b32 v0, v3
	s_trap 2
.LBB6_5400:                             ;   in Loop: Header=BB6_5388 Depth=3
	s_or_b32 exec_lo, exec_lo, s16
.LBB6_5401:                             ;   in Loop: Header=BB6_5388 Depth=3
	s_or_b32 exec_lo, exec_lo, s23
	v_and_b32_e32 v3, 0x108, v44
	s_mov_b32 s16, exec_lo
	;;#ASMSTART
	s_wakeup
	;;#ASMEND
                                        ; implicit-def: $vgpr10_vgpr11
	v_cmpx_ne_u32_e32 0x108, v3
	s_xor_b32 s16, exec_lo, s16
; %bb.5402:                             ;   in Loop: Header=BB6_5388 Depth=3
	v_and_b32_e32 v10, 7, v96
	v_mov_b32_e32 v11, v2
                                        ; implicit-def: $vgpr96_vgpr97
; %bb.5403:                             ;   in Loop: Header=BB6_5388 Depth=3
	s_andn2_saveexec_b32 s16, s16
	s_cbranch_execz .LBB6_5405
; %bb.5404:                             ;   in Loop: Header=BB6_5388 Depth=3
	v_and_b32_e32 v10, 7, v96
	v_ashrrev_i32_e32 v101, 31, v100
	v_mov_b32_e32 v11, v2
	v_mad_u64_u32 v[3:4], null, v10, 24, v[6:7]
	flat_store_dwordx2 v[3:4], v[100:101] offset:8
.LBB6_5405:                             ;   in Loop: Header=BB6_5388 Depth=3
	s_or_b32 exec_lo, exec_lo, s16
	v_and_b32_e32 v3, 0x100, v44
	s_mov_b32 s16, -1
	s_mov_b32 s23, exec_lo
                                        ; implicit-def: $vgpr12_vgpr13
	v_cmpx_ne_u32_e32 0, v3
	s_cbranch_execz .LBB6_5409
; %bb.5406:                             ;   in Loop: Header=BB6_5388 Depth=3
	v_mad_u64_u32 v[14:15], null, v10, 24, v[6:7]
	s_mov_b32 s61, exec_lo
                                        ; implicit-def: $vgpr12_vgpr13
	v_mov_b32_e32 v3, v15
	v_mad_u64_u32 v[3:4], null, v11, 24, v[3:4]
	v_mov_b32_e32 v15, v3
	flat_load_dword v3, v[14:15]
	s_waitcnt vmcnt(0) lgkmcnt(0)
	v_cmp_ne_u32_e32 vcc_lo, 1, v3
	v_cmpx_eq_u32_e32 1, v3
	s_cbranch_execz .LBB6_5408
; %bb.5407:                             ;   in Loop: Header=BB6_5388 Depth=3
	flat_load_dword v12, v[14:15] offset:4 glc dlc
	s_waitcnt vmcnt(0) lgkmcnt(0)
	v_ashrrev_i32_e32 v13, 31, v12
.LBB6_5408:                             ;   in Loop: Header=BB6_5388 Depth=3
	s_or_b32 exec_lo, exec_lo, s61
	s_orn2_b32 s16, vcc_lo, exec_lo
.LBB6_5409:                             ;   in Loop: Header=BB6_5388 Depth=3
	s_or_b32 exec_lo, exec_lo, s23
	s_and_saveexec_b32 s23, s16
; %bb.5410:                             ;   in Loop: Header=BB6_5388 Depth=3
	v_mul_lo_u32 v3, v11, v45
	v_mul_lo_u32 v4, v10, v16
	v_mad_u64_u32 v[12:13], null, v10, v45, 0
	v_add3_u32 v13, v13, v4, v3
; %bb.5411:                             ;   in Loop: Header=BB6_5388 Depth=3
	s_or_b32 exec_lo, exec_lo, s23
	v_cmp_eq_u32_e32 vcc_lo, 0, v1
	v_mov_b32_e32 v1, 0x90
	v_and_b32_e32 v5, 0x2000, v44
	s_mov_b32 s16, exec_lo
	v_cndmask_b32_e32 v1, 0xc8, v1, vcc_lo
	v_add_co_u32 v3, vcc_lo, v66, v12
	v_add_co_ci_u32_e64 v4, null, v67, v13, vcc_lo
	v_add_nc_u32_e32 v1, v0, v1
	ds_write_b64 v1, v[3:4] offset:584
	v_cmpx_ne_u32_e32 0, v5
	s_cbranch_execz .LBB6_5413
; %bb.5412:                             ;   in Loop: Header=BB6_5388 Depth=3
	ds_read_b64 v[3:4], v0 offset:872
	s_waitcnt lgkmcnt(0)
	v_add_co_u32 v3, vcc_lo, v3, 1
	v_add_co_ci_u32_e64 v4, null, 0, v4, vcc_lo
	ds_write_b64 v0, v[3:4] offset:872
.LBB6_5413:                             ;   in Loop: Header=BB6_5388 Depth=3
	s_or_b32 exec_lo, exec_lo, s16
	v_mov_b32_e32 v97, v9
	v_mov_b32_e32 v96, v8
.LBB6_5414:                             ;   in Loop: Header=BB6_5388 Depth=3
	s_or_b32 exec_lo, exec_lo, s22
	s_xor_b32 s16, s21, -1
	s_and_b32 s16, exec_lo, s16
	s_or_b32 s19, s16, s19
	s_and_saveexec_b32 s16, s6
	s_cbranch_execz .LBB6_5433
; %bb.5415:                             ;   in Loop: Header=BB6_5388 Depth=3
	s_and_saveexec_b32 s21, s29
	s_xor_b32 s21, exec_lo, s21
	s_cbranch_execz .LBB6_5430
; %bb.5416:                             ;   in Loop: Header=BB6_5388 Depth=3
	s_and_saveexec_b32 s22, s11
	s_cbranch_execz .LBB6_5429
; %bb.5417:                             ;   in Loop: Header=BB6_5388 Depth=3
	s_mov_b32 s61, exec_lo
	s_mov_b32 s23, exec_lo
	v_mbcnt_lo_u32_b32 v1, s61, 0
	s_waitcnt vmcnt(0) lgkmcnt(0)
	s_waitcnt_vscnt null, 0x0
	buffer_gl1_inv
	buffer_gl0_inv
	v_cmpx_eq_u32_e32 0, v1
	s_cbranch_execz .LBB6_5419
; %bb.5418:                             ;   in Loop: Header=BB6_5388 Depth=3
	s_bcnt1_i32_b32 s61, s61
	v_mov_b32_e32 v4, v2
	v_mov_b32_e32 v3, s61
	ds_add_u64 v0, v[3:4]
	s_trap 2
.LBB6_5419:                             ;   in Loop: Header=BB6_5388 Depth=3
	s_or_b32 exec_lo, exec_lo, s23
	s_trap 2
	ds_read_b64 v[3:4], v0
	s_waitcnt lgkmcnt(0)
	buffer_gl0_inv
	v_add_co_u32 v70, vcc_lo, v70, v47
	v_add_co_ci_u32_e64 v71, null, 0, v71, vcc_lo
	s_mov_b32 s23, exec_lo
	v_cmpx_lt_u64_e64 v[3:4], v[70:71]
	s_cbranch_execz .LBB6_5428
; %bb.5420:                             ;   in Loop: Header=BB6_5388 Depth=3
	s_mov_b32 s61, 0
	s_mov_b32 s72, 0
                                        ; implicit-def: $sgpr62
                                        ; implicit-def: $sgpr63
	s_inst_prefetch 0x1
	s_branch .LBB6_5422
	.p2align	6
.LBB6_5421:                             ;   in Loop: Header=BB6_5422 Depth=4
	s_or_b32 exec_lo, exec_lo, s74
	s_and_b32 s73, exec_lo, s75
	s_or_b32 s61, s73, s61
	s_andn2_b32 s62, s62, exec_lo
	s_and_b32 s73, s63, exec_lo
	s_or_b32 s62, s62, s73
	s_andn2_b32 exec_lo, exec_lo, s61
	s_cbranch_execz .LBB6_5426
.LBB6_5422:                             ;   Parent Loop BB6_47 Depth=1
                                        ;     Parent Loop BB6_269 Depth=2
                                        ;       Parent Loop BB6_5388 Depth=3
                                        ; =>      This Inner Loop Header: Depth=4
	s_add_i32 s72, s72, 1
	s_cmpk_lg_i32 s72, 0x2710
	s_cselect_b32 s73, -1, 0
	s_and_b32 vcc_lo, exec_lo, s73
	s_cbranch_vccz .LBB6_5424
; %bb.5423:                             ;   in Loop: Header=BB6_5422 Depth=4
	s_mov_b32 s75, -1
	s_or_b32 s63, s63, exec_lo
	s_and_saveexec_b32 s74, s73
	s_cbranch_execz .LBB6_5421
	s_branch .LBB6_5425
	.p2align	6
.LBB6_5424:                             ;   in Loop: Header=BB6_5422 Depth=4
	s_trap 2
	ds_read_b64 v[3:4], v0
	s_andn2_b32 s73, s73, exec_lo
	s_mov_b32 s72, 0
	s_waitcnt lgkmcnt(0)
	flat_load_dword v1, v[3:4] glc dlc
	s_waitcnt vmcnt(0) lgkmcnt(0)
	buffer_gl1_inv
	buffer_gl0_inv
	v_cmp_eq_u32_e32 vcc_lo, 0, v1
	s_and_b32 s74, vcc_lo, exec_lo
	s_or_b32 s73, s73, s74
	s_mov_b32 s75, -1
	s_or_b32 s63, s63, exec_lo
	s_and_saveexec_b32 s74, s73
	s_cbranch_execz .LBB6_5421
.LBB6_5425:                             ;   in Loop: Header=BB6_5422 Depth=4
	s_sleep 1
	s_trap 2
	ds_read_b64 v[3:4], v0
	s_waitcnt lgkmcnt(0)
	buffer_gl0_inv
	s_andn2_b32 s63, s63, exec_lo
	v_cmp_ge_u64_e32 vcc_lo, v[3:4], v[70:71]
	s_orn2_b32 s75, vcc_lo, exec_lo
	s_branch .LBB6_5421
.LBB6_5426:                             ;   in Loop: Header=BB6_5388 Depth=3
	s_inst_prefetch 0x2
	s_or_b32 exec_lo, exec_lo, s61
	s_and_saveexec_b32 s61, s62
	s_xor_b32 s61, exec_lo, s61
	s_cbranch_execz .LBB6_5428
; %bb.5427:                             ;   in Loop: Header=BB6_5388 Depth=3
	ds_write_b32 v0, v59
	s_trap 2
.LBB6_5428:                             ;   in Loop: Header=BB6_5388 Depth=3
	s_or_b32 exec_lo, exec_lo, s23
	;;#ASMSTART
	s_wakeup
	;;#ASMEND
.LBB6_5429:                             ;   in Loop: Header=BB6_5388 Depth=3
	s_or_b32 exec_lo, exec_lo, s22
.LBB6_5430:                             ;   in Loop: Header=BB6_5388 Depth=3
	s_andn2_saveexec_b32 s21, s21
	s_cbranch_execz .LBB6_5432
; %bb.5431:                             ;   in Loop: Header=BB6_5388 Depth=3
	s_waitcnt vmcnt(0) lgkmcnt(0)
	s_waitcnt_vscnt null, 0x0
	buffer_gl1_inv
	buffer_gl0_inv
	s_barrier
.LBB6_5432:                             ;   in Loop: Header=BB6_5388 Depth=3
	s_or_b32 exec_lo, exec_lo, s21
.LBB6_5433:                             ;   in Loop: Header=BB6_5388 Depth=3
	s_or_b32 exec_lo, exec_lo, s16
                                        ; implicit-def: $vgpr1
	s_and_saveexec_b32 s16, s47
	s_xor_b32 s16, exec_lo, s16
	s_cbranch_execz .LBB6_5445
; %bb.5434:                             ;   in Loop: Header=BB6_5388 Depth=3
	s_and_saveexec_b32 s21, s29
	s_xor_b32 s21, exec_lo, s21
	s_cbranch_execz .LBB6_5450
; %bb.5435:                             ;   in Loop: Header=BB6_5388 Depth=3
	s_and_saveexec_b32 s22, s11
	s_cbranch_execz .LBB6_5449
; %bb.5436:                             ;   in Loop: Header=BB6_5388 Depth=3
	s_mov_b32 s61, exec_lo
	s_mov_b32 s23, exec_lo
	v_mbcnt_lo_u32_b32 v1, s61, 0
	;;#ASMSTART
	s_waitcnt lgkmcnt(0) vmcnt(0)
	;;#ASMEND
	v_cmpx_eq_u32_e32 0, v1
	s_cbranch_execz .LBB6_5438
; %bb.5437:                             ;   in Loop: Header=BB6_5388 Depth=3
	s_bcnt1_i32_b32 s61, s61
	v_mov_b32_e32 v4, v2
	v_mov_b32_e32 v3, s61
	s_waitcnt vmcnt(0) lgkmcnt(0)
	s_waitcnt_vscnt null, 0x0
	ds_add_u64 v0, v[3:4]
	s_trap 2
.LBB6_5438:                             ;   in Loop: Header=BB6_5388 Depth=3
	s_or_b32 exec_lo, exec_lo, s23
	s_trap 2
	ds_read_b64 v[3:4], v0
	s_waitcnt vmcnt(0) lgkmcnt(0)
	buffer_gl0_inv
	v_add_co_u32 v70, vcc_lo, v70, v47
	v_add_co_ci_u32_e64 v71, null, 0, v71, vcc_lo
	s_mov_b32 s23, exec_lo
	v_cmpx_lt_u64_e64 v[3:4], v[70:71]
	s_cbranch_execz .LBB6_5448
; %bb.5439:                             ;   in Loop: Header=BB6_5388 Depth=3
	s_mov_b32 s61, 0
	s_mov_b32 s72, 0
                                        ; implicit-def: $sgpr62
                                        ; implicit-def: $sgpr63
	s_inst_prefetch 0x1
	s_branch .LBB6_5441
	.p2align	6
.LBB6_5440:                             ;   in Loop: Header=BB6_5441 Depth=4
	s_or_b32 exec_lo, exec_lo, s74
	s_and_b32 s73, exec_lo, s75
	s_or_b32 s61, s73, s61
	s_andn2_b32 s62, s62, exec_lo
	s_and_b32 s73, s63, exec_lo
	s_or_b32 s62, s62, s73
	s_andn2_b32 exec_lo, exec_lo, s61
	s_cbranch_execz .LBB6_5446
.LBB6_5441:                             ;   Parent Loop BB6_47 Depth=1
                                        ;     Parent Loop BB6_269 Depth=2
                                        ;       Parent Loop BB6_5388 Depth=3
                                        ; =>      This Inner Loop Header: Depth=4
	s_add_i32 s72, s72, 1
	s_cmpk_lg_i32 s72, 0x2710
	s_cselect_b32 s73, -1, 0
	s_and_b32 vcc_lo, exec_lo, s73
	s_cbranch_vccz .LBB6_5443
; %bb.5442:                             ;   in Loop: Header=BB6_5441 Depth=4
	s_mov_b32 s75, -1
	s_or_b32 s63, s63, exec_lo
	s_and_saveexec_b32 s74, s73
	s_cbranch_execz .LBB6_5440
	s_branch .LBB6_5444
	.p2align	6
.LBB6_5443:                             ;   in Loop: Header=BB6_5441 Depth=4
	s_trap 2
	ds_read_b64 v[3:4], v0
	s_andn2_b32 s73, s73, exec_lo
	s_mov_b32 s72, 0
	s_waitcnt lgkmcnt(0)
	s_waitcnt_vscnt null, 0x0
	flat_load_dword v1, v[3:4] glc dlc
	s_waitcnt vmcnt(0) lgkmcnt(0)
	buffer_gl1_inv
	buffer_gl0_inv
	v_cmp_eq_u32_e32 vcc_lo, 0, v1
	s_and_b32 s74, vcc_lo, exec_lo
	s_or_b32 s73, s73, s74
	s_mov_b32 s75, -1
	s_or_b32 s63, s63, exec_lo
	s_and_saveexec_b32 s74, s73
	s_cbranch_execz .LBB6_5440
.LBB6_5444:                             ;   in Loop: Header=BB6_5441 Depth=4
	s_sleep 1
	s_trap 2
	ds_read_b64 v[3:4], v0
	s_waitcnt lgkmcnt(0)
	buffer_gl0_inv
	s_andn2_b32 s63, s63, exec_lo
	v_cmp_ge_u64_e32 vcc_lo, v[3:4], v[70:71]
	s_orn2_b32 s75, vcc_lo, exec_lo
	s_branch .LBB6_5440
.LBB6_5445:                             ;   in Loop: Header=BB6_5388 Depth=3
	s_andn2_saveexec_b32 s21, s16
	s_cbranch_execnz .LBB6_5453
	s_branch .LBB6_5456
.LBB6_5446:                             ;   in Loop: Header=BB6_5388 Depth=3
	s_inst_prefetch 0x2
	s_or_b32 exec_lo, exec_lo, s61
	s_and_saveexec_b32 s61, s62
	s_xor_b32 s61, exec_lo, s61
	s_cbranch_execz .LBB6_5448
; %bb.5447:                             ;   in Loop: Header=BB6_5388 Depth=3
	ds_write_b32 v0, v59
	s_trap 2
.LBB6_5448:                             ;   in Loop: Header=BB6_5388 Depth=3
	s_or_b32 exec_lo, exec_lo, s23
	;;#ASMSTART
	s_wakeup
	;;#ASMEND
.LBB6_5449:                             ;   in Loop: Header=BB6_5388 Depth=3
	s_or_b32 exec_lo, exec_lo, s22
.LBB6_5450:                             ;   in Loop: Header=BB6_5388 Depth=3
	s_andn2_saveexec_b32 s21, s21
	s_cbranch_execz .LBB6_5452
; %bb.5451:                             ;   in Loop: Header=BB6_5388 Depth=3
	;;#ASMSTART
	s_waitcnt lgkmcnt(0) vmcnt(0)
	;;#ASMEND
	s_barrier
.LBB6_5452:                             ;   in Loop: Header=BB6_5388 Depth=3
	s_or_b32 exec_lo, exec_lo, s21
	v_and_b32_e32 v1, 16, v44
	s_andn2_saveexec_b32 s21, s16
	s_cbranch_execz .LBB6_5456
.LBB6_5453:                             ;   in Loop: Header=BB6_5388 Depth=3
	s_trap 2
	ds_read_b32 v1, v0
	v_cmp_lt_i32_e32 vcc_lo, 0, v100
	s_waitcnt lgkmcnt(0)
	v_readfirstlane_b32 s16, v1
	v_and_b32_e32 v1, 16, v44
	s_cmp_eq_u32 s16, 0
	v_cmp_ne_u32_e64 s16, 0, v1
	s_cselect_b32 s22, -1, 0
	v_and_b32_e32 v1, 16, v44
	s_and_b32 s22, vcc_lo, s22
	s_and_b32 s22, s16, s22
	s_and_saveexec_b32 s16, s22
	s_cbranch_execz .LBB6_5455
; %bb.5454:                             ;   in Loop: Header=BB6_5388 Depth=3
	v_mov_b32_e32 v1, 1
	s_waitcnt vmcnt(0)
	s_waitcnt_vscnt null, 0x0
	buffer_gl1_inv
	buffer_gl0_inv
.LBB6_5455:                             ;   in Loop: Header=BB6_5388 Depth=3
	s_or_b32 exec_lo, exec_lo, s16
.LBB6_5456:                             ;   in Loop: Header=BB6_5388 Depth=3
	s_or_b32 exec_lo, exec_lo, s21
	v_cmp_ne_u32_e32 vcc_lo, 0, v1
	s_xor_b32 s16, s7, -1
	s_and_b32 s21, vcc_lo, s16
	s_and_saveexec_b32 s16, s21
	s_cbranch_execz .LBB6_5458
; %bb.5457:                             ;   in Loop: Header=BB6_5388 Depth=3
	s_waitcnt vmcnt(0) lgkmcnt(0)
	s_waitcnt_vscnt null, 0x0
	flat_store_dword v[68:69], v59
.LBB6_5458:                             ;   in Loop: Header=BB6_5388 Depth=3
	s_or_b32 exec_lo, exec_lo, s16
	v_and_b32_e32 v1, 48, v44
	s_mov_b32 s16, exec_lo
	v_cmpx_ne_u32_e32 0, v1
	s_cbranch_execz .LBB6_5387
; %bb.5459:                             ;   in Loop: Header=BB6_5388 Depth=3
	v_add_co_u32 v96, vcc_lo, v96, 2
	v_add_co_ci_u32_e64 v97, null, 0, v97, vcc_lo
	s_waitcnt vmcnt(0) lgkmcnt(0)
	s_waitcnt_vscnt null, 0x0
	flat_store_dwordx2 v[64:65], v[96:97]
	s_branch .LBB6_5387
.LBB6_5460:                             ;   in Loop: Header=BB6_47 Depth=1
	s_clause 0x1
	buffer_load_dword v10, off, s[0:3], s33 offset:204
	buffer_load_dword v11, off, s[0:3], s33 offset:208
	v_mov_b32_e32 v103, 0
	s_waitcnt vmcnt(1)
	v_mul_lo_u32 v3, v10, s28
	s_waitcnt vmcnt(0)
	v_mul_lo_u32 v1, v11, s25
	v_mad_u64_u32 v[8:9], null, v10, s25, 0
	v_add3_u32 v9, v9, v3, v1
	s_clause 0x1
	buffer_load_dword v3, off, s[0:3], s33 offset:196
	buffer_load_dword v4, off, s[0:3], s33 offset:200
	s_waitcnt vmcnt(1)
	v_sub_co_u32 v3, vcc_lo, v3, v8
	s_waitcnt vmcnt(0)
	v_sub_co_ci_u32_e64 v4, null, v4, v9, vcc_lo
	v_cmp_lt_i64_e32 vcc_lo, v[10:11], v[3:4]
	v_cndmask_b32_e32 v4, v3, v10, vcc_lo
	v_max_i32_e32 v3, 0, v4
	v_cmp_lt_i32_e32 vcc_lo, 0, v4
	v_add_nc_u32_e32 v1, 31, v3
	s_and_b32 s16, s57, vcc_lo
	v_lshrrev_b32_e32 v1, 1, v1
	v_and_b32_e32 v5, 0x3ffffff0, v1
	v_mov_b32_e32 v1, 0
	v_max_i32_e32 v100, s45, v5
	s_and_saveexec_b32 s21, s16
	s_cbranch_execnz .LBB6_5461
; %bb.16201:                            ;   in Loop: Header=BB6_47 Depth=1
	s_getpc_b64 s[34:35]
.Lpost_getpc41:
	s_add_u32 s34, s34, (.LBB6_15581-.Lpost_getpc41)&4294967295
	s_addc_u32 s35, s35, (.LBB6_15581-.Lpost_getpc41)>>32
	s_setpc_b64 s[34:35]
.LBB6_5461:                             ;   in Loop: Header=BB6_47 Depth=1
	buffer_load_dword v1, off, s[0:3], s33 offset:188 ; 4-byte Folded Reload
	v_mov_b32_e32 v103, 0
	s_mov_b32 s63, 1
	s_mov_b32 s62, -1
	s_mov_b32 s61, 0
	s_waitcnt vmcnt(0)
	v_add_co_u32 v1, vcc_lo, v8, v1
	buffer_store_dword v1, off, s[0:3], s33 offset:228 ; 4-byte Folded Spill
	buffer_load_dword v1, off, s[0:3], s33 offset:192 ; 4-byte Folded Reload
	s_waitcnt vmcnt(0)
	v_add_co_ci_u32_e64 v1, null, v9, v1, vcc_lo
	buffer_store_dword v1, off, s[0:3], s33 offset:232 ; 4-byte Folded Spill
	s_branch .LBB6_5463
.LBB6_5462:                             ;   in Loop: Header=BB6_5463 Depth=2
	s_or_b32 exec_lo, exec_lo, s16
	v_add_nc_u32_e32 v103, v100, v103
	s_xor_b32 s16, s62, -1
	v_mov_b32_e32 v1, s63
	s_mov_b32 s62, 0
	s_mov_b32 s63, 2
	v_cmp_ge_i32_e32 vcc_lo, v103, v3
	s_or_b32 s16, s16, vcc_lo
	s_and_b32 s16, exec_lo, s16
	s_or_b32 s61, s16, s61
	s_andn2_b32 exec_lo, exec_lo, s61
	s_cbranch_execnz .LBB6_5463
; %bb.16203:                            ;   in Loop: Header=BB6_47 Depth=1
	s_getpc_b64 s[34:35]
.Lpost_getpc42:
	s_add_u32 s34, s34, (.LBB6_15580-.Lpost_getpc42)&4294967295
	s_addc_u32 s35, s35, (.LBB6_15580-.Lpost_getpc42)>>32
	s_setpc_b64 s[34:35]
.LBB6_5463:                             ;   Parent Loop BB6_47 Depth=1
                                        ; =>  This Loop Header: Depth=2
                                        ;       Child Loop BB6_5471 Depth 3
                                        ;       Child Loop BB6_5499 Depth 3
	;; [unrolled: 1-line block ×5, first 2 shown]
                                        ;         Child Loop BB6_8943 Depth 4
                                        ;       Child Loop BB6_9081 Depth 3
                                        ;       Child Loop BB6_10491 Depth 3
                                        ;         Child Loop BB6_10528 Depth 4
                                        ;       Child Loop BB6_10551 Depth 3
                                        ;       Child Loop BB6_13372 Depth 3
	;; [unrolled: 1-line block ×6, first 2 shown]
	s_and_saveexec_b32 s17, s4
	s_cbranch_execz .LBB6_5465
; %bb.5464:                             ;   in Loop: Header=BB6_5463 Depth=2
	s_trap 2
	ds_read2_b64 v[8:11], v0 offset1:1
	ds_read_b64 v[4:5], v0
	s_clause 0x1
	buffer_load_dword v12, off, s[0:3], s33 offset:228
	buffer_load_dword v13, off, s[0:3], s33 offset:232
	v_ashrrev_i32_e32 v1, 31, v103
	s_waitcnt vmcnt(1) lgkmcnt(1)
	v_add_co_u32 v8, vcc_lo, v8, v12
	s_waitcnt vmcnt(0)
	v_add_co_ci_u32_e64 v9, null, v9, v13, vcc_lo
	v_add_co_u32 v10, vcc_lo, v10, v12
	v_add_co_ci_u32_e64 v11, null, v11, v13, vcc_lo
	s_waitcnt lgkmcnt(0)
	v_add_co_u32 v12, vcc_lo, v4, v12
	v_add_co_ci_u32_e64 v13, null, v5, v13, vcc_lo
	v_add_co_u32 v8, vcc_lo, v8, v103
	v_add_co_ci_u32_e64 v9, null, v9, v1, vcc_lo
	;; [unrolled: 2-line block ×3, first 2 shown]
	v_cmp_ne_u64_e32 vcc_lo, 0, v[4:5]
	v_add_co_u32 v4, s16, v10, v103
	v_add_co_ci_u32_e64 v5, null, v11, v1, s16
	v_cndmask_b32_e32 v11, 0, v13, vcc_lo
	v_cndmask_b32_e32 v10, 0, v12, vcc_lo
	ds_write_b64 v0, v[8:9]
	ds_write_b64 v0, v[4:5]
	;; [unrolled: 1-line block ×3, first 2 shown]
.LBB6_5465:                             ;   in Loop: Header=BB6_5463 Depth=2
	s_or_b32 exec_lo, exec_lo, s17
	v_sub_nc_u32_e32 v1, v3, v103
	v_and_b32_e32 v4, 12, v44
	s_mov_b32 s17, exec_lo
	v_min_i32_e32 v100, v100, v1
	v_cmpx_ne_u32_e32 0, v4
	s_cbranch_execz .LBB6_5491
; %bb.5466:                             ;   in Loop: Header=BB6_5463 Depth=2
	v_and_b32_e32 v1, 8, v44
	s_mov_b32 s18, exec_lo
	s_waitcnt vmcnt(0) lgkmcnt(1)
	v_add_co_u32 v4, vcc_lo, v80, v1
	v_add_co_ci_u32_e64 v5, null, 0, v81, vcc_lo
	v_add_co_u32 v8, vcc_lo, v96, 2
	v_add_co_ci_u32_e64 v9, null, 0, v97, vcc_lo
	v_cmpx_lt_u64_e64 v[4:5], v[8:9]
	s_cbranch_execz .LBB6_5478
; %bb.5467:                             ;   in Loop: Header=BB6_5463 Depth=2
	v_and_b32_e32 v4, 64, v44
	s_mov_b32 s19, 0
	s_mov_b32 s73, 0
                                        ; implicit-def: $sgpr22
                                        ; implicit-def: $sgpr23
                                        ; implicit-def: $sgpr72
	v_cmp_eq_u32_e32 vcc_lo, 0, v4
	s_branch .LBB6_5471
.LBB6_5468:                             ;   in Loop: Header=BB6_5471 Depth=3
	s_waitcnt vmcnt(0) lgkmcnt(0)
	v_add_co_u32 v10, s16, v80, v1
	v_add_co_ci_u32_e64 v11, null, 0, v81, s16
	s_or_b32 s76, s76, exec_lo
	v_cmp_ge_u64_e64 s16, v[10:11], v[8:9]
	s_orn2_b32 s75, s16, exec_lo
.LBB6_5469:                             ;   in Loop: Header=BB6_5471 Depth=3
	s_or_b32 exec_lo, exec_lo, s78
	s_andn2_b32 s16, s72, exec_lo
	s_and_b32 s72, s76, exec_lo
	s_andn2_b32 s23, s23, exec_lo
	s_and_b32 s75, s75, exec_lo
	s_or_b32 s72, s16, s72
	s_or_b32 s23, s23, s75
.LBB6_5470:                             ;   in Loop: Header=BB6_5471 Depth=3
	s_or_b32 exec_lo, exec_lo, s74
	s_and_b32 s16, exec_lo, s23
	s_or_b32 s19, s16, s19
	s_andn2_b32 s16, s22, exec_lo
	s_and_b32 s22, s72, exec_lo
	s_or_b32 s22, s16, s22
	s_andn2_b32 exec_lo, exec_lo, s19
	s_cbranch_execz .LBB6_5475
.LBB6_5471:                             ;   Parent Loop BB6_47 Depth=1
                                        ;     Parent Loop BB6_5463 Depth=2
                                        ; =>    This Inner Loop Header: Depth=3
	s_sleep 1
	s_waitcnt vmcnt(0) lgkmcnt(0)
	flat_load_dwordx2 v[80:81], v[64:65] glc dlc
	s_or_b32 s72, s72, exec_lo
	s_or_b32 s23, s23, exec_lo
                                        ; implicit-def: $vgpr4
	s_and_saveexec_b32 s74, vcc_lo
	s_cbranch_execz .LBB6_5470
; %bb.5472:                             ;   in Loop: Header=BB6_5471 Depth=3
	s_cmpk_lt_i32 s73, 0x270f
	s_mov_b32 s75, -1
	s_cselect_b32 s77, -1, 0
	s_cmpk_gt_i32 s73, 0x270e
	s_cbranch_scc0 .LBB6_5474
; %bb.5473:                             ;   in Loop: Header=BB6_5471 Depth=3
	s_trap 2
	ds_read_b64 v[4:5], v0
	s_andn2_b32 s73, s77, exec_lo
	s_mov_b32 s76, 0
	s_waitcnt vmcnt(0) lgkmcnt(0)
	s_waitcnt_vscnt null, 0x0
	flat_load_dword v4, v[4:5] glc dlc
	s_waitcnt vmcnt(0) lgkmcnt(0)
	buffer_gl1_inv
	buffer_gl0_inv
	v_cmp_eq_u32_e64 s16, 0, v4
	s_and_b32 s16, s16, exec_lo
	s_or_b32 s77, s73, s16
	s_mov_b32 s73, 0
	s_and_saveexec_b32 s78, s77
	s_cbranch_execz .LBB6_5469
	s_branch .LBB6_5468
.LBB6_5474:                             ;   in Loop: Header=BB6_5471 Depth=3
	s_add_i32 s73, s73, 1
	s_mov_b32 s76, -1
                                        ; implicit-def: $vgpr4
	s_and_saveexec_b32 s78, s77
	s_cbranch_execz .LBB6_5469
	s_branch .LBB6_5468
.LBB6_5475:                             ;   in Loop: Header=BB6_5463 Depth=2
	s_or_b32 exec_lo, exec_lo, s19
	s_xor_b32 s16, s22, -1
	s_and_saveexec_b32 s19, s16
	s_xor_b32 s16, exec_lo, s19
	s_cbranch_execz .LBB6_5477
; %bb.5476:                             ;   in Loop: Header=BB6_5463 Depth=2
	v_or_b32_e32 v44, 64, v44
	s_waitcnt vmcnt(0) lgkmcnt(0)
	s_waitcnt_vscnt null, 0x0
	ds_write_b32 v0, v4
	s_trap 2
.LBB6_5477:                             ;   in Loop: Header=BB6_5463 Depth=2
	s_or_b32 exec_lo, exec_lo, s16
.LBB6_5478:                             ;   in Loop: Header=BB6_5463 Depth=2
	s_or_b32 exec_lo, exec_lo, s18
	v_and_b32_e32 v4, 0x108, v44
	s_mov_b32 s16, exec_lo
	;;#ASMSTART
	s_wakeup
	;;#ASMEND
                                        ; implicit-def: $vgpr10_vgpr11
	v_cmpx_ne_u32_e32 0x108, v4
	s_xor_b32 s16, exec_lo, s16
; %bb.5479:                             ;   in Loop: Header=BB6_5463 Depth=2
	v_and_b32_e32 v10, 7, v96
	v_mov_b32_e32 v11, v2
                                        ; implicit-def: $vgpr96_vgpr97
; %bb.5480:                             ;   in Loop: Header=BB6_5463 Depth=2
	s_andn2_saveexec_b32 s16, s16
	s_cbranch_execz .LBB6_5482
; %bb.5481:                             ;   in Loop: Header=BB6_5463 Depth=2
	v_and_b32_e32 v10, 7, v96
	v_ashrrev_i32_e32 v101, 31, v100
	v_mov_b32_e32 v11, v2
	v_mad_u64_u32 v[4:5], null, v10, 24, v[6:7]
	flat_store_dwordx2 v[4:5], v[100:101] offset:8
.LBB6_5482:                             ;   in Loop: Header=BB6_5463 Depth=2
	s_or_b32 exec_lo, exec_lo, s16
	v_and_b32_e32 v4, 0x100, v44
	s_mov_b32 s16, -1
	s_mov_b32 s18, exec_lo
                                        ; implicit-def: $vgpr12_vgpr13
	v_cmpx_ne_u32_e32 0, v4
	s_cbranch_execz .LBB6_5486
; %bb.5483:                             ;   in Loop: Header=BB6_5463 Depth=2
	v_mad_u64_u32 v[14:15], null, v10, 24, v[6:7]
	s_mov_b32 s19, exec_lo
                                        ; implicit-def: $vgpr12_vgpr13
	v_mov_b32_e32 v4, v15
	v_mad_u64_u32 v[4:5], null, v11, 24, v[4:5]
	v_mov_b32_e32 v15, v4
	flat_load_dword v4, v[14:15]
	s_waitcnt vmcnt(0) lgkmcnt(0)
	v_cmp_ne_u32_e32 vcc_lo, 1, v4
	v_cmpx_eq_u32_e32 1, v4
	s_cbranch_execz .LBB6_5485
; %bb.5484:                             ;   in Loop: Header=BB6_5463 Depth=2
	flat_load_dword v12, v[14:15] offset:4 glc dlc
	s_waitcnt vmcnt(0) lgkmcnt(0)
	v_ashrrev_i32_e32 v13, 31, v12
.LBB6_5485:                             ;   in Loop: Header=BB6_5463 Depth=2
	s_or_b32 exec_lo, exec_lo, s19
	s_orn2_b32 s16, vcc_lo, exec_lo
.LBB6_5486:                             ;   in Loop: Header=BB6_5463 Depth=2
	s_or_b32 exec_lo, exec_lo, s18
	s_and_saveexec_b32 s18, s16
	s_cbranch_execz .LBB6_5488
; %bb.5487:                             ;   in Loop: Header=BB6_5463 Depth=2
	v_ashrrev_i32_e32 v5, 31, v45
	v_mul_lo_u32 v4, v11, v45
	v_mad_u64_u32 v[12:13], null, v10, v45, 0
	v_mul_lo_u32 v5, v10, v5
	v_add3_u32 v13, v13, v5, v4
.LBB6_5488:                             ;   in Loop: Header=BB6_5463 Depth=2
	s_or_b32 exec_lo, exec_lo, s18
	v_cmp_eq_u32_e32 vcc_lo, 0, v1
	v_mov_b32_e32 v1, 0x90
	v_and_b32_e32 v10, 0x2000, v44
	s_mov_b32 s16, exec_lo
	v_cndmask_b32_e32 v1, 0xd0, v1, vcc_lo
	v_add_co_u32 v4, vcc_lo, v66, v12
	v_add_co_ci_u32_e64 v5, null, v67, v13, vcc_lo
	v_add_nc_u32_e32 v1, v0, v1
	ds_write_b64 v1, v[4:5] offset:584
	v_cmpx_ne_u32_e32 0, v10
	s_cbranch_execz .LBB6_5490
; %bb.5489:                             ;   in Loop: Header=BB6_5463 Depth=2
	ds_read_b64 v[4:5], v0 offset:872
	s_waitcnt lgkmcnt(0)
	v_add_co_u32 v4, vcc_lo, v4, 1
	v_add_co_ci_u32_e64 v5, null, 0, v5, vcc_lo
	ds_write_b64 v0, v[4:5] offset:872
.LBB6_5490:                             ;   in Loop: Header=BB6_5463 Depth=2
	s_or_b32 exec_lo, exec_lo, s16
	v_mov_b32_e32 v97, v9
	v_mov_b32_e32 v96, v8
.LBB6_5491:                             ;   in Loop: Header=BB6_5463 Depth=2
	s_or_b32 exec_lo, exec_lo, s17
	s_and_saveexec_b32 s16, s6
	s_cbranch_execz .LBB6_5510
; %bb.5492:                             ;   in Loop: Header=BB6_5463 Depth=2
	s_and_saveexec_b32 s17, s29
	s_xor_b32 s17, exec_lo, s17
	s_cbranch_execz .LBB6_5507
; %bb.5493:                             ;   in Loop: Header=BB6_5463 Depth=2
	s_and_saveexec_b32 s18, s11
	s_cbranch_execz .LBB6_5506
; %bb.5494:                             ;   in Loop: Header=BB6_5463 Depth=2
	s_mov_b32 s22, exec_lo
	s_mov_b32 s19, exec_lo
	v_mbcnt_lo_u32_b32 v1, s22, 0
	s_waitcnt vmcnt(0) lgkmcnt(0)
	s_waitcnt_vscnt null, 0x0
	buffer_gl1_inv
	buffer_gl0_inv
	v_cmpx_eq_u32_e32 0, v1
	s_cbranch_execz .LBB6_5496
; %bb.5495:                             ;   in Loop: Header=BB6_5463 Depth=2
	s_bcnt1_i32_b32 s22, s22
	v_mov_b32_e32 v5, v2
	v_mov_b32_e32 v4, s22
	ds_add_u64 v0, v[4:5]
	s_trap 2
.LBB6_5496:                             ;   in Loop: Header=BB6_5463 Depth=2
	s_or_b32 exec_lo, exec_lo, s19
	s_trap 2
	ds_read_b64 v[4:5], v0
	s_waitcnt lgkmcnt(0)
	buffer_gl0_inv
	v_add_co_u32 v70, vcc_lo, v70, v47
	v_add_co_ci_u32_e64 v71, null, 0, v71, vcc_lo
	s_mov_b32 s19, exec_lo
	v_cmpx_lt_u64_e64 v[4:5], v[70:71]
	s_cbranch_execz .LBB6_5505
; %bb.5497:                             ;   in Loop: Header=BB6_5463 Depth=2
	s_mov_b32 s22, 0
	s_mov_b32 s73, 0
                                        ; implicit-def: $sgpr23
                                        ; implicit-def: $sgpr72
	s_inst_prefetch 0x1
	s_branch .LBB6_5499
	.p2align	6
.LBB6_5498:                             ;   in Loop: Header=BB6_5499 Depth=3
	s_or_b32 exec_lo, exec_lo, s75
	s_and_b32 s74, exec_lo, s76
	s_or_b32 s22, s74, s22
	s_andn2_b32 s23, s23, exec_lo
	s_and_b32 s74, s72, exec_lo
	s_or_b32 s23, s23, s74
	s_andn2_b32 exec_lo, exec_lo, s22
	s_cbranch_execz .LBB6_5503
.LBB6_5499:                             ;   Parent Loop BB6_47 Depth=1
                                        ;     Parent Loop BB6_5463 Depth=2
                                        ; =>    This Inner Loop Header: Depth=3
	s_add_i32 s73, s73, 1
	s_cmpk_lg_i32 s73, 0x2710
	s_cselect_b32 s74, -1, 0
	s_and_b32 vcc_lo, exec_lo, s74
	s_cbranch_vccz .LBB6_5501
; %bb.5500:                             ;   in Loop: Header=BB6_5499 Depth=3
	s_mov_b32 s76, -1
	s_or_b32 s72, s72, exec_lo
	s_and_saveexec_b32 s75, s74
	s_cbranch_execz .LBB6_5498
	s_branch .LBB6_5502
	.p2align	6
.LBB6_5501:                             ;   in Loop: Header=BB6_5499 Depth=3
	s_trap 2
	ds_read_b64 v[4:5], v0
	s_andn2_b32 s74, s74, exec_lo
	s_mov_b32 s73, 0
	s_waitcnt lgkmcnt(0)
	flat_load_dword v1, v[4:5] glc dlc
	s_waitcnt vmcnt(0) lgkmcnt(0)
	buffer_gl1_inv
	buffer_gl0_inv
	v_cmp_eq_u32_e32 vcc_lo, 0, v1
	s_and_b32 s75, vcc_lo, exec_lo
	s_or_b32 s74, s74, s75
	s_mov_b32 s76, -1
	s_or_b32 s72, s72, exec_lo
	s_and_saveexec_b32 s75, s74
	s_cbranch_execz .LBB6_5498
.LBB6_5502:                             ;   in Loop: Header=BB6_5499 Depth=3
	s_sleep 1
	s_trap 2
	ds_read_b64 v[4:5], v0
	s_waitcnt lgkmcnt(0)
	buffer_gl0_inv
	s_andn2_b32 s72, s72, exec_lo
	v_cmp_ge_u64_e32 vcc_lo, v[4:5], v[70:71]
	s_orn2_b32 s76, vcc_lo, exec_lo
	s_branch .LBB6_5498
.LBB6_5503:                             ;   in Loop: Header=BB6_5463 Depth=2
	s_inst_prefetch 0x2
	s_or_b32 exec_lo, exec_lo, s22
	s_and_saveexec_b32 s22, s23
	s_xor_b32 s22, exec_lo, s22
	s_cbranch_execz .LBB6_5505
; %bb.5504:                             ;   in Loop: Header=BB6_5463 Depth=2
	ds_write_b32 v0, v59
	s_trap 2
.LBB6_5505:                             ;   in Loop: Header=BB6_5463 Depth=2
	s_or_b32 exec_lo, exec_lo, s19
	;;#ASMSTART
	s_wakeup
	;;#ASMEND
.LBB6_5506:                             ;   in Loop: Header=BB6_5463 Depth=2
	s_or_b32 exec_lo, exec_lo, s18
.LBB6_5507:                             ;   in Loop: Header=BB6_5463 Depth=2
	s_andn2_saveexec_b32 s17, s17
	s_cbranch_execz .LBB6_5509
; %bb.5508:                             ;   in Loop: Header=BB6_5463 Depth=2
	s_waitcnt vmcnt(0) lgkmcnt(0)
	s_waitcnt_vscnt null, 0x0
	buffer_gl1_inv
	buffer_gl0_inv
	s_barrier
.LBB6_5509:                             ;   in Loop: Header=BB6_5463 Depth=2
	s_or_b32 exec_lo, exec_lo, s17
.LBB6_5510:                             ;   in Loop: Header=BB6_5463 Depth=2
	s_or_b32 exec_lo, exec_lo, s16
	s_trap 2
	ds_read_b32 v1, v0
	v_and_b32_e32 v4, 0x4000, v44
	s_xor_b32 s16, s5, -1
	v_cmp_ne_u32_e32 vcc_lo, 0, v4
	s_and_b32 s17, s16, vcc_lo
	s_and_saveexec_b32 s16, s17
	s_cbranch_execz .LBB6_5529
; %bb.5511:                             ;   in Loop: Header=BB6_5463 Depth=2
	s_and_saveexec_b32 s17, s29
	s_xor_b32 s17, exec_lo, s17
	s_cbranch_execz .LBB6_5526
; %bb.5512:                             ;   in Loop: Header=BB6_5463 Depth=2
	s_and_saveexec_b32 s18, s11
	s_cbranch_execz .LBB6_5525
; %bb.5513:                             ;   in Loop: Header=BB6_5463 Depth=2
	s_mov_b32 s22, exec_lo
	s_mov_b32 s19, exec_lo
	v_mbcnt_lo_u32_b32 v4, s22, 0
	s_waitcnt vmcnt(0) lgkmcnt(0)
	s_waitcnt_vscnt null, 0x0
	buffer_gl1_inv
	buffer_gl0_inv
	v_cmpx_eq_u32_e32 0, v4
	s_cbranch_execz .LBB6_5515
; %bb.5514:                             ;   in Loop: Header=BB6_5463 Depth=2
	s_bcnt1_i32_b32 s22, s22
	v_mov_b32_e32 v5, v2
	v_mov_b32_e32 v4, s22
	ds_add_u64 v0, v[4:5]
	s_trap 2
.LBB6_5515:                             ;   in Loop: Header=BB6_5463 Depth=2
	s_or_b32 exec_lo, exec_lo, s19
	s_trap 2
	ds_read_b64 v[4:5], v0
	s_waitcnt lgkmcnt(0)
	buffer_gl0_inv
	v_add_co_u32 v70, vcc_lo, v70, v47
	v_add_co_ci_u32_e64 v71, null, 0, v71, vcc_lo
	s_mov_b32 s19, exec_lo
	v_cmpx_lt_u64_e64 v[4:5], v[70:71]
	s_cbranch_execz .LBB6_5524
; %bb.5516:                             ;   in Loop: Header=BB6_5463 Depth=2
	s_mov_b32 s22, 0
	s_mov_b32 s73, 0
                                        ; implicit-def: $sgpr23
                                        ; implicit-def: $sgpr72
	s_inst_prefetch 0x1
	s_branch .LBB6_5518
	.p2align	6
.LBB6_5517:                             ;   in Loop: Header=BB6_5518 Depth=3
	s_or_b32 exec_lo, exec_lo, s75
	s_and_b32 s74, exec_lo, s76
	s_or_b32 s22, s74, s22
	s_andn2_b32 s23, s23, exec_lo
	s_and_b32 s74, s72, exec_lo
	s_or_b32 s23, s23, s74
	s_andn2_b32 exec_lo, exec_lo, s22
	s_cbranch_execz .LBB6_5522
.LBB6_5518:                             ;   Parent Loop BB6_47 Depth=1
                                        ;     Parent Loop BB6_5463 Depth=2
                                        ; =>    This Inner Loop Header: Depth=3
	s_add_i32 s73, s73, 1
	s_cmpk_lg_i32 s73, 0x2710
	s_cselect_b32 s74, -1, 0
	s_and_b32 vcc_lo, exec_lo, s74
	s_cbranch_vccz .LBB6_5520
; %bb.5519:                             ;   in Loop: Header=BB6_5518 Depth=3
	s_mov_b32 s76, -1
	s_or_b32 s72, s72, exec_lo
	s_and_saveexec_b32 s75, s74
	s_cbranch_execz .LBB6_5517
	s_branch .LBB6_5521
	.p2align	6
.LBB6_5520:                             ;   in Loop: Header=BB6_5518 Depth=3
	s_trap 2
	ds_read_b64 v[4:5], v0
	s_andn2_b32 s74, s74, exec_lo
	s_mov_b32 s73, 0
	s_waitcnt lgkmcnt(0)
	flat_load_dword v4, v[4:5] glc dlc
	s_waitcnt vmcnt(0) lgkmcnt(0)
	buffer_gl1_inv
	buffer_gl0_inv
	v_cmp_eq_u32_e32 vcc_lo, 0, v4
	s_and_b32 s75, vcc_lo, exec_lo
	s_or_b32 s74, s74, s75
	s_mov_b32 s76, -1
	s_or_b32 s72, s72, exec_lo
	s_and_saveexec_b32 s75, s74
	s_cbranch_execz .LBB6_5517
.LBB6_5521:                             ;   in Loop: Header=BB6_5518 Depth=3
	s_sleep 1
	s_trap 2
	ds_read_b64 v[4:5], v0
	s_waitcnt lgkmcnt(0)
	buffer_gl0_inv
	s_andn2_b32 s72, s72, exec_lo
	v_cmp_ge_u64_e32 vcc_lo, v[4:5], v[70:71]
	s_orn2_b32 s76, vcc_lo, exec_lo
	s_branch .LBB6_5517
.LBB6_5522:                             ;   in Loop: Header=BB6_5463 Depth=2
	s_inst_prefetch 0x2
	s_or_b32 exec_lo, exec_lo, s22
	s_and_saveexec_b32 s22, s23
	s_xor_b32 s22, exec_lo, s22
	s_cbranch_execz .LBB6_5524
; %bb.5523:                             ;   in Loop: Header=BB6_5463 Depth=2
	ds_write_b32 v0, v59
	s_trap 2
.LBB6_5524:                             ;   in Loop: Header=BB6_5463 Depth=2
	s_or_b32 exec_lo, exec_lo, s19
	;;#ASMSTART
	s_wakeup
	;;#ASMEND
.LBB6_5525:                             ;   in Loop: Header=BB6_5463 Depth=2
	s_or_b32 exec_lo, exec_lo, s18
.LBB6_5526:                             ;   in Loop: Header=BB6_5463 Depth=2
	s_andn2_saveexec_b32 s17, s17
	s_cbranch_execz .LBB6_5528
; %bb.5527:                             ;   in Loop: Header=BB6_5463 Depth=2
	s_waitcnt vmcnt(0) lgkmcnt(0)
	s_waitcnt_vscnt null, 0x0
	buffer_gl1_inv
	buffer_gl0_inv
	s_barrier
.LBB6_5528:                             ;   in Loop: Header=BB6_5463 Depth=2
	s_or_b32 exec_lo, exec_lo, s17
.LBB6_5529:                             ;   in Loop: Header=BB6_5463 Depth=2
	s_or_b32 exec_lo, exec_lo, s16
	s_trap 2
	ds_read_b64 v[101:102], v0
	s_waitcnt lgkmcnt(0)
	v_cmp_eq_u64_e32 vcc_lo, 0, v[101:102]
	s_cbranch_vccnz .LBB6_5538
; %bb.5530:                             ;   in Loop: Header=BB6_5463 Depth=2
	s_trap 2
	ds_read_b64 v[4:5], v0
	s_waitcnt lgkmcnt(0)
	buffer_store_dword v4, off, s[0:3], s33 offset:220 ; 4-byte Folded Spill
	buffer_store_dword v5, off, s[0:3], s33 offset:224 ; 4-byte Folded Spill
	v_cmp_eq_u64_e32 vcc_lo, 0, v[4:5]
	s_cbranch_vccnz .LBB6_5538
; %bb.5531:                             ;   in Loop: Header=BB6_5463 Depth=2
	s_trap 2
	ds_read_b64 v[114:115], v0
	v_cmp_eq_u32_e64 s16, 0, v1
	v_cndmask_b32_e64 v5, 0, v100, s16
	s_mov_b32 s16, -1
	buffer_store_dword v5, off, s[0:3], s33 offset:216 ; 4-byte Folded Spill
	s_waitcnt lgkmcnt(0)
	v_cmp_ne_u64_e32 vcc_lo, 0, v[114:115]
	v_readfirstlane_b32 s72, v114
	s_cbranch_vccnz .LBB6_5532
; %bb.16205:                            ;   in Loop: Header=BB6_5463 Depth=2
	s_getpc_b64 s[34:35]
.Lpost_getpc43:
	s_add_u32 s34, s34, (.LBB6_10539-.Lpost_getpc43)&4294967295
	s_addc_u32 s35, s35, (.LBB6_10539-.Lpost_getpc43)>>32
	s_setpc_b64 s[34:35]
.LBB6_5532:                             ;   in Loop: Header=BB6_5463 Depth=2
	s_and_saveexec_b32 s17, s14
	s_cbranch_execz .LBB6_5534
; %bb.5533:                             ;   in Loop: Header=BB6_5463 Depth=2
	ds_read_b32 v1, v0 offset:720
	s_waitcnt lgkmcnt(0)
	v_and_b32_e32 v1, 15, v1
	v_cmp_eq_u32_e32 vcc_lo, 0, v1
	s_orn2_b32 s16, vcc_lo, exec_lo
.LBB6_5534:                             ;   in Loop: Header=BB6_5463 Depth=2
	s_or_b32 exec_lo, exec_lo, s17
	s_and_saveexec_b32 s17, s14
	s_cbranch_execz .LBB6_5536
; %bb.5535:                             ;   in Loop: Header=BB6_5463 Depth=2
	ds_read_b32 v1, v0 offset:784
	s_waitcnt lgkmcnt(0)
	v_and_b32_e32 v1, 15, v1
	v_cmp_eq_u32_e32 vcc_lo, 0, v1
	s_and_b32 s18, s16, vcc_lo
	s_andn2_b32 s16, s16, exec_lo
	s_and_b32 s18, s18, exec_lo
	s_or_b32 s16, s16, s18
.LBB6_5536:                             ;   in Loop: Header=BB6_5463 Depth=2
	s_or_b32 exec_lo, exec_lo, s17
	s_xor_b32 s16, s16, -1
	v_mov_b32_e32 v4, 0
	v_cndmask_b32_e64 v1, 0, 1, s16
	v_mov_b32_e32 v16, v0
	s_mov_b32 s16, -1
	v_cmp_ne_u32_e32 vcc_lo, 0, v1
	s_cbranch_vccz .LBB6_5543
; %bb.5537:                             ;   in Loop: Header=BB6_5463 Depth=2
	s_and_saveexec_b32 s22, s16
	s_cbranch_execnz .LBB6_9076
; %bb.16207:                            ;   in Loop: Header=BB6_5463 Depth=2
	s_getpc_b64 s[34:35]
.Lpost_getpc44:
	s_add_u32 s34, s34, (.LBB6_10538-.Lpost_getpc44)&4294967295
	s_addc_u32 s35, s35, (.LBB6_10538-.Lpost_getpc44)>>32
	s_setpc_b64 s[34:35]
.LBB6_5538:                             ;   in Loop: Header=BB6_5463 Depth=2
	s_mov_b32 s16, 0
	s_and_saveexec_b32 s17, s6
	s_cbranch_execz .LBB6_5539
; %bb.16209:                            ;   in Loop: Header=BB6_5463 Depth=2
	s_getpc_b64 s[34:35]
.Lpost_getpc45:
	s_add_u32 s34, s34, (.LBB6_15539-.Lpost_getpc45)&4294967295
	s_addc_u32 s35, s35, (.LBB6_15539-.Lpost_getpc45)>>32
	s_setpc_b64 s[34:35]
.LBB6_5539:                             ;   in Loop: Header=BB6_5463 Depth=2
	s_or_b32 exec_lo, exec_lo, s17
                                        ; implicit-def: $vgpr1
	s_and_saveexec_b32 s17, s15
	s_xor_b32 s17, exec_lo, s17
	s_cbranch_execnz .LBB6_5540
; %bb.16211:                            ;   in Loop: Header=BB6_5463 Depth=2
	s_getpc_b64 s[34:35]
.Lpost_getpc46:
	s_add_u32 s34, s34, (.LBB6_15557-.Lpost_getpc46)&4294967295
	s_addc_u32 s35, s35, (.LBB6_15557-.Lpost_getpc46)>>32
	s_setpc_b64 s[34:35]
.LBB6_5540:                             ;   in Loop: Header=BB6_5463 Depth=2
	v_and_b32_e32 v1, 16, v44
	v_cmp_ne_u32_e32 vcc_lo, 0, v1
	v_and_b32_e32 v1, 16, v44
	s_and_b32 s18, vcc_lo, s16
	s_and_saveexec_b32 s16, s18
	s_cbranch_execz .LBB6_5542
; %bb.5541:                             ;   in Loop: Header=BB6_5463 Depth=2
	v_mov_b32_e32 v1, 1
	s_waitcnt vmcnt(0) lgkmcnt(0)
	s_waitcnt_vscnt null, 0x0
	buffer_gl1_inv
	buffer_gl0_inv
.LBB6_5542:                             ;   in Loop: Header=BB6_5463 Depth=2
	s_or_b32 exec_lo, exec_lo, s16
	s_andn2_saveexec_b32 s16, s17
	s_cbranch_execnz .LBB6_16165
; %bb.16213:                            ;   in Loop: Header=BB6_5463 Depth=2
	s_getpc_b64 s[34:35]
.Lpost_getpc47:
	s_add_u32 s34, s34, (.LBB6_15576-.Lpost_getpc47)&4294967295
	s_addc_u32 s35, s35, (.LBB6_15576-.Lpost_getpc47)>>32
	s_setpc_b64 s[34:35]
.LBB6_16165:                            ;   in Loop: Header=BB6_5463 Depth=2
	s_getpc_b64 s[34:35]
.Lpost_getpc23:
	s_add_u32 s34, s34, (.LBB6_15558-.Lpost_getpc23)&4294967295
	s_addc_u32 s35, s35, (.LBB6_15558-.Lpost_getpc23)>>32
	s_setpc_b64 s[34:35]
.LBB6_5543:                             ;   in Loop: Header=BB6_5463 Depth=2
	buffer_load_dword v4, off, s[0:3], s33 offset:216 ; 4-byte Folded Reload
	s_mov_b32 s17, exec_lo
	s_waitcnt vmcnt(0)
	v_ashrrev_i32_e32 v1, 31, v4
	v_lshrrev_b32_e32 v1, 21, v1
	v_add_nc_u32_e32 v1, v4, v1
	v_ashrrev_i32_e32 v106, 11, v1
	v_lshrrev_b32_e32 v1, 5, v0
	v_sub_nc_u32_e32 v110, v106, v1
	v_cmpx_lt_i32_e32 0, v110
	s_cbranch_execz .LBB6_8363
; %bb.5544:                             ;   in Loop: Header=BB6_5463 Depth=2
	s_trap 2
	ds_read_b64 v[4:5], v0
	s_clause 0x2
	buffer_load_dword v1, off, s[0:3], s33 offset:212
	buffer_load_dword v8, off, s[0:3], s33 offset:220
	;; [unrolled: 1-line block ×3, first 2 shown]
	s_bitcmp1_b32 s72, 0
	s_mov_b32 s18, 0
	s_cselect_b32 s19, -1, 0
	s_waitcnt vmcnt(1)
	v_add_co_u32 v116, vcc_lo, v8, v1
	s_waitcnt vmcnt(0)
	v_add_co_ci_u32_e64 v117, null, 0, v9, vcc_lo
	v_add_co_u32 v118, vcc_lo, v114, v1
	v_add_co_ci_u32_e64 v119, null, 0, v115, vcc_lo
	v_add_co_u32 v40, vcc_lo, v101, v1
	v_add_co_ci_u32_e64 v41, null, 0, v102, vcc_lo
	s_waitcnt lgkmcnt(0)
	v_add_co_u32 v42, vcc_lo, v4, v1
	v_add_co_ci_u32_e64 v43, null, 0, v5, vcc_lo
	s_branch .LBB6_5548
.LBB6_5545:                             ;   in Loop: Header=BB6_5548 Depth=3
	s_or_b32 exec_lo, exec_lo, s16
	v_lshrrev_b32_e32 v15, 20, v60
	v_min_i32_e32 v86, 15, v74
	v_cmp_gt_i32_e32 vcc_lo, 16, v74
	v_and_b32_sdwa v11, v46, v62 dst_sel:DWORD dst_unused:UNUSED_PAD src0_sel:BYTE_3 src1_sel:DWORD
	v_lshlrev_b32_e32 v86, 3, v86
	v_cndmask_b32_e32 v15, 7, v15, vcc_lo
	v_and_b32_e32 v86, 0xf8, v86
	v_or_b32_e32 v87, v74, v15
	v_and_b32_e32 v15, 7, v15
	v_cmp_ne_u32_e32 vcc_lo, 0, v87
	v_or3_b32 v11, v11, v86, v15
	v_lshlrev_b32_e32 v11, 8, v11
	v_cndmask_b32_e32 v11, 0, v11, vcc_lo
.LBB6_5546:                             ;   in Loop: Header=BB6_5548 Depth=3
	s_or_b32 exec_lo, exec_lo, s23
.LBB6_5547:                             ;   in Loop: Header=BB6_5548 Depth=3
	s_or_b32 exec_lo, exec_lo, s22
	v_or_b32_sdwa v1, v18, v1 dst_sel:WORD_1 dst_unused:UNUSED_PAD src0_sel:DWORD src1_sel:DWORD
	v_or_b32_sdwa v15, v17, v56 dst_sel:WORD_1 dst_unused:UNUSED_PAD src0_sel:DWORD src1_sel:DWORD
	v_add_co_u32 v40, vcc_lo, v40, v78
	v_add_co_ci_u32_e64 v41, null, 0, v41, vcc_lo
	v_or3_b32 v18, v31, v21, v1
	v_or_b32_sdwa v1, v19, v107 dst_sel:WORD_1 dst_unused:UNUSED_PAD src0_sel:DWORD src1_sel:DWORD
	v_or3_b32 v17, v83, v20, v15
	v_or_b32_sdwa v15, v16, v82 dst_sel:WORD_1 dst_unused:UNUSED_PAD src0_sel:DWORD src1_sel:DWORD
	v_add_co_u32 v42, vcc_lo, v42, v78
	v_or3_b32 v19, v111, v22, v1
	v_or_b32_sdwa v1, v25, v28 dst_sel:WORD_1 dst_unused:UNUSED_PAD src0_sel:DWORD src1_sel:DWORD
	v_or3_b32 v16, v35, v27, v15
	v_sub_nc_u32_e32 v110, v110, v47
	v_add_co_ci_u32_e64 v43, null, 0, v43, vcc_lo
	v_or3_b32 v25, v55, v32, v1
	v_or_b32_sdwa v1, v24, v54 dst_sel:WORD_1 dst_unused:UNUSED_PAD src0_sel:DWORD src1_sel:DWORD
	v_or3_b32 v24, v30, v51, v1
	v_or_b32_sdwa v1, v26, v84 dst_sel:WORD_1 dst_unused:UNUSED_PAD src0_sel:DWORD src1_sel:DWORD
	;; [unrolled: 2-line block ×11, first 2 shown]
	v_or3_b32 v11, v112, v14, v1
	global_store_dwordx4 v[116:117], v[28:31], off glc slc
	global_store_dwordx4 v[116:117], v[24:27], off offset:512 glc slc
	global_store_dwordx4 v[116:117], v[16:19], off offset:1024 glc slc
	;; [unrolled: 1-line block ×3, first 2 shown]
	global_store_dwordx4 v[118:119], v[28:31], off glc slc
	global_store_dwordx4 v[118:119], v[24:27], off offset:512 glc slc
	global_store_dwordx4 v[118:119], v[16:19], off offset:1024 glc slc
	;; [unrolled: 1-line block ×3, first 2 shown]
	v_add_co_u32 v116, vcc_lo, v116, v78
	v_add_co_ci_u32_e64 v117, null, 0, v117, vcc_lo
	v_add_co_u32 v118, vcc_lo, v118, v78
	v_add_co_ci_u32_e64 v119, null, 0, v119, vcc_lo
	v_cmp_gt_i32_e32 vcc_lo, 1, v110
	s_or_b32 s18, vcc_lo, s18
	s_andn2_b32 exec_lo, exec_lo, s18
	s_cbranch_execz .LBB6_8362
.LBB6_5548:                             ;   Parent Loop BB6_47 Depth=1
                                        ;     Parent Loop BB6_5463 Depth=2
                                        ; =>    This Inner Loop Header: Depth=3
	s_clause 0x3
	global_load_dwordx4 v[48:51], v[40:41], off slc
	global_load_dwordx4 v[32:35], v[40:41], off offset:512 slc
	global_load_dwordx4 v[20:23], v[40:41], off offset:1024 slc
	;; [unrolled: 1-line block ×3, first 2 shown]
	s_clause 0x3
	global_load_dwordx4 v[36:39], v[42:43], off slc
	global_load_dwordx4 v[24:27], v[42:43], off offset:512 slc
	global_load_dwordx4 v[16:19], v[42:43], off offset:1024 slc
	;; [unrolled: 1-line block ×3, first 2 shown]
	s_and_b32 vcc_lo, exec_lo, s19
	s_mov_b32 s16, -1
                                        ; implicit-def: $vgpr1
	s_waitcnt vmcnt(7)
	v_cmp_gt_i16_sdwa s22, v48, v61 src0_sel:BYTE_0 src1_sel:DWORD
	s_cbranch_vccz .LBB6_5562
; %bb.5549:                             ;   in Loop: Header=BB6_5548 Depth=3
	s_mov_b32 s16, 0
	s_and_saveexec_b32 s23, s22
	s_xor_b32 s22, exec_lo, s23
	s_cbranch_execz .LBB6_7850
; %bb.5550:                             ;   in Loop: Header=BB6_5548 Depth=3
	v_cmp_eq_u16_sdwa s73, v48, v62 src0_sel:BYTE_0 src1_sel:DWORD
	s_mov_b32 s16, -1
	s_and_saveexec_b32 s23, s73
; %bb.5551:                             ;   in Loop: Header=BB6_5548 Depth=3
	s_xor_b32 s16, exec_lo, -1
; %bb.5552:                             ;   in Loop: Header=BB6_5548 Depth=3
	s_or_b32 exec_lo, exec_lo, s23
	s_and_b32 s16, s16, exec_lo
	s_or_saveexec_b32 s22, s22
	v_mov_b32_e32 v1, 0x7f800001
	s_xor_b32 exec_lo, exec_lo, s22
	s_cbranch_execnz .LBB6_7851
.LBB6_5553:                             ;   in Loop: Header=BB6_5548 Depth=3
	s_or_b32 exec_lo, exec_lo, s22
	s_and_saveexec_b32 s22, s16
	s_cbranch_execz .LBB6_5555
.LBB6_5554:                             ;   in Loop: Header=BB6_5548 Depth=3
	v_and_b32_e32 v1, 7, v48
	v_bfe_u32 v28, v48, 3, 4
	v_lshlrev_b32_e32 v29, 24, v48
	v_ffbh_u32_e32 v4, v1
	v_cmp_eq_u32_e32 vcc_lo, 0, v28
	v_min_u32_e32 v4, 32, v4
	v_subrev_nc_u32_e32 v5, 28, v4
	v_sub_nc_u32_e32 v4, 29, v4
	v_lshlrev_b32_e32 v5, v5, v48
	v_cndmask_b32_e32 v4, v28, v4, vcc_lo
	v_and_b32_e32 v5, 7, v5
	v_lshl_add_u32 v4, v4, 23, 0x3b800000
	v_cndmask_b32_e32 v1, v1, v5, vcc_lo
	v_and_b32_e32 v5, 0x80000000, v29
	v_lshlrev_b32_e32 v1, 20, v1
	v_or3_b32 v1, v5, v4, v1
.LBB6_5555:                             ;   in Loop: Header=BB6_5548 Depth=3
	s_or_b32 exec_lo, exec_lo, s22
	s_waitcnt vmcnt(3)
	v_cmp_gt_i16_sdwa s22, v36, v61 src0_sel:BYTE_0 src1_sel:DWORD
	s_mov_b32 s16, 0
	s_and_saveexec_b32 s23, s22
	s_xor_b32 s22, exec_lo, s23
	s_cbranch_execz .LBB6_7852
; %bb.5556:                             ;   in Loop: Header=BB6_5548 Depth=3
	v_cmp_eq_u16_sdwa s73, v36, v62 src0_sel:BYTE_0 src1_sel:DWORD
	s_mov_b32 s16, -1
	s_and_saveexec_b32 s23, s73
; %bb.5557:                             ;   in Loop: Header=BB6_5548 Depth=3
	s_xor_b32 s16, exec_lo, -1
; %bb.5558:                             ;   in Loop: Header=BB6_5548 Depth=3
	s_or_b32 exec_lo, exec_lo, s23
	s_and_b32 s16, s16, exec_lo
	s_or_saveexec_b32 s22, s22
	v_mov_b32_e32 v4, 0x7f800001
	s_xor_b32 exec_lo, exec_lo, s22
	s_cbranch_execnz .LBB6_7853
.LBB6_5559:                             ;   in Loop: Header=BB6_5548 Depth=3
	s_or_b32 exec_lo, exec_lo, s22
	s_and_saveexec_b32 s22, s16
	s_cbranch_execz .LBB6_5561
.LBB6_5560:                             ;   in Loop: Header=BB6_5548 Depth=3
	v_and_b32_e32 v4, 7, v36
	v_bfe_u32 v29, v36, 3, 4
	v_lshlrev_b32_e32 v30, 24, v36
	v_ffbh_u32_e32 v5, v4
	v_cmp_eq_u32_e32 vcc_lo, 0, v29
	v_min_u32_e32 v5, 32, v5
	v_subrev_nc_u32_e32 v28, 28, v5
	v_sub_nc_u32_e32 v5, 29, v5
	v_lshlrev_b32_e32 v28, v28, v36
	v_cndmask_b32_e32 v5, v29, v5, vcc_lo
	v_and_b32_e32 v28, 7, v28
	v_lshl_add_u32 v5, v5, 23, 0x3b800000
	v_cndmask_b32_e32 v4, v4, v28, vcc_lo
	v_and_b32_e32 v28, 0x80000000, v30
	v_lshlrev_b32_e32 v4, 20, v4
	v_or3_b32 v4, v28, v5, v4
.LBB6_5561:                             ;   in Loop: Header=BB6_5548 Depth=3
	s_or_b32 exec_lo, exec_lo, s22
	v_max_f32_e32 v4, v4, v4
	v_max_f32_e32 v1, v1, v1
	s_mov_b32 s16, 0
	v_max_f32_e32 v1, v1, v4
.LBB6_5562:                             ;   in Loop: Header=BB6_5548 Depth=3
	s_and_b32 vcc_lo, exec_lo, s16
	s_cbranch_vccz .LBB6_5576
; %bb.5563:                             ;   in Loop: Header=BB6_5548 Depth=3
	v_cmp_gt_i16_sdwa s22, v48, v61 src0_sel:BYTE_0 src1_sel:DWORD
	s_mov_b32 s16, 0
	s_and_saveexec_b32 s23, s22
	s_xor_b32 s22, exec_lo, s23
	s_cbranch_execz .LBB6_7854
; %bb.5564:                             ;   in Loop: Header=BB6_5548 Depth=3
	v_cmp_eq_u16_sdwa s73, v48, v62 src0_sel:BYTE_0 src1_sel:DWORD
	s_mov_b32 s16, -1
	s_and_saveexec_b32 s23, s73
; %bb.5565:                             ;   in Loop: Header=BB6_5548 Depth=3
	s_xor_b32 s16, exec_lo, -1
; %bb.5566:                             ;   in Loop: Header=BB6_5548 Depth=3
	s_or_b32 exec_lo, exec_lo, s23
	s_and_b32 s16, s16, exec_lo
	s_or_saveexec_b32 s22, s22
	v_mov_b32_e32 v1, 0x7f800001
	s_xor_b32 exec_lo, exec_lo, s22
	s_cbranch_execnz .LBB6_7855
.LBB6_5567:                             ;   in Loop: Header=BB6_5548 Depth=3
	s_or_b32 exec_lo, exec_lo, s22
	s_and_saveexec_b32 s22, s16
	s_cbranch_execz .LBB6_5569
.LBB6_5568:                             ;   in Loop: Header=BB6_5548 Depth=3
	v_and_b32_e32 v1, 7, v48
	v_bfe_u32 v28, v48, 3, 4
	v_lshlrev_b32_e32 v29, 24, v48
	v_ffbh_u32_e32 v4, v1
	v_cmp_eq_u32_e32 vcc_lo, 0, v28
	v_min_u32_e32 v4, 32, v4
	v_subrev_nc_u32_e32 v5, 28, v4
	v_sub_nc_u32_e32 v4, 29, v4
	v_lshlrev_b32_e32 v5, v5, v48
	v_cndmask_b32_e32 v4, v28, v4, vcc_lo
	v_and_b32_e32 v5, 7, v5
	v_lshl_add_u32 v4, v4, 23, 0x3b800000
	v_cndmask_b32_e32 v1, v1, v5, vcc_lo
	v_and_b32_e32 v5, 0x80000000, v29
	v_lshlrev_b32_e32 v1, 20, v1
	v_or3_b32 v1, v5, v4, v1
.LBB6_5569:                             ;   in Loop: Header=BB6_5548 Depth=3
	s_or_b32 exec_lo, exec_lo, s22
	s_waitcnt vmcnt(3)
	v_cmp_gt_i16_sdwa s22, v36, v61 src0_sel:BYTE_0 src1_sel:DWORD
	s_mov_b32 s16, 0
	s_and_saveexec_b32 s23, s22
	s_xor_b32 s22, exec_lo, s23
	s_cbranch_execz .LBB6_7856
; %bb.5570:                             ;   in Loop: Header=BB6_5548 Depth=3
	v_cmp_eq_u16_sdwa s73, v36, v62 src0_sel:BYTE_0 src1_sel:DWORD
	s_mov_b32 s16, -1
	s_and_saveexec_b32 s23, s73
; %bb.5571:                             ;   in Loop: Header=BB6_5548 Depth=3
	s_xor_b32 s16, exec_lo, -1
; %bb.5572:                             ;   in Loop: Header=BB6_5548 Depth=3
	s_or_b32 exec_lo, exec_lo, s23
	s_and_b32 s16, s16, exec_lo
	s_or_saveexec_b32 s22, s22
	v_mov_b32_e32 v4, 0x7f800001
	s_xor_b32 exec_lo, exec_lo, s22
	s_cbranch_execnz .LBB6_7857
.LBB6_5573:                             ;   in Loop: Header=BB6_5548 Depth=3
	s_or_b32 exec_lo, exec_lo, s22
	s_and_saveexec_b32 s22, s16
	s_cbranch_execz .LBB6_5575
.LBB6_5574:                             ;   in Loop: Header=BB6_5548 Depth=3
	v_and_b32_e32 v4, 7, v36
	v_bfe_u32 v29, v36, 3, 4
	v_lshlrev_b32_e32 v30, 24, v36
	v_ffbh_u32_e32 v5, v4
	v_cmp_eq_u32_e32 vcc_lo, 0, v29
	v_min_u32_e32 v5, 32, v5
	v_subrev_nc_u32_e32 v28, 28, v5
	v_sub_nc_u32_e32 v5, 29, v5
	v_lshlrev_b32_e32 v28, v28, v36
	v_cndmask_b32_e32 v5, v29, v5, vcc_lo
	v_and_b32_e32 v28, 7, v28
	v_lshl_add_u32 v5, v5, 23, 0x3b800000
	v_cndmask_b32_e32 v4, v4, v28, vcc_lo
	v_and_b32_e32 v28, 0x80000000, v30
	v_lshlrev_b32_e32 v4, 20, v4
	v_or3_b32 v4, v28, v5, v4
.LBB6_5575:                             ;   in Loop: Header=BB6_5548 Depth=3
	s_or_b32 exec_lo, exec_lo, s22
	v_max_f32_e32 v4, v4, v4
	v_max_f32_e32 v1, v1, v1
	v_min_f32_e32 v1, v1, v4
.LBB6_5576:                             ;   in Loop: Header=BB6_5548 Depth=3
	v_and_b32_e32 v4, 0x7f800000, v1
	v_mov_b32_e32 v120, 0x80
	s_mov_b32 s22, exec_lo
	v_cmpx_ne_u32_e32 0x7f800000, v4
	s_cbranch_execz .LBB6_5584
; %bb.5577:                             ;   in Loop: Header=BB6_5548 Depth=3
	v_mov_b32_e32 v120, 0
	s_mov_b32 s23, exec_lo
	v_cmpx_ne_u32_e32 0, v1
	s_cbranch_execz .LBB6_5583
; %bb.5578:                             ;   in Loop: Header=BB6_5548 Depth=3
	v_bfe_u32 v5, v1, 23, 8
	v_and_b32_e32 v4, 0x7fffff, v1
	v_cmp_gt_u32_e64 s16, 0x79, v5
	v_sub_nc_u32_e32 v28, 0x78, v5
	v_cmp_eq_u32_e32 vcc_lo, 0, v5
	v_or_b32_e32 v29, 0x800000, v4
	v_cndmask_b32_e64 v28, 0, v28, s16
	v_cndmask_b32_e32 v4, v29, v4, vcc_lo
	v_cndmask_b32_e64 v28, v28, 0x77, vcc_lo
	v_lshl_add_u32 v29, 0x100000, v28, -1
	v_lshlrev_b32_e64 v30, v28, 0x80000
	v_and_b32_e32 v29, v29, v4
	v_cmp_eq_u32_e64 s16, v29, v30
	v_lshrrev_b32_e32 v29, v28, v4
	v_add_nc_u32_e32 v4, 0xffffff89, v5
	v_lshrrev_b32_e32 v5, 23, v29
	v_cndmask_b32_e64 v4, v4, 0xffffff8a, vcc_lo
	v_xor_b32_e32 v5, 1, v5
	v_add_nc_u32_e32 v4, v28, v4
	v_bfe_u32 v28, v29, 20, 1
	v_add_nc_u32_e32 v28, -1, v28
	v_cndmask_b32_e64 v28, 0, v28, s16
	s_mov_b32 s16, exec_lo
	v_add_nc_u32_e32 v28, v28, v29
	v_and_b32_e32 v28, 0xfffff, v28
	v_add_nc_u32_e32 v29, v28, v29
                                        ; implicit-def: $vgpr28
	v_cmpx_ne_u32_e64 v4, v5
	s_xor_b32 s16, exec_lo, s16
; %bb.5579:                             ;   in Loop: Header=BB6_5548 Depth=3
	v_cmp_lt_u32_e32 vcc_lo, 0xffffff, v29
	v_sub_nc_u32_e32 v4, v4, v5
	v_cndmask_b32_e64 v5, 0, 1, vcc_lo
	v_add_co_ci_u32_e64 v28, null, 0, v4, vcc_lo
	v_lshrrev_b32_e32 v29, v5, v29
; %bb.5580:                             ;   in Loop: Header=BB6_5548 Depth=3
	s_andn2_saveexec_b32 s16, s16
; %bb.5581:                             ;   in Loop: Header=BB6_5548 Depth=3
	v_bfe_u32 v28, v29, 23, 1
; %bb.5582:                             ;   in Loop: Header=BB6_5548 Depth=3
	s_or_b32 exec_lo, exec_lo, s16
	v_lshrrev_b32_e32 v4, 20, v29
	v_min_i32_e32 v5, 15, v28
	v_cmp_gt_i32_e32 vcc_lo, 16, v28
	v_and_b32_sdwa v1, v1, v62 dst_sel:DWORD dst_unused:UNUSED_PAD src0_sel:BYTE_3 src1_sel:DWORD
	v_lshlrev_b32_e32 v5, 3, v5
	v_cndmask_b32_e32 v4, 7, v4, vcc_lo
	v_and_b32_e32 v5, 0xf8, v5
	v_and_b32_e32 v29, 7, v4
	v_or_b32_e32 v4, v28, v4
	v_or3_b32 v1, v5, v1, v29
	v_cmp_ne_u32_e32 vcc_lo, 0, v4
	v_cndmask_b32_e32 v120, 0, v1, vcc_lo
.LBB6_5583:                             ;   in Loop: Header=BB6_5548 Depth=3
	s_or_b32 exec_lo, exec_lo, s23
.LBB6_5584:                             ;   in Loop: Header=BB6_5548 Depth=3
	s_or_b32 exec_lo, exec_lo, s22
	v_cmp_gt_i16_sdwa s22, v48, v61 src0_sel:BYTE_1 src1_sel:DWORD
	s_and_b32 vcc_lo, exec_lo, s19
	s_mov_b32 s16, -1
                                        ; implicit-def: $vgpr1
	s_cbranch_vccz .LBB6_5598
; %bb.5585:                             ;   in Loop: Header=BB6_5548 Depth=3
	s_mov_b32 s16, 0
	s_and_saveexec_b32 s23, s22
	s_xor_b32 s22, exec_lo, s23
	s_cbranch_execz .LBB6_7858
; %bb.5586:                             ;   in Loop: Header=BB6_5548 Depth=3
	v_cmp_eq_u16_sdwa s73, v48, v62 src0_sel:BYTE_1 src1_sel:DWORD
	s_mov_b32 s16, -1
	s_and_saveexec_b32 s23, s73
; %bb.5587:                             ;   in Loop: Header=BB6_5548 Depth=3
	s_xor_b32 s16, exec_lo, -1
; %bb.5588:                             ;   in Loop: Header=BB6_5548 Depth=3
	s_or_b32 exec_lo, exec_lo, s23
	s_and_b32 s16, s16, exec_lo
	s_or_saveexec_b32 s22, s22
	v_mov_b32_e32 v1, 0x7f800001
	s_xor_b32 exec_lo, exec_lo, s22
	s_cbranch_execnz .LBB6_7859
.LBB6_5589:                             ;   in Loop: Header=BB6_5548 Depth=3
	s_or_b32 exec_lo, exec_lo, s22
	s_and_saveexec_b32 s22, s16
	s_cbranch_execz .LBB6_5591
.LBB6_5590:                             ;   in Loop: Header=BB6_5548 Depth=3
	v_and_b32_sdwa v1, v63, v48 dst_sel:DWORD dst_unused:UNUSED_PAD src0_sel:DWORD src1_sel:BYTE_1
	v_and_b32_e32 v4, 7, v1
	v_bfe_u32 v29, v1, 3, 4
	v_ffbh_u32_e32 v5, v4
	v_cmp_eq_u32_e32 vcc_lo, 0, v29
	v_min_u32_e32 v5, 32, v5
	v_subrev_nc_u32_e32 v28, 28, v5
	v_sub_nc_u32_e32 v5, 29, v5
	v_lshlrev_b32_e32 v1, v28, v1
	v_lshlrev_b32_e32 v28, 16, v48
	v_cndmask_b32_e32 v5, v29, v5, vcc_lo
	v_and_b32_e32 v1, 7, v1
	v_lshl_add_u32 v5, v5, 23, 0x3b800000
	v_cndmask_b32_e32 v1, v4, v1, vcc_lo
	v_and_b32_e32 v4, 0x80000000, v28
	v_lshlrev_b32_e32 v1, 20, v1
	v_or3_b32 v1, v4, v5, v1
.LBB6_5591:                             ;   in Loop: Header=BB6_5548 Depth=3
	s_or_b32 exec_lo, exec_lo, s22
	s_waitcnt vmcnt(3)
	v_cmp_gt_i16_sdwa s16, v36, v61 src0_sel:BYTE_1 src1_sel:DWORD
	s_mov_b32 s22, 0
	s_and_saveexec_b32 s23, s16
	s_xor_b32 s16, exec_lo, s23
	s_cbranch_execz .LBB6_7860
; %bb.5592:                             ;   in Loop: Header=BB6_5548 Depth=3
	v_cmp_eq_u16_sdwa s73, v36, v62 src0_sel:BYTE_1 src1_sel:DWORD
	s_mov_b32 s22, -1
	s_and_saveexec_b32 s23, s73
; %bb.5593:                             ;   in Loop: Header=BB6_5548 Depth=3
	s_xor_b32 s22, exec_lo, -1
; %bb.5594:                             ;   in Loop: Header=BB6_5548 Depth=3
	s_or_b32 exec_lo, exec_lo, s23
	s_and_b32 s22, s22, exec_lo
	s_or_saveexec_b32 s16, s16
	v_mov_b32_e32 v4, 0x7f800001
	s_xor_b32 exec_lo, exec_lo, s16
	s_cbranch_execnz .LBB6_7861
.LBB6_5595:                             ;   in Loop: Header=BB6_5548 Depth=3
	s_or_b32 exec_lo, exec_lo, s16
	s_and_saveexec_b32 s16, s22
	s_cbranch_execz .LBB6_5597
.LBB6_5596:                             ;   in Loop: Header=BB6_5548 Depth=3
	v_and_b32_sdwa v4, v63, v36 dst_sel:DWORD dst_unused:UNUSED_PAD src0_sel:DWORD src1_sel:BYTE_1
	v_and_b32_e32 v5, 7, v4
	v_bfe_u32 v30, v4, 3, 4
	v_ffbh_u32_e32 v28, v5
	v_cmp_eq_u32_e32 vcc_lo, 0, v30
	v_min_u32_e32 v28, 32, v28
	v_subrev_nc_u32_e32 v29, 28, v28
	v_sub_nc_u32_e32 v28, 29, v28
	v_lshlrev_b32_e32 v4, v29, v4
	v_lshlrev_b32_e32 v29, 16, v36
	v_cndmask_b32_e32 v28, v30, v28, vcc_lo
	v_and_b32_e32 v4, 7, v4
	v_lshl_add_u32 v28, v28, 23, 0x3b800000
	v_cndmask_b32_e32 v4, v5, v4, vcc_lo
	v_and_b32_e32 v5, 0x80000000, v29
	v_lshlrev_b32_e32 v4, 20, v4
	v_or3_b32 v4, v5, v28, v4
.LBB6_5597:                             ;   in Loop: Header=BB6_5548 Depth=3
	s_or_b32 exec_lo, exec_lo, s16
	v_max_f32_e32 v4, v4, v4
	v_max_f32_e32 v1, v1, v1
	s_mov_b32 s16, 0
	v_max_f32_e32 v1, v1, v4
.LBB6_5598:                             ;   in Loop: Header=BB6_5548 Depth=3
	s_and_b32 vcc_lo, exec_lo, s16
	s_cbranch_vccz .LBB6_5612
; %bb.5599:                             ;   in Loop: Header=BB6_5548 Depth=3
	v_cmp_gt_i16_sdwa s22, v48, v61 src0_sel:BYTE_1 src1_sel:DWORD
	s_mov_b32 s16, 0
	s_and_saveexec_b32 s23, s22
	s_xor_b32 s22, exec_lo, s23
	s_cbranch_execz .LBB6_7862
; %bb.5600:                             ;   in Loop: Header=BB6_5548 Depth=3
	v_cmp_eq_u16_sdwa s73, v48, v62 src0_sel:BYTE_1 src1_sel:DWORD
	s_mov_b32 s16, -1
	s_and_saveexec_b32 s23, s73
; %bb.5601:                             ;   in Loop: Header=BB6_5548 Depth=3
	s_xor_b32 s16, exec_lo, -1
; %bb.5602:                             ;   in Loop: Header=BB6_5548 Depth=3
	s_or_b32 exec_lo, exec_lo, s23
	s_and_b32 s16, s16, exec_lo
	s_or_saveexec_b32 s22, s22
	v_mov_b32_e32 v1, 0x7f800001
	s_xor_b32 exec_lo, exec_lo, s22
	s_cbranch_execnz .LBB6_7863
.LBB6_5603:                             ;   in Loop: Header=BB6_5548 Depth=3
	s_or_b32 exec_lo, exec_lo, s22
	s_and_saveexec_b32 s22, s16
	s_cbranch_execz .LBB6_5605
.LBB6_5604:                             ;   in Loop: Header=BB6_5548 Depth=3
	v_and_b32_sdwa v1, v63, v48 dst_sel:DWORD dst_unused:UNUSED_PAD src0_sel:DWORD src1_sel:BYTE_1
	v_and_b32_e32 v4, 7, v1
	v_bfe_u32 v29, v1, 3, 4
	v_ffbh_u32_e32 v5, v4
	v_cmp_eq_u32_e32 vcc_lo, 0, v29
	v_min_u32_e32 v5, 32, v5
	v_subrev_nc_u32_e32 v28, 28, v5
	v_sub_nc_u32_e32 v5, 29, v5
	v_lshlrev_b32_e32 v1, v28, v1
	v_lshlrev_b32_e32 v28, 16, v48
	v_cndmask_b32_e32 v5, v29, v5, vcc_lo
	v_and_b32_e32 v1, 7, v1
	v_lshl_add_u32 v5, v5, 23, 0x3b800000
	v_cndmask_b32_e32 v1, v4, v1, vcc_lo
	v_and_b32_e32 v4, 0x80000000, v28
	v_lshlrev_b32_e32 v1, 20, v1
	v_or3_b32 v1, v4, v5, v1
.LBB6_5605:                             ;   in Loop: Header=BB6_5548 Depth=3
	s_or_b32 exec_lo, exec_lo, s22
	s_waitcnt vmcnt(3)
	v_cmp_gt_i16_sdwa s16, v36, v61 src0_sel:BYTE_1 src1_sel:DWORD
	s_mov_b32 s22, 0
	s_and_saveexec_b32 s23, s16
	s_xor_b32 s16, exec_lo, s23
	s_cbranch_execz .LBB6_7864
; %bb.5606:                             ;   in Loop: Header=BB6_5548 Depth=3
	v_cmp_eq_u16_sdwa s73, v36, v62 src0_sel:BYTE_1 src1_sel:DWORD
	s_mov_b32 s22, -1
	s_and_saveexec_b32 s23, s73
; %bb.5607:                             ;   in Loop: Header=BB6_5548 Depth=3
	s_xor_b32 s22, exec_lo, -1
; %bb.5608:                             ;   in Loop: Header=BB6_5548 Depth=3
	s_or_b32 exec_lo, exec_lo, s23
	s_and_b32 s22, s22, exec_lo
	s_or_saveexec_b32 s16, s16
	v_mov_b32_e32 v4, 0x7f800001
	s_xor_b32 exec_lo, exec_lo, s16
	s_cbranch_execnz .LBB6_7865
.LBB6_5609:                             ;   in Loop: Header=BB6_5548 Depth=3
	s_or_b32 exec_lo, exec_lo, s16
	s_and_saveexec_b32 s16, s22
	s_cbranch_execz .LBB6_5611
.LBB6_5610:                             ;   in Loop: Header=BB6_5548 Depth=3
	v_and_b32_sdwa v4, v63, v36 dst_sel:DWORD dst_unused:UNUSED_PAD src0_sel:DWORD src1_sel:BYTE_1
	v_and_b32_e32 v5, 7, v4
	v_bfe_u32 v30, v4, 3, 4
	v_ffbh_u32_e32 v28, v5
	v_cmp_eq_u32_e32 vcc_lo, 0, v30
	v_min_u32_e32 v28, 32, v28
	v_subrev_nc_u32_e32 v29, 28, v28
	v_sub_nc_u32_e32 v28, 29, v28
	v_lshlrev_b32_e32 v4, v29, v4
	v_lshlrev_b32_e32 v29, 16, v36
	v_cndmask_b32_e32 v28, v30, v28, vcc_lo
	v_and_b32_e32 v4, 7, v4
	v_lshl_add_u32 v28, v28, 23, 0x3b800000
	v_cndmask_b32_e32 v4, v5, v4, vcc_lo
	v_and_b32_e32 v5, 0x80000000, v29
	v_lshlrev_b32_e32 v4, 20, v4
	v_or3_b32 v4, v5, v28, v4
.LBB6_5611:                             ;   in Loop: Header=BB6_5548 Depth=3
	s_or_b32 exec_lo, exec_lo, s16
	v_max_f32_e32 v4, v4, v4
	v_max_f32_e32 v1, v1, v1
	v_min_f32_e32 v1, v1, v4
.LBB6_5612:                             ;   in Loop: Header=BB6_5548 Depth=3
	v_and_b32_e32 v4, 0x7f800000, v1
	v_mov_b32_e32 v121, 0x8000
	s_mov_b32 s22, exec_lo
	v_cmpx_ne_u32_e32 0x7f800000, v4
	s_cbranch_execz .LBB6_5620
; %bb.5613:                             ;   in Loop: Header=BB6_5548 Depth=3
	v_mov_b32_e32 v121, 0
	s_mov_b32 s23, exec_lo
	v_cmpx_ne_u32_e32 0, v1
	s_cbranch_execz .LBB6_5619
; %bb.5614:                             ;   in Loop: Header=BB6_5548 Depth=3
	v_bfe_u32 v5, v1, 23, 8
	v_and_b32_e32 v4, 0x7fffff, v1
	v_cmp_gt_u32_e64 s16, 0x79, v5
	v_sub_nc_u32_e32 v28, 0x78, v5
	v_cmp_eq_u32_e32 vcc_lo, 0, v5
	v_or_b32_e32 v29, 0x800000, v4
	v_cndmask_b32_e64 v28, 0, v28, s16
	v_cndmask_b32_e32 v4, v29, v4, vcc_lo
	v_cndmask_b32_e64 v28, v28, 0x77, vcc_lo
	v_lshl_add_u32 v29, 0x100000, v28, -1
	v_lshlrev_b32_e64 v30, v28, 0x80000
	v_and_b32_e32 v29, v29, v4
	v_cmp_eq_u32_e64 s16, v29, v30
	v_lshrrev_b32_e32 v29, v28, v4
	v_add_nc_u32_e32 v4, 0xffffff89, v5
	v_lshrrev_b32_e32 v5, 23, v29
	v_cndmask_b32_e64 v4, v4, 0xffffff8a, vcc_lo
	v_xor_b32_e32 v5, 1, v5
	v_add_nc_u32_e32 v4, v28, v4
	v_bfe_u32 v28, v29, 20, 1
	v_add_nc_u32_e32 v28, -1, v28
	v_cndmask_b32_e64 v28, 0, v28, s16
	s_mov_b32 s16, exec_lo
	v_add_nc_u32_e32 v28, v28, v29
	v_and_b32_e32 v28, 0xfffff, v28
	v_add_nc_u32_e32 v29, v28, v29
                                        ; implicit-def: $vgpr28
	v_cmpx_ne_u32_e64 v4, v5
	s_xor_b32 s16, exec_lo, s16
; %bb.5615:                             ;   in Loop: Header=BB6_5548 Depth=3
	v_cmp_lt_u32_e32 vcc_lo, 0xffffff, v29
	v_sub_nc_u32_e32 v4, v4, v5
	v_cndmask_b32_e64 v5, 0, 1, vcc_lo
	v_add_co_ci_u32_e64 v28, null, 0, v4, vcc_lo
	v_lshrrev_b32_e32 v29, v5, v29
; %bb.5616:                             ;   in Loop: Header=BB6_5548 Depth=3
	s_andn2_saveexec_b32 s16, s16
; %bb.5617:                             ;   in Loop: Header=BB6_5548 Depth=3
	v_bfe_u32 v28, v29, 23, 1
; %bb.5618:                             ;   in Loop: Header=BB6_5548 Depth=3
	s_or_b32 exec_lo, exec_lo, s16
	v_lshrrev_b32_e32 v4, 20, v29
	v_min_i32_e32 v5, 15, v28
	v_cmp_gt_i32_e32 vcc_lo, 16, v28
	v_and_b32_sdwa v1, v1, v62 dst_sel:DWORD dst_unused:UNUSED_PAD src0_sel:BYTE_3 src1_sel:DWORD
	v_lshlrev_b32_e32 v5, 3, v5
	v_cndmask_b32_e32 v4, 7, v4, vcc_lo
	v_and_b32_e32 v5, 0xf8, v5
	v_and_b32_e32 v29, 7, v4
	v_or_b32_e32 v4, v28, v4
	v_or3_b32 v1, v1, v5, v29
	v_cmp_ne_u32_e32 vcc_lo, 0, v4
	v_lshlrev_b32_e32 v1, 8, v1
	v_cndmask_b32_e32 v121, 0, v1, vcc_lo
.LBB6_5619:                             ;   in Loop: Header=BB6_5548 Depth=3
	s_or_b32 exec_lo, exec_lo, s23
.LBB6_5620:                             ;   in Loop: Header=BB6_5548 Depth=3
	s_or_b32 exec_lo, exec_lo, s22
	v_and_b32_sdwa v1, v48, v72 dst_sel:DWORD dst_unused:UNUSED_PAD src0_sel:WORD_1 src1_sel:DWORD
	s_and_b32 vcc_lo, exec_lo, s19
	s_mov_b32 s22, -1
                                        ; implicit-def: $vgpr4
	v_cmp_lt_i16_e64 s16, 0x7f, v1
	s_cbranch_vccz .LBB6_5634
; %bb.5621:                             ;   in Loop: Header=BB6_5548 Depth=3
	s_mov_b32 s22, 0
	s_and_saveexec_b32 s23, s16
	s_xor_b32 s16, exec_lo, s23
	s_cbranch_execz .LBB6_7866
; %bb.5622:                             ;   in Loop: Header=BB6_5548 Depth=3
	s_mov_b32 s22, -1
	s_mov_b32 s23, exec_lo
	v_cmpx_eq_u16_e32 0x80, v1
; %bb.5623:                             ;   in Loop: Header=BB6_5548 Depth=3
	s_xor_b32 s22, exec_lo, -1
; %bb.5624:                             ;   in Loop: Header=BB6_5548 Depth=3
	s_or_b32 exec_lo, exec_lo, s23
	s_and_b32 s22, s22, exec_lo
	s_or_saveexec_b32 s16, s16
	v_mov_b32_e32 v4, 0x7f800001
	s_xor_b32 exec_lo, exec_lo, s16
	s_cbranch_execnz .LBB6_7867
.LBB6_5625:                             ;   in Loop: Header=BB6_5548 Depth=3
	s_or_b32 exec_lo, exec_lo, s16
	s_and_saveexec_b32 s16, s22
	s_cbranch_execz .LBB6_5627
.LBB6_5626:                             ;   in Loop: Header=BB6_5548 Depth=3
	v_bfe_u32 v4, v48, 16, 3
	v_bfe_u32 v5, v48, 19, 4
	v_ffbh_u32_e32 v28, v4
	v_cmp_eq_u32_e32 vcc_lo, 0, v5
	v_min_u32_e32 v28, 32, v28
	v_subrev_nc_u32_e32 v29, 28, v28
	v_sub_nc_u32_e32 v28, 29, v28
	v_lshlrev_b32_sdwa v29, v29, v48 dst_sel:DWORD dst_unused:UNUSED_PAD src0_sel:DWORD src1_sel:WORD_1
	v_cndmask_b32_e32 v5, v5, v28, vcc_lo
	v_lshlrev_b32_sdwa v28, v73, v48 dst_sel:DWORD dst_unused:UNUSED_PAD src0_sel:DWORD src1_sel:WORD_1
	v_and_b32_e32 v29, 7, v29
	v_lshl_add_u32 v5, v5, 23, 0x3b800000
	v_and_b32_e32 v28, 0x80000000, v28
	v_cndmask_b32_e32 v4, v4, v29, vcc_lo
	v_lshlrev_b32_e32 v4, 20, v4
	v_or3_b32 v4, v28, v5, v4
.LBB6_5627:                             ;   in Loop: Header=BB6_5548 Depth=3
	s_or_b32 exec_lo, exec_lo, s16
	s_waitcnt vmcnt(3)
	v_and_b32_sdwa v28, v36, v72 dst_sel:DWORD dst_unused:UNUSED_PAD src0_sel:WORD_1 src1_sel:DWORD
	s_mov_b32 s22, 0
	s_mov_b32 s16, exec_lo
	v_cmpx_lt_i16_e32 0x7f, v28
	s_xor_b32 s16, exec_lo, s16
	s_cbranch_execz .LBB6_7868
; %bb.5628:                             ;   in Loop: Header=BB6_5548 Depth=3
	s_mov_b32 s22, -1
	s_mov_b32 s23, exec_lo
	v_cmpx_eq_u16_e32 0x80, v28
; %bb.5629:                             ;   in Loop: Header=BB6_5548 Depth=3
	s_xor_b32 s22, exec_lo, -1
; %bb.5630:                             ;   in Loop: Header=BB6_5548 Depth=3
	s_or_b32 exec_lo, exec_lo, s23
	s_and_b32 s22, s22, exec_lo
                                        ; implicit-def: $vgpr28
	s_or_saveexec_b32 s16, s16
	v_mov_b32_e32 v5, 0x7f800001
	s_xor_b32 exec_lo, exec_lo, s16
	s_cbranch_execnz .LBB6_7869
.LBB6_5631:                             ;   in Loop: Header=BB6_5548 Depth=3
	s_or_b32 exec_lo, exec_lo, s16
	s_and_saveexec_b32 s16, s22
	s_cbranch_execz .LBB6_5633
.LBB6_5632:                             ;   in Loop: Header=BB6_5548 Depth=3
	v_bfe_u32 v5, v36, 16, 3
	v_bfe_u32 v28, v36, 19, 4
	v_ffbh_u32_e32 v29, v5
	v_cmp_eq_u32_e32 vcc_lo, 0, v28
	v_min_u32_e32 v29, 32, v29
	v_subrev_nc_u32_e32 v30, 28, v29
	v_sub_nc_u32_e32 v29, 29, v29
	v_lshlrev_b32_sdwa v30, v30, v36 dst_sel:DWORD dst_unused:UNUSED_PAD src0_sel:DWORD src1_sel:WORD_1
	v_cndmask_b32_e32 v28, v28, v29, vcc_lo
	v_lshlrev_b32_sdwa v29, v73, v36 dst_sel:DWORD dst_unused:UNUSED_PAD src0_sel:DWORD src1_sel:WORD_1
	v_and_b32_e32 v30, 7, v30
	v_lshl_add_u32 v28, v28, 23, 0x3b800000
	v_and_b32_e32 v29, 0x80000000, v29
	v_cndmask_b32_e32 v5, v5, v30, vcc_lo
	v_lshlrev_b32_e32 v5, 20, v5
	v_or3_b32 v5, v29, v28, v5
.LBB6_5633:                             ;   in Loop: Header=BB6_5548 Depth=3
	s_or_b32 exec_lo, exec_lo, s16
	v_max_f32_e32 v5, v5, v5
	v_max_f32_e32 v4, v4, v4
	s_mov_b32 s22, 0
	v_max_f32_e32 v4, v4, v5
.LBB6_5634:                             ;   in Loop: Header=BB6_5548 Depth=3
	s_and_b32 vcc_lo, exec_lo, s22
	s_cbranch_vccz .LBB6_5648
; %bb.5635:                             ;   in Loop: Header=BB6_5548 Depth=3
	s_mov_b32 s22, 0
	s_mov_b32 s16, exec_lo
	v_cmpx_lt_i16_e32 0x7f, v1
	s_xor_b32 s16, exec_lo, s16
	s_cbranch_execz .LBB6_7870
; %bb.5636:                             ;   in Loop: Header=BB6_5548 Depth=3
	s_mov_b32 s22, -1
	s_mov_b32 s23, exec_lo
	v_cmpx_eq_u16_e32 0x80, v1
; %bb.5637:                             ;   in Loop: Header=BB6_5548 Depth=3
	s_xor_b32 s22, exec_lo, -1
; %bb.5638:                             ;   in Loop: Header=BB6_5548 Depth=3
	s_or_b32 exec_lo, exec_lo, s23
	s_and_b32 s22, s22, exec_lo
                                        ; implicit-def: $vgpr1
	s_or_saveexec_b32 s16, s16
	v_mov_b32_e32 v4, 0x7f800001
	s_xor_b32 exec_lo, exec_lo, s16
	s_cbranch_execnz .LBB6_7871
.LBB6_5639:                             ;   in Loop: Header=BB6_5548 Depth=3
	s_or_b32 exec_lo, exec_lo, s16
	s_and_saveexec_b32 s16, s22
	s_cbranch_execz .LBB6_5641
.LBB6_5640:                             ;   in Loop: Header=BB6_5548 Depth=3
	v_bfe_u32 v1, v48, 16, 3
	v_bfe_u32 v4, v48, 19, 4
	v_ffbh_u32_e32 v5, v1
	v_cmp_eq_u32_e32 vcc_lo, 0, v4
	v_min_u32_e32 v5, 32, v5
	v_subrev_nc_u32_e32 v28, 28, v5
	v_sub_nc_u32_e32 v5, 29, v5
	v_lshlrev_b32_sdwa v28, v28, v48 dst_sel:DWORD dst_unused:UNUSED_PAD src0_sel:DWORD src1_sel:WORD_1
	v_cndmask_b32_e32 v4, v4, v5, vcc_lo
	v_lshlrev_b32_sdwa v5, v73, v48 dst_sel:DWORD dst_unused:UNUSED_PAD src0_sel:DWORD src1_sel:WORD_1
	v_and_b32_e32 v28, 7, v28
	v_lshl_add_u32 v4, v4, 23, 0x3b800000
	v_and_b32_e32 v5, 0x80000000, v5
	v_cndmask_b32_e32 v1, v1, v28, vcc_lo
	v_lshlrev_b32_e32 v1, 20, v1
	v_or3_b32 v4, v5, v4, v1
.LBB6_5641:                             ;   in Loop: Header=BB6_5548 Depth=3
	s_or_b32 exec_lo, exec_lo, s16
	s_waitcnt vmcnt(3)
	v_and_b32_sdwa v5, v36, v72 dst_sel:DWORD dst_unused:UNUSED_PAD src0_sel:WORD_1 src1_sel:DWORD
	s_mov_b32 s22, 0
	s_mov_b32 s16, exec_lo
	v_cmpx_lt_i16_e32 0x7f, v5
	s_xor_b32 s16, exec_lo, s16
	s_cbranch_execz .LBB6_7872
; %bb.5642:                             ;   in Loop: Header=BB6_5548 Depth=3
	s_mov_b32 s22, -1
	s_mov_b32 s23, exec_lo
	v_cmpx_eq_u16_e32 0x80, v5
; %bb.5643:                             ;   in Loop: Header=BB6_5548 Depth=3
	s_xor_b32 s22, exec_lo, -1
; %bb.5644:                             ;   in Loop: Header=BB6_5548 Depth=3
	s_or_b32 exec_lo, exec_lo, s23
	s_and_b32 s22, s22, exec_lo
                                        ; implicit-def: $vgpr5
	s_or_saveexec_b32 s16, s16
	v_mov_b32_e32 v1, 0x7f800001
	s_xor_b32 exec_lo, exec_lo, s16
	s_cbranch_execnz .LBB6_7873
.LBB6_5645:                             ;   in Loop: Header=BB6_5548 Depth=3
	s_or_b32 exec_lo, exec_lo, s16
	s_and_saveexec_b32 s16, s22
	s_cbranch_execz .LBB6_5647
.LBB6_5646:                             ;   in Loop: Header=BB6_5548 Depth=3
	v_bfe_u32 v1, v36, 16, 3
	v_bfe_u32 v5, v36, 19, 4
	v_ffbh_u32_e32 v28, v1
	v_cmp_eq_u32_e32 vcc_lo, 0, v5
	v_min_u32_e32 v28, 32, v28
	v_subrev_nc_u32_e32 v29, 28, v28
	v_sub_nc_u32_e32 v28, 29, v28
	v_lshlrev_b32_sdwa v29, v29, v36 dst_sel:DWORD dst_unused:UNUSED_PAD src0_sel:DWORD src1_sel:WORD_1
	v_cndmask_b32_e32 v5, v5, v28, vcc_lo
	v_lshlrev_b32_sdwa v28, v73, v36 dst_sel:DWORD dst_unused:UNUSED_PAD src0_sel:DWORD src1_sel:WORD_1
	v_and_b32_e32 v29, 7, v29
	v_lshl_add_u32 v5, v5, 23, 0x3b800000
	v_and_b32_e32 v28, 0x80000000, v28
	v_cndmask_b32_e32 v1, v1, v29, vcc_lo
	v_lshlrev_b32_e32 v1, 20, v1
	v_or3_b32 v1, v28, v5, v1
.LBB6_5647:                             ;   in Loop: Header=BB6_5548 Depth=3
	s_or_b32 exec_lo, exec_lo, s16
	v_max_f32_e32 v1, v1, v1
	v_max_f32_e32 v4, v4, v4
	v_min_f32_e32 v4, v4, v1
.LBB6_5648:                             ;   in Loop: Header=BB6_5548 Depth=3
	v_and_b32_e32 v1, 0x7f800000, v4
	v_mov_b32_e32 v122, 0x80
	s_mov_b32 s22, exec_lo
	v_cmpx_ne_u32_e32 0x7f800000, v1
	s_cbranch_execz .LBB6_5656
; %bb.5649:                             ;   in Loop: Header=BB6_5548 Depth=3
	v_mov_b32_e32 v122, 0
	s_mov_b32 s23, exec_lo
	v_cmpx_ne_u32_e32 0, v4
	s_cbranch_execz .LBB6_5655
; %bb.5650:                             ;   in Loop: Header=BB6_5548 Depth=3
	v_bfe_u32 v5, v4, 23, 8
	v_and_b32_e32 v1, 0x7fffff, v4
	v_cmp_gt_u32_e64 s16, 0x79, v5
	v_sub_nc_u32_e32 v28, 0x78, v5
	v_cmp_eq_u32_e32 vcc_lo, 0, v5
	v_or_b32_e32 v29, 0x800000, v1
	v_cndmask_b32_e64 v28, 0, v28, s16
	v_cndmask_b32_e32 v1, v29, v1, vcc_lo
	v_cndmask_b32_e64 v28, v28, 0x77, vcc_lo
	v_lshl_add_u32 v29, 0x100000, v28, -1
	v_lshlrev_b32_e64 v30, v28, 0x80000
	v_and_b32_e32 v29, v29, v1
	v_cmp_eq_u32_e64 s16, v29, v30
	v_lshrrev_b32_e32 v29, v28, v1
	v_add_nc_u32_e32 v1, 0xffffff89, v5
	v_lshrrev_b32_e32 v5, 23, v29
	v_cndmask_b32_e64 v1, v1, 0xffffff8a, vcc_lo
	v_xor_b32_e32 v5, 1, v5
	v_add_nc_u32_e32 v1, v28, v1
	v_bfe_u32 v28, v29, 20, 1
	v_add_nc_u32_e32 v28, -1, v28
	v_cndmask_b32_e64 v28, 0, v28, s16
	s_mov_b32 s16, exec_lo
	v_add_nc_u32_e32 v28, v28, v29
	v_and_b32_e32 v28, 0xfffff, v28
	v_add_nc_u32_e32 v28, v28, v29
                                        ; implicit-def: $vgpr29
	v_cmpx_ne_u32_e64 v1, v5
	s_xor_b32 s16, exec_lo, s16
; %bb.5651:                             ;   in Loop: Header=BB6_5548 Depth=3
	v_cmp_lt_u32_e32 vcc_lo, 0xffffff, v28
	v_sub_nc_u32_e32 v1, v1, v5
	v_cndmask_b32_e64 v5, 0, 1, vcc_lo
	v_add_co_ci_u32_e64 v29, null, 0, v1, vcc_lo
	v_lshrrev_b32_e32 v28, v5, v28
; %bb.5652:                             ;   in Loop: Header=BB6_5548 Depth=3
	s_andn2_saveexec_b32 s16, s16
; %bb.5653:                             ;   in Loop: Header=BB6_5548 Depth=3
	v_bfe_u32 v29, v28, 23, 1
; %bb.5654:                             ;   in Loop: Header=BB6_5548 Depth=3
	s_or_b32 exec_lo, exec_lo, s16
	v_and_b32_sdwa v1, v4, v62 dst_sel:DWORD dst_unused:UNUSED_PAD src0_sel:BYTE_3 src1_sel:DWORD
	v_lshrrev_b32_e32 v4, 20, v28
	v_min_i32_e32 v5, 15, v29
	v_cmp_gt_i32_e32 vcc_lo, 16, v29
	v_lshlrev_b32_e32 v5, 3, v5
	v_cndmask_b32_e32 v4, 7, v4, vcc_lo
	v_and_b32_e32 v5, 0xf8, v5
	v_or_b32_e32 v28, v29, v4
	v_and_b32_e32 v4, 7, v4
	v_cmp_ne_u32_e32 vcc_lo, 0, v28
	v_or3_b32 v1, v5, v1, v4
	v_cndmask_b32_e32 v122, 0, v1, vcc_lo
.LBB6_5655:                             ;   in Loop: Header=BB6_5548 Depth=3
	s_or_b32 exec_lo, exec_lo, s23
.LBB6_5656:                             ;   in Loop: Header=BB6_5548 Depth=3
	s_or_b32 exec_lo, exec_lo, s22
	v_cmp_gt_i16_sdwa s23, v48, v61 src0_sel:BYTE_3 src1_sel:DWORD
	s_and_b32 vcc_lo, exec_lo, s19
	s_mov_b32 s16, -1
                                        ; implicit-def: $vgpr1
	s_cbranch_vccz .LBB6_5670
; %bb.5657:                             ;   in Loop: Header=BB6_5548 Depth=3
	s_mov_b32 s22, 0
	s_and_saveexec_b32 s16, s23
	s_xor_b32 s16, exec_lo, s16
	s_cbranch_execz .LBB6_7874
; %bb.5658:                             ;   in Loop: Header=BB6_5548 Depth=3
	v_cmp_eq_u16_sdwa s73, v48, v62 src0_sel:BYTE_3 src1_sel:DWORD
	s_mov_b32 s22, -1
	s_and_saveexec_b32 s23, s73
; %bb.5659:                             ;   in Loop: Header=BB6_5548 Depth=3
	s_xor_b32 s22, exec_lo, -1
; %bb.5660:                             ;   in Loop: Header=BB6_5548 Depth=3
	s_or_b32 exec_lo, exec_lo, s23
	s_and_b32 s22, s22, exec_lo
	s_or_saveexec_b32 s16, s16
	v_mov_b32_e32 v1, 0x7f800001
	s_xor_b32 exec_lo, exec_lo, s16
	s_cbranch_execnz .LBB6_7875
.LBB6_5661:                             ;   in Loop: Header=BB6_5548 Depth=3
	s_or_b32 exec_lo, exec_lo, s16
	s_and_saveexec_b32 s16, s22
	s_cbranch_execz .LBB6_5663
.LBB6_5662:                             ;   in Loop: Header=BB6_5548 Depth=3
	v_bfe_u32 v1, v48, 24, 3
	v_bfe_u32 v28, v48, 27, 4
	v_ffbh_u32_e32 v4, v1
	v_cmp_eq_u32_e32 vcc_lo, 0, v28
	v_min_u32_e32 v4, 32, v4
	v_subrev_nc_u32_e32 v5, 28, v4
	v_sub_nc_u32_e32 v4, 29, v4
	v_lshlrev_b32_sdwa v5, v5, v48 dst_sel:DWORD dst_unused:UNUSED_PAD src0_sel:DWORD src1_sel:BYTE_3
	v_cndmask_b32_e32 v4, v28, v4, vcc_lo
	v_and_b32_e32 v5, 7, v5
	v_lshl_add_u32 v4, v4, 23, 0x3b800000
	v_cndmask_b32_e32 v1, v1, v5, vcc_lo
	v_and_b32_e32 v5, 0x80000000, v48
	v_lshlrev_b32_e32 v1, 20, v1
	v_or3_b32 v1, v5, v4, v1
.LBB6_5663:                             ;   in Loop: Header=BB6_5548 Depth=3
	s_or_b32 exec_lo, exec_lo, s16
	s_waitcnt vmcnt(3)
	v_cmp_gt_i16_sdwa s16, v36, v61 src0_sel:BYTE_3 src1_sel:DWORD
	s_mov_b32 s22, 0
	s_and_saveexec_b32 s23, s16
	s_xor_b32 s16, exec_lo, s23
	s_cbranch_execz .LBB6_7876
; %bb.5664:                             ;   in Loop: Header=BB6_5548 Depth=3
	v_cmp_eq_u16_sdwa s73, v36, v62 src0_sel:BYTE_3 src1_sel:DWORD
	s_mov_b32 s22, -1
	s_and_saveexec_b32 s23, s73
; %bb.5665:                             ;   in Loop: Header=BB6_5548 Depth=3
	s_xor_b32 s22, exec_lo, -1
; %bb.5666:                             ;   in Loop: Header=BB6_5548 Depth=3
	s_or_b32 exec_lo, exec_lo, s23
	s_and_b32 s22, s22, exec_lo
	s_or_saveexec_b32 s16, s16
	v_mov_b32_e32 v4, 0x7f800001
	s_xor_b32 exec_lo, exec_lo, s16
	s_cbranch_execnz .LBB6_7877
.LBB6_5667:                             ;   in Loop: Header=BB6_5548 Depth=3
	s_or_b32 exec_lo, exec_lo, s16
	s_and_saveexec_b32 s16, s22
	s_cbranch_execz .LBB6_5669
.LBB6_5668:                             ;   in Loop: Header=BB6_5548 Depth=3
	v_bfe_u32 v4, v36, 24, 3
	v_bfe_u32 v29, v36, 27, 4
	v_ffbh_u32_e32 v5, v4
	v_cmp_eq_u32_e32 vcc_lo, 0, v29
	v_min_u32_e32 v5, 32, v5
	v_subrev_nc_u32_e32 v28, 28, v5
	v_sub_nc_u32_e32 v5, 29, v5
	v_lshlrev_b32_sdwa v28, v28, v36 dst_sel:DWORD dst_unused:UNUSED_PAD src0_sel:DWORD src1_sel:BYTE_3
	v_cndmask_b32_e32 v5, v29, v5, vcc_lo
	v_and_b32_e32 v28, 7, v28
	v_lshl_add_u32 v5, v5, 23, 0x3b800000
	v_cndmask_b32_e32 v4, v4, v28, vcc_lo
	v_and_b32_e32 v28, 0x80000000, v36
	v_lshlrev_b32_e32 v4, 20, v4
	v_or3_b32 v4, v28, v5, v4
.LBB6_5669:                             ;   in Loop: Header=BB6_5548 Depth=3
	s_or_b32 exec_lo, exec_lo, s16
	v_max_f32_e32 v4, v4, v4
	v_max_f32_e32 v1, v1, v1
	s_mov_b32 s16, 0
	v_max_f32_e32 v1, v1, v4
.LBB6_5670:                             ;   in Loop: Header=BB6_5548 Depth=3
	s_and_b32 vcc_lo, exec_lo, s16
	s_cbranch_vccz .LBB6_5684
; %bb.5671:                             ;   in Loop: Header=BB6_5548 Depth=3
	v_cmp_gt_i16_sdwa s16, v48, v61 src0_sel:BYTE_3 src1_sel:DWORD
	s_mov_b32 s22, 0
	s_and_saveexec_b32 s23, s16
	s_xor_b32 s16, exec_lo, s23
	s_cbranch_execz .LBB6_7878
; %bb.5672:                             ;   in Loop: Header=BB6_5548 Depth=3
	v_cmp_eq_u16_sdwa s73, v48, v62 src0_sel:BYTE_3 src1_sel:DWORD
	s_mov_b32 s22, -1
	s_and_saveexec_b32 s23, s73
; %bb.5673:                             ;   in Loop: Header=BB6_5548 Depth=3
	s_xor_b32 s22, exec_lo, -1
; %bb.5674:                             ;   in Loop: Header=BB6_5548 Depth=3
	s_or_b32 exec_lo, exec_lo, s23
	s_and_b32 s22, s22, exec_lo
	s_or_saveexec_b32 s16, s16
	v_mov_b32_e32 v1, 0x7f800001
	s_xor_b32 exec_lo, exec_lo, s16
	s_cbranch_execnz .LBB6_7879
.LBB6_5675:                             ;   in Loop: Header=BB6_5548 Depth=3
	s_or_b32 exec_lo, exec_lo, s16
	s_and_saveexec_b32 s16, s22
	s_cbranch_execz .LBB6_5677
.LBB6_5676:                             ;   in Loop: Header=BB6_5548 Depth=3
	v_bfe_u32 v1, v48, 24, 3
	v_bfe_u32 v28, v48, 27, 4
	v_ffbh_u32_e32 v4, v1
	v_cmp_eq_u32_e32 vcc_lo, 0, v28
	v_min_u32_e32 v4, 32, v4
	v_subrev_nc_u32_e32 v5, 28, v4
	v_sub_nc_u32_e32 v4, 29, v4
	v_lshlrev_b32_sdwa v5, v5, v48 dst_sel:DWORD dst_unused:UNUSED_PAD src0_sel:DWORD src1_sel:BYTE_3
	v_cndmask_b32_e32 v4, v28, v4, vcc_lo
	v_and_b32_e32 v5, 7, v5
	v_lshl_add_u32 v4, v4, 23, 0x3b800000
	v_cndmask_b32_e32 v1, v1, v5, vcc_lo
	v_and_b32_e32 v5, 0x80000000, v48
	v_lshlrev_b32_e32 v1, 20, v1
	v_or3_b32 v1, v5, v4, v1
.LBB6_5677:                             ;   in Loop: Header=BB6_5548 Depth=3
	s_or_b32 exec_lo, exec_lo, s16
	s_waitcnt vmcnt(3)
	v_cmp_gt_i16_sdwa s16, v36, v61 src0_sel:BYTE_3 src1_sel:DWORD
	s_mov_b32 s22, 0
	s_and_saveexec_b32 s23, s16
	s_xor_b32 s16, exec_lo, s23
	s_cbranch_execz .LBB6_7880
; %bb.5678:                             ;   in Loop: Header=BB6_5548 Depth=3
	v_cmp_eq_u16_sdwa s73, v36, v62 src0_sel:BYTE_3 src1_sel:DWORD
	s_mov_b32 s22, -1
	s_and_saveexec_b32 s23, s73
; %bb.5679:                             ;   in Loop: Header=BB6_5548 Depth=3
	s_xor_b32 s22, exec_lo, -1
; %bb.5680:                             ;   in Loop: Header=BB6_5548 Depth=3
	s_or_b32 exec_lo, exec_lo, s23
	s_and_b32 s22, s22, exec_lo
	s_or_saveexec_b32 s16, s16
	v_mov_b32_e32 v4, 0x7f800001
	s_xor_b32 exec_lo, exec_lo, s16
	s_cbranch_execnz .LBB6_7881
.LBB6_5681:                             ;   in Loop: Header=BB6_5548 Depth=3
	s_or_b32 exec_lo, exec_lo, s16
	s_and_saveexec_b32 s16, s22
	s_cbranch_execz .LBB6_5683
.LBB6_5682:                             ;   in Loop: Header=BB6_5548 Depth=3
	v_bfe_u32 v4, v36, 24, 3
	v_bfe_u32 v29, v36, 27, 4
	v_ffbh_u32_e32 v5, v4
	v_cmp_eq_u32_e32 vcc_lo, 0, v29
	v_min_u32_e32 v5, 32, v5
	v_subrev_nc_u32_e32 v28, 28, v5
	v_sub_nc_u32_e32 v5, 29, v5
	v_lshlrev_b32_sdwa v28, v28, v36 dst_sel:DWORD dst_unused:UNUSED_PAD src0_sel:DWORD src1_sel:BYTE_3
	v_cndmask_b32_e32 v5, v29, v5, vcc_lo
	v_and_b32_e32 v28, 7, v28
	v_lshl_add_u32 v5, v5, 23, 0x3b800000
	v_cndmask_b32_e32 v4, v4, v28, vcc_lo
	v_and_b32_e32 v28, 0x80000000, v36
	v_lshlrev_b32_e32 v4, 20, v4
	v_or3_b32 v4, v28, v5, v4
.LBB6_5683:                             ;   in Loop: Header=BB6_5548 Depth=3
	s_or_b32 exec_lo, exec_lo, s16
	v_max_f32_e32 v4, v4, v4
	v_max_f32_e32 v1, v1, v1
	v_min_f32_e32 v1, v1, v4
.LBB6_5684:                             ;   in Loop: Header=BB6_5548 Depth=3
	v_and_b32_e32 v4, 0x7f800000, v1
	s_waitcnt vmcnt(3)
	v_mov_b32_e32 v36, 0x8000
	s_mov_b32 s22, exec_lo
	v_cmpx_ne_u32_e32 0x7f800000, v4
	s_cbranch_execz .LBB6_5692
; %bb.5685:                             ;   in Loop: Header=BB6_5548 Depth=3
	v_mov_b32_e32 v36, 0
	s_mov_b32 s23, exec_lo
	v_cmpx_ne_u32_e32 0, v1
	s_cbranch_execz .LBB6_5691
; %bb.5686:                             ;   in Loop: Header=BB6_5548 Depth=3
	v_bfe_u32 v5, v1, 23, 8
	v_and_b32_e32 v4, 0x7fffff, v1
	v_cmp_gt_u32_e64 s16, 0x79, v5
	v_sub_nc_u32_e32 v28, 0x78, v5
	v_cmp_eq_u32_e32 vcc_lo, 0, v5
	v_or_b32_e32 v29, 0x800000, v4
	v_cndmask_b32_e64 v28, 0, v28, s16
	v_cndmask_b32_e32 v4, v29, v4, vcc_lo
	v_cndmask_b32_e64 v28, v28, 0x77, vcc_lo
	v_lshl_add_u32 v29, 0x100000, v28, -1
	v_lshlrev_b32_e64 v30, v28, 0x80000
	v_and_b32_e32 v29, v29, v4
	v_cmp_eq_u32_e64 s16, v29, v30
	v_lshrrev_b32_e32 v29, v28, v4
	v_add_nc_u32_e32 v4, 0xffffff89, v5
	v_lshrrev_b32_e32 v5, 23, v29
	v_cndmask_b32_e64 v4, v4, 0xffffff8a, vcc_lo
	v_xor_b32_e32 v5, 1, v5
	v_add_nc_u32_e32 v4, v28, v4
	v_bfe_u32 v28, v29, 20, 1
	v_add_nc_u32_e32 v28, -1, v28
	v_cndmask_b32_e64 v28, 0, v28, s16
	s_mov_b32 s16, exec_lo
	v_add_nc_u32_e32 v28, v28, v29
	v_and_b32_e32 v28, 0xfffff, v28
	v_add_nc_u32_e32 v29, v28, v29
                                        ; implicit-def: $vgpr28
	v_cmpx_ne_u32_e64 v4, v5
	s_xor_b32 s16, exec_lo, s16
; %bb.5687:                             ;   in Loop: Header=BB6_5548 Depth=3
	v_cmp_lt_u32_e32 vcc_lo, 0xffffff, v29
	v_sub_nc_u32_e32 v4, v4, v5
	v_cndmask_b32_e64 v5, 0, 1, vcc_lo
	v_add_co_ci_u32_e64 v28, null, 0, v4, vcc_lo
	v_lshrrev_b32_e32 v29, v5, v29
; %bb.5688:                             ;   in Loop: Header=BB6_5548 Depth=3
	s_andn2_saveexec_b32 s16, s16
; %bb.5689:                             ;   in Loop: Header=BB6_5548 Depth=3
	v_bfe_u32 v28, v29, 23, 1
; %bb.5690:                             ;   in Loop: Header=BB6_5548 Depth=3
	s_or_b32 exec_lo, exec_lo, s16
	v_lshrrev_b32_e32 v4, 20, v29
	v_min_i32_e32 v5, 15, v28
	v_cmp_gt_i32_e32 vcc_lo, 16, v28
	v_and_b32_sdwa v1, v1, v62 dst_sel:DWORD dst_unused:UNUSED_PAD src0_sel:BYTE_3 src1_sel:DWORD
	v_lshlrev_b32_e32 v5, 3, v5
	v_cndmask_b32_e32 v4, 7, v4, vcc_lo
	v_and_b32_e32 v5, 0xf8, v5
	v_and_b32_e32 v29, 7, v4
	v_or_b32_e32 v4, v28, v4
	v_or3_b32 v1, v1, v5, v29
	v_cmp_ne_u32_e32 vcc_lo, 0, v4
	v_lshlrev_b32_e32 v1, 8, v1
	v_cndmask_b32_e32 v36, 0, v1, vcc_lo
.LBB6_5691:                             ;   in Loop: Header=BB6_5548 Depth=3
	s_or_b32 exec_lo, exec_lo, s23
.LBB6_5692:                             ;   in Loop: Header=BB6_5548 Depth=3
	s_or_b32 exec_lo, exec_lo, s22
	v_cmp_gt_i16_sdwa s23, v49, v61 src0_sel:BYTE_0 src1_sel:DWORD
	s_and_b32 vcc_lo, exec_lo, s19
	s_mov_b32 s16, -1
                                        ; implicit-def: $vgpr1
	s_cbranch_vccz .LBB6_5706
; %bb.5693:                             ;   in Loop: Header=BB6_5548 Depth=3
	s_mov_b32 s22, 0
	s_and_saveexec_b32 s16, s23
	s_xor_b32 s16, exec_lo, s16
	s_cbranch_execz .LBB6_7882
; %bb.5694:                             ;   in Loop: Header=BB6_5548 Depth=3
	v_cmp_eq_u16_sdwa s73, v49, v62 src0_sel:BYTE_0 src1_sel:DWORD
	s_mov_b32 s22, -1
	s_and_saveexec_b32 s23, s73
; %bb.5695:                             ;   in Loop: Header=BB6_5548 Depth=3
	s_xor_b32 s22, exec_lo, -1
; %bb.5696:                             ;   in Loop: Header=BB6_5548 Depth=3
	s_or_b32 exec_lo, exec_lo, s23
	s_and_b32 s22, s22, exec_lo
	s_or_saveexec_b32 s16, s16
	v_mov_b32_e32 v1, 0x7f800001
	s_xor_b32 exec_lo, exec_lo, s16
	s_cbranch_execnz .LBB6_7883
.LBB6_5697:                             ;   in Loop: Header=BB6_5548 Depth=3
	s_or_b32 exec_lo, exec_lo, s16
	s_and_saveexec_b32 s16, s22
	s_cbranch_execz .LBB6_5699
.LBB6_5698:                             ;   in Loop: Header=BB6_5548 Depth=3
	v_and_b32_e32 v1, 7, v49
	v_bfe_u32 v4, v49, 3, 4
	v_ffbh_u32_e32 v5, v1
	v_cmp_eq_u32_e32 vcc_lo, 0, v4
	v_min_u32_e32 v5, 32, v5
	v_subrev_nc_u32_e32 v28, 28, v5
	v_sub_nc_u32_e32 v5, 29, v5
	v_lshlrev_b32_e32 v28, v28, v49
	v_cndmask_b32_e32 v4, v4, v5, vcc_lo
	v_lshlrev_b32_e32 v5, 24, v49
	v_and_b32_e32 v28, 7, v28
	v_lshl_add_u32 v4, v4, 23, 0x3b800000
	v_and_b32_e32 v5, 0x80000000, v5
	v_cndmask_b32_e32 v1, v1, v28, vcc_lo
	v_lshlrev_b32_e32 v1, 20, v1
	v_or3_b32 v1, v5, v4, v1
.LBB6_5699:                             ;   in Loop: Header=BB6_5548 Depth=3
	s_or_b32 exec_lo, exec_lo, s16
	v_cmp_gt_i16_sdwa s16, v37, v61 src0_sel:BYTE_0 src1_sel:DWORD
	s_mov_b32 s22, 0
	s_and_saveexec_b32 s23, s16
	s_xor_b32 s16, exec_lo, s23
	s_cbranch_execz .LBB6_7884
; %bb.5700:                             ;   in Loop: Header=BB6_5548 Depth=3
	v_cmp_eq_u16_sdwa s73, v37, v62 src0_sel:BYTE_0 src1_sel:DWORD
	s_mov_b32 s22, -1
	s_and_saveexec_b32 s23, s73
; %bb.5701:                             ;   in Loop: Header=BB6_5548 Depth=3
	s_xor_b32 s22, exec_lo, -1
; %bb.5702:                             ;   in Loop: Header=BB6_5548 Depth=3
	s_or_b32 exec_lo, exec_lo, s23
	s_and_b32 s22, s22, exec_lo
	s_or_saveexec_b32 s16, s16
	v_mov_b32_e32 v4, 0x7f800001
	s_xor_b32 exec_lo, exec_lo, s16
	s_cbranch_execnz .LBB6_7885
.LBB6_5703:                             ;   in Loop: Header=BB6_5548 Depth=3
	s_or_b32 exec_lo, exec_lo, s16
	s_and_saveexec_b32 s16, s22
	s_cbranch_execz .LBB6_5705
.LBB6_5704:                             ;   in Loop: Header=BB6_5548 Depth=3
	v_and_b32_e32 v4, 7, v37
	v_bfe_u32 v5, v37, 3, 4
	v_ffbh_u32_e32 v28, v4
	v_cmp_eq_u32_e32 vcc_lo, 0, v5
	v_min_u32_e32 v28, 32, v28
	v_subrev_nc_u32_e32 v29, 28, v28
	v_sub_nc_u32_e32 v28, 29, v28
	v_lshlrev_b32_e32 v29, v29, v37
	v_cndmask_b32_e32 v5, v5, v28, vcc_lo
	v_lshlrev_b32_e32 v28, 24, v37
	v_and_b32_e32 v29, 7, v29
	v_lshl_add_u32 v5, v5, 23, 0x3b800000
	v_and_b32_e32 v28, 0x80000000, v28
	v_cndmask_b32_e32 v4, v4, v29, vcc_lo
	v_lshlrev_b32_e32 v4, 20, v4
	v_or3_b32 v4, v28, v5, v4
.LBB6_5705:                             ;   in Loop: Header=BB6_5548 Depth=3
	s_or_b32 exec_lo, exec_lo, s16
	v_max_f32_e32 v4, v4, v4
	v_max_f32_e32 v1, v1, v1
	s_mov_b32 s16, 0
	v_max_f32_e32 v1, v1, v4
.LBB6_5706:                             ;   in Loop: Header=BB6_5548 Depth=3
	s_and_b32 vcc_lo, exec_lo, s16
	s_cbranch_vccz .LBB6_5720
; %bb.5707:                             ;   in Loop: Header=BB6_5548 Depth=3
	v_cmp_gt_i16_sdwa s16, v49, v61 src0_sel:BYTE_0 src1_sel:DWORD
	s_mov_b32 s22, 0
	s_and_saveexec_b32 s23, s16
	s_xor_b32 s16, exec_lo, s23
	s_cbranch_execz .LBB6_7886
; %bb.5708:                             ;   in Loop: Header=BB6_5548 Depth=3
	v_cmp_eq_u16_sdwa s73, v49, v62 src0_sel:BYTE_0 src1_sel:DWORD
	s_mov_b32 s22, -1
	s_and_saveexec_b32 s23, s73
; %bb.5709:                             ;   in Loop: Header=BB6_5548 Depth=3
	s_xor_b32 s22, exec_lo, -1
; %bb.5710:                             ;   in Loop: Header=BB6_5548 Depth=3
	s_or_b32 exec_lo, exec_lo, s23
	s_and_b32 s22, s22, exec_lo
	s_or_saveexec_b32 s16, s16
	v_mov_b32_e32 v1, 0x7f800001
	s_xor_b32 exec_lo, exec_lo, s16
	s_cbranch_execnz .LBB6_7887
.LBB6_5711:                             ;   in Loop: Header=BB6_5548 Depth=3
	s_or_b32 exec_lo, exec_lo, s16
	s_and_saveexec_b32 s16, s22
	s_cbranch_execz .LBB6_5713
.LBB6_5712:                             ;   in Loop: Header=BB6_5548 Depth=3
	v_and_b32_e32 v1, 7, v49
	v_bfe_u32 v4, v49, 3, 4
	v_ffbh_u32_e32 v5, v1
	v_cmp_eq_u32_e32 vcc_lo, 0, v4
	v_min_u32_e32 v5, 32, v5
	v_subrev_nc_u32_e32 v28, 28, v5
	v_sub_nc_u32_e32 v5, 29, v5
	v_lshlrev_b32_e32 v28, v28, v49
	v_cndmask_b32_e32 v4, v4, v5, vcc_lo
	v_lshlrev_b32_e32 v5, 24, v49
	v_and_b32_e32 v28, 7, v28
	v_lshl_add_u32 v4, v4, 23, 0x3b800000
	v_and_b32_e32 v5, 0x80000000, v5
	v_cndmask_b32_e32 v1, v1, v28, vcc_lo
	v_lshlrev_b32_e32 v1, 20, v1
	v_or3_b32 v1, v5, v4, v1
.LBB6_5713:                             ;   in Loop: Header=BB6_5548 Depth=3
	s_or_b32 exec_lo, exec_lo, s16
	v_cmp_gt_i16_sdwa s16, v37, v61 src0_sel:BYTE_0 src1_sel:DWORD
	s_mov_b32 s22, 0
	s_and_saveexec_b32 s23, s16
	s_xor_b32 s16, exec_lo, s23
	s_cbranch_execz .LBB6_7888
; %bb.5714:                             ;   in Loop: Header=BB6_5548 Depth=3
	v_cmp_eq_u16_sdwa s73, v37, v62 src0_sel:BYTE_0 src1_sel:DWORD
	s_mov_b32 s22, -1
	s_and_saveexec_b32 s23, s73
; %bb.5715:                             ;   in Loop: Header=BB6_5548 Depth=3
	s_xor_b32 s22, exec_lo, -1
; %bb.5716:                             ;   in Loop: Header=BB6_5548 Depth=3
	s_or_b32 exec_lo, exec_lo, s23
	s_and_b32 s22, s22, exec_lo
	s_or_saveexec_b32 s16, s16
	v_mov_b32_e32 v4, 0x7f800001
	s_xor_b32 exec_lo, exec_lo, s16
	s_cbranch_execnz .LBB6_7889
.LBB6_5717:                             ;   in Loop: Header=BB6_5548 Depth=3
	s_or_b32 exec_lo, exec_lo, s16
	s_and_saveexec_b32 s16, s22
	s_cbranch_execz .LBB6_5719
.LBB6_5718:                             ;   in Loop: Header=BB6_5548 Depth=3
	v_and_b32_e32 v4, 7, v37
	v_bfe_u32 v5, v37, 3, 4
	v_ffbh_u32_e32 v28, v4
	v_cmp_eq_u32_e32 vcc_lo, 0, v5
	v_min_u32_e32 v28, 32, v28
	v_subrev_nc_u32_e32 v29, 28, v28
	v_sub_nc_u32_e32 v28, 29, v28
	v_lshlrev_b32_e32 v29, v29, v37
	v_cndmask_b32_e32 v5, v5, v28, vcc_lo
	v_lshlrev_b32_e32 v28, 24, v37
	v_and_b32_e32 v29, 7, v29
	v_lshl_add_u32 v5, v5, 23, 0x3b800000
	v_and_b32_e32 v28, 0x80000000, v28
	v_cndmask_b32_e32 v4, v4, v29, vcc_lo
	v_lshlrev_b32_e32 v4, 20, v4
	v_or3_b32 v4, v28, v5, v4
.LBB6_5719:                             ;   in Loop: Header=BB6_5548 Depth=3
	s_or_b32 exec_lo, exec_lo, s16
	v_max_f32_e32 v4, v4, v4
	v_max_f32_e32 v1, v1, v1
	v_min_f32_e32 v1, v1, v4
.LBB6_5720:                             ;   in Loop: Header=BB6_5548 Depth=3
	v_and_b32_e32 v4, 0x7f800000, v1
	v_mov_b32_e32 v48, 0x80
	s_mov_b32 s22, exec_lo
	v_cmpx_ne_u32_e32 0x7f800000, v4
	s_cbranch_execz .LBB6_5728
; %bb.5721:                             ;   in Loop: Header=BB6_5548 Depth=3
	v_mov_b32_e32 v48, 0
	s_mov_b32 s23, exec_lo
	v_cmpx_ne_u32_e32 0, v1
	s_cbranch_execz .LBB6_5727
; %bb.5722:                             ;   in Loop: Header=BB6_5548 Depth=3
	v_bfe_u32 v5, v1, 23, 8
	v_and_b32_e32 v4, 0x7fffff, v1
	v_cmp_gt_u32_e64 s16, 0x79, v5
	v_sub_nc_u32_e32 v28, 0x78, v5
	v_cmp_eq_u32_e32 vcc_lo, 0, v5
	v_or_b32_e32 v29, 0x800000, v4
	v_cndmask_b32_e64 v28, 0, v28, s16
	v_cndmask_b32_e32 v4, v29, v4, vcc_lo
	v_cndmask_b32_e64 v28, v28, 0x77, vcc_lo
	v_lshl_add_u32 v29, 0x100000, v28, -1
	v_lshlrev_b32_e64 v30, v28, 0x80000
	v_and_b32_e32 v29, v29, v4
	v_cmp_eq_u32_e64 s16, v29, v30
	v_lshrrev_b32_e32 v29, v28, v4
	v_add_nc_u32_e32 v4, 0xffffff89, v5
	v_lshrrev_b32_e32 v5, 23, v29
	v_cndmask_b32_e64 v4, v4, 0xffffff8a, vcc_lo
	v_xor_b32_e32 v5, 1, v5
	v_add_nc_u32_e32 v4, v28, v4
	v_bfe_u32 v28, v29, 20, 1
	v_add_nc_u32_e32 v28, -1, v28
	v_cndmask_b32_e64 v28, 0, v28, s16
	s_mov_b32 s16, exec_lo
	v_add_nc_u32_e32 v28, v28, v29
	v_and_b32_e32 v28, 0xfffff, v28
	v_add_nc_u32_e32 v28, v28, v29
                                        ; implicit-def: $vgpr29
	v_cmpx_ne_u32_e64 v4, v5
	s_xor_b32 s16, exec_lo, s16
; %bb.5723:                             ;   in Loop: Header=BB6_5548 Depth=3
	v_cmp_lt_u32_e32 vcc_lo, 0xffffff, v28
	v_sub_nc_u32_e32 v4, v4, v5
	v_cndmask_b32_e64 v5, 0, 1, vcc_lo
	v_add_co_ci_u32_e64 v29, null, 0, v4, vcc_lo
	v_lshrrev_b32_e32 v28, v5, v28
; %bb.5724:                             ;   in Loop: Header=BB6_5548 Depth=3
	s_andn2_saveexec_b32 s16, s16
; %bb.5725:                             ;   in Loop: Header=BB6_5548 Depth=3
	v_bfe_u32 v29, v28, 23, 1
; %bb.5726:                             ;   in Loop: Header=BB6_5548 Depth=3
	s_or_b32 exec_lo, exec_lo, s16
	v_lshrrev_b32_e32 v4, 20, v28
	v_min_i32_e32 v5, 15, v29
	v_cmp_gt_i32_e32 vcc_lo, 16, v29
	v_and_b32_sdwa v1, v1, v62 dst_sel:DWORD dst_unused:UNUSED_PAD src0_sel:BYTE_3 src1_sel:DWORD
	v_lshlrev_b32_e32 v5, 3, v5
	v_cndmask_b32_e32 v4, 7, v4, vcc_lo
	v_and_b32_e32 v5, 0xf8, v5
	v_or_b32_e32 v28, v29, v4
	v_and_b32_e32 v4, 7, v4
	v_cmp_ne_u32_e32 vcc_lo, 0, v28
	v_or3_b32 v1, v5, v1, v4
	v_cndmask_b32_e32 v48, 0, v1, vcc_lo
.LBB6_5727:                             ;   in Loop: Header=BB6_5548 Depth=3
	s_or_b32 exec_lo, exec_lo, s23
.LBB6_5728:                             ;   in Loop: Header=BB6_5548 Depth=3
	s_or_b32 exec_lo, exec_lo, s22
	v_cmp_gt_i16_sdwa s23, v49, v61 src0_sel:BYTE_1 src1_sel:DWORD
	s_and_b32 vcc_lo, exec_lo, s19
	s_mov_b32 s16, -1
                                        ; implicit-def: $vgpr1
	s_cbranch_vccz .LBB6_5742
; %bb.5729:                             ;   in Loop: Header=BB6_5548 Depth=3
	s_mov_b32 s22, 0
	s_and_saveexec_b32 s16, s23
	s_xor_b32 s16, exec_lo, s16
	s_cbranch_execz .LBB6_7890
; %bb.5730:                             ;   in Loop: Header=BB6_5548 Depth=3
	v_cmp_eq_u16_sdwa s73, v49, v62 src0_sel:BYTE_1 src1_sel:DWORD
	s_mov_b32 s22, -1
	s_and_saveexec_b32 s23, s73
; %bb.5731:                             ;   in Loop: Header=BB6_5548 Depth=3
	s_xor_b32 s22, exec_lo, -1
; %bb.5732:                             ;   in Loop: Header=BB6_5548 Depth=3
	s_or_b32 exec_lo, exec_lo, s23
	s_and_b32 s22, s22, exec_lo
	s_or_saveexec_b32 s16, s16
	v_mov_b32_e32 v1, 0x7f800001
	s_xor_b32 exec_lo, exec_lo, s16
	s_cbranch_execnz .LBB6_7891
.LBB6_5733:                             ;   in Loop: Header=BB6_5548 Depth=3
	s_or_b32 exec_lo, exec_lo, s16
	s_and_saveexec_b32 s16, s22
	s_cbranch_execz .LBB6_5735
.LBB6_5734:                             ;   in Loop: Header=BB6_5548 Depth=3
	v_and_b32_sdwa v1, v63, v49 dst_sel:DWORD dst_unused:UNUSED_PAD src0_sel:DWORD src1_sel:BYTE_1
	v_and_b32_e32 v4, 7, v1
	v_bfe_u32 v29, v1, 3, 4
	v_ffbh_u32_e32 v5, v4
	v_cmp_eq_u32_e32 vcc_lo, 0, v29
	v_min_u32_e32 v5, 32, v5
	v_subrev_nc_u32_e32 v28, 28, v5
	v_sub_nc_u32_e32 v5, 29, v5
	v_lshlrev_b32_e32 v1, v28, v1
	v_lshlrev_b32_e32 v28, 16, v49
	v_cndmask_b32_e32 v5, v29, v5, vcc_lo
	v_and_b32_e32 v1, 7, v1
	v_lshl_add_u32 v5, v5, 23, 0x3b800000
	v_cndmask_b32_e32 v1, v4, v1, vcc_lo
	v_and_b32_e32 v4, 0x80000000, v28
	v_lshlrev_b32_e32 v1, 20, v1
	v_or3_b32 v1, v4, v5, v1
.LBB6_5735:                             ;   in Loop: Header=BB6_5548 Depth=3
	s_or_b32 exec_lo, exec_lo, s16
	v_cmp_gt_i16_sdwa s16, v37, v61 src0_sel:BYTE_1 src1_sel:DWORD
	s_mov_b32 s22, 0
	s_and_saveexec_b32 s23, s16
	s_xor_b32 s16, exec_lo, s23
	s_cbranch_execz .LBB6_7892
; %bb.5736:                             ;   in Loop: Header=BB6_5548 Depth=3
	v_cmp_eq_u16_sdwa s73, v37, v62 src0_sel:BYTE_1 src1_sel:DWORD
	s_mov_b32 s22, -1
	s_and_saveexec_b32 s23, s73
; %bb.5737:                             ;   in Loop: Header=BB6_5548 Depth=3
	s_xor_b32 s22, exec_lo, -1
; %bb.5738:                             ;   in Loop: Header=BB6_5548 Depth=3
	s_or_b32 exec_lo, exec_lo, s23
	s_and_b32 s22, s22, exec_lo
	s_or_saveexec_b32 s16, s16
	v_mov_b32_e32 v4, 0x7f800001
	s_xor_b32 exec_lo, exec_lo, s16
	s_cbranch_execnz .LBB6_7893
.LBB6_5739:                             ;   in Loop: Header=BB6_5548 Depth=3
	s_or_b32 exec_lo, exec_lo, s16
	s_and_saveexec_b32 s16, s22
	s_cbranch_execz .LBB6_5741
.LBB6_5740:                             ;   in Loop: Header=BB6_5548 Depth=3
	v_and_b32_sdwa v4, v63, v37 dst_sel:DWORD dst_unused:UNUSED_PAD src0_sel:DWORD src1_sel:BYTE_1
	v_and_b32_e32 v5, 7, v4
	v_bfe_u32 v30, v4, 3, 4
	v_ffbh_u32_e32 v28, v5
	v_cmp_eq_u32_e32 vcc_lo, 0, v30
	v_min_u32_e32 v28, 32, v28
	v_subrev_nc_u32_e32 v29, 28, v28
	v_sub_nc_u32_e32 v28, 29, v28
	v_lshlrev_b32_e32 v4, v29, v4
	v_lshlrev_b32_e32 v29, 16, v37
	v_cndmask_b32_e32 v28, v30, v28, vcc_lo
	v_and_b32_e32 v4, 7, v4
	v_lshl_add_u32 v28, v28, 23, 0x3b800000
	v_cndmask_b32_e32 v4, v5, v4, vcc_lo
	v_and_b32_e32 v5, 0x80000000, v29
	v_lshlrev_b32_e32 v4, 20, v4
	v_or3_b32 v4, v5, v28, v4
.LBB6_5741:                             ;   in Loop: Header=BB6_5548 Depth=3
	s_or_b32 exec_lo, exec_lo, s16
	v_max_f32_e32 v4, v4, v4
	v_max_f32_e32 v1, v1, v1
	s_mov_b32 s16, 0
	v_max_f32_e32 v1, v1, v4
.LBB6_5742:                             ;   in Loop: Header=BB6_5548 Depth=3
	s_and_b32 vcc_lo, exec_lo, s16
	s_cbranch_vccz .LBB6_5756
; %bb.5743:                             ;   in Loop: Header=BB6_5548 Depth=3
	v_cmp_gt_i16_sdwa s16, v49, v61 src0_sel:BYTE_1 src1_sel:DWORD
	s_mov_b32 s22, 0
	s_and_saveexec_b32 s23, s16
	s_xor_b32 s16, exec_lo, s23
	s_cbranch_execz .LBB6_7894
; %bb.5744:                             ;   in Loop: Header=BB6_5548 Depth=3
	v_cmp_eq_u16_sdwa s73, v49, v62 src0_sel:BYTE_1 src1_sel:DWORD
	s_mov_b32 s22, -1
	s_and_saveexec_b32 s23, s73
; %bb.5745:                             ;   in Loop: Header=BB6_5548 Depth=3
	s_xor_b32 s22, exec_lo, -1
; %bb.5746:                             ;   in Loop: Header=BB6_5548 Depth=3
	s_or_b32 exec_lo, exec_lo, s23
	s_and_b32 s22, s22, exec_lo
	s_or_saveexec_b32 s16, s16
	v_mov_b32_e32 v1, 0x7f800001
	s_xor_b32 exec_lo, exec_lo, s16
	s_cbranch_execnz .LBB6_7895
.LBB6_5747:                             ;   in Loop: Header=BB6_5548 Depth=3
	s_or_b32 exec_lo, exec_lo, s16
	s_and_saveexec_b32 s16, s22
	s_cbranch_execz .LBB6_5749
.LBB6_5748:                             ;   in Loop: Header=BB6_5548 Depth=3
	v_and_b32_sdwa v1, v63, v49 dst_sel:DWORD dst_unused:UNUSED_PAD src0_sel:DWORD src1_sel:BYTE_1
	v_and_b32_e32 v4, 7, v1
	v_bfe_u32 v29, v1, 3, 4
	v_ffbh_u32_e32 v5, v4
	v_cmp_eq_u32_e32 vcc_lo, 0, v29
	v_min_u32_e32 v5, 32, v5
	v_subrev_nc_u32_e32 v28, 28, v5
	v_sub_nc_u32_e32 v5, 29, v5
	v_lshlrev_b32_e32 v1, v28, v1
	v_lshlrev_b32_e32 v28, 16, v49
	v_cndmask_b32_e32 v5, v29, v5, vcc_lo
	v_and_b32_e32 v1, 7, v1
	v_lshl_add_u32 v5, v5, 23, 0x3b800000
	v_cndmask_b32_e32 v1, v4, v1, vcc_lo
	v_and_b32_e32 v4, 0x80000000, v28
	v_lshlrev_b32_e32 v1, 20, v1
	v_or3_b32 v1, v4, v5, v1
.LBB6_5749:                             ;   in Loop: Header=BB6_5548 Depth=3
	s_or_b32 exec_lo, exec_lo, s16
	v_cmp_gt_i16_sdwa s16, v37, v61 src0_sel:BYTE_1 src1_sel:DWORD
	s_mov_b32 s22, 0
	s_and_saveexec_b32 s23, s16
	s_xor_b32 s16, exec_lo, s23
	s_cbranch_execz .LBB6_7896
; %bb.5750:                             ;   in Loop: Header=BB6_5548 Depth=3
	v_cmp_eq_u16_sdwa s73, v37, v62 src0_sel:BYTE_1 src1_sel:DWORD
	s_mov_b32 s22, -1
	s_and_saveexec_b32 s23, s73
; %bb.5751:                             ;   in Loop: Header=BB6_5548 Depth=3
	s_xor_b32 s22, exec_lo, -1
; %bb.5752:                             ;   in Loop: Header=BB6_5548 Depth=3
	s_or_b32 exec_lo, exec_lo, s23
	s_and_b32 s22, s22, exec_lo
	s_or_saveexec_b32 s16, s16
	v_mov_b32_e32 v4, 0x7f800001
	s_xor_b32 exec_lo, exec_lo, s16
	s_cbranch_execnz .LBB6_7897
.LBB6_5753:                             ;   in Loop: Header=BB6_5548 Depth=3
	s_or_b32 exec_lo, exec_lo, s16
	s_and_saveexec_b32 s16, s22
	s_cbranch_execz .LBB6_5755
.LBB6_5754:                             ;   in Loop: Header=BB6_5548 Depth=3
	v_and_b32_sdwa v4, v63, v37 dst_sel:DWORD dst_unused:UNUSED_PAD src0_sel:DWORD src1_sel:BYTE_1
	v_and_b32_e32 v5, 7, v4
	v_bfe_u32 v30, v4, 3, 4
	v_ffbh_u32_e32 v28, v5
	v_cmp_eq_u32_e32 vcc_lo, 0, v30
	v_min_u32_e32 v28, 32, v28
	v_subrev_nc_u32_e32 v29, 28, v28
	v_sub_nc_u32_e32 v28, 29, v28
	v_lshlrev_b32_e32 v4, v29, v4
	v_lshlrev_b32_e32 v29, 16, v37
	v_cndmask_b32_e32 v28, v30, v28, vcc_lo
	v_and_b32_e32 v4, 7, v4
	v_lshl_add_u32 v28, v28, 23, 0x3b800000
	v_cndmask_b32_e32 v4, v5, v4, vcc_lo
	v_and_b32_e32 v5, 0x80000000, v29
	v_lshlrev_b32_e32 v4, 20, v4
	v_or3_b32 v4, v5, v28, v4
.LBB6_5755:                             ;   in Loop: Header=BB6_5548 Depth=3
	s_or_b32 exec_lo, exec_lo, s16
	v_max_f32_e32 v4, v4, v4
	v_max_f32_e32 v1, v1, v1
	v_min_f32_e32 v1, v1, v4
.LBB6_5756:                             ;   in Loop: Header=BB6_5548 Depth=3
	v_and_b32_e32 v4, 0x7f800000, v1
	v_mov_b32_e32 v123, 0x8000
	s_mov_b32 s22, exec_lo
	v_cmpx_ne_u32_e32 0x7f800000, v4
	s_cbranch_execz .LBB6_5764
; %bb.5757:                             ;   in Loop: Header=BB6_5548 Depth=3
	v_mov_b32_e32 v123, 0
	s_mov_b32 s23, exec_lo
	v_cmpx_ne_u32_e32 0, v1
	s_cbranch_execz .LBB6_5763
; %bb.5758:                             ;   in Loop: Header=BB6_5548 Depth=3
	v_bfe_u32 v5, v1, 23, 8
	v_and_b32_e32 v4, 0x7fffff, v1
	v_cmp_gt_u32_e64 s16, 0x79, v5
	v_sub_nc_u32_e32 v28, 0x78, v5
	v_cmp_eq_u32_e32 vcc_lo, 0, v5
	v_or_b32_e32 v29, 0x800000, v4
	v_cndmask_b32_e64 v28, 0, v28, s16
	v_cndmask_b32_e32 v4, v29, v4, vcc_lo
	v_cndmask_b32_e64 v28, v28, 0x77, vcc_lo
	v_lshl_add_u32 v29, 0x100000, v28, -1
	v_lshlrev_b32_e64 v30, v28, 0x80000
	v_and_b32_e32 v29, v29, v4
	v_cmp_eq_u32_e64 s16, v29, v30
	v_lshrrev_b32_e32 v29, v28, v4
	v_add_nc_u32_e32 v4, 0xffffff89, v5
	v_lshrrev_b32_e32 v5, 23, v29
	v_cndmask_b32_e64 v4, v4, 0xffffff8a, vcc_lo
	v_xor_b32_e32 v5, 1, v5
	v_add_nc_u32_e32 v4, v28, v4
	v_bfe_u32 v28, v29, 20, 1
	v_add_nc_u32_e32 v28, -1, v28
	v_cndmask_b32_e64 v28, 0, v28, s16
	s_mov_b32 s16, exec_lo
	v_add_nc_u32_e32 v28, v28, v29
	v_and_b32_e32 v28, 0xfffff, v28
	v_add_nc_u32_e32 v28, v28, v29
                                        ; implicit-def: $vgpr29
	v_cmpx_ne_u32_e64 v4, v5
	s_xor_b32 s16, exec_lo, s16
; %bb.5759:                             ;   in Loop: Header=BB6_5548 Depth=3
	v_cmp_lt_u32_e32 vcc_lo, 0xffffff, v28
	v_sub_nc_u32_e32 v4, v4, v5
	v_cndmask_b32_e64 v5, 0, 1, vcc_lo
	v_add_co_ci_u32_e64 v29, null, 0, v4, vcc_lo
	v_lshrrev_b32_e32 v28, v5, v28
; %bb.5760:                             ;   in Loop: Header=BB6_5548 Depth=3
	s_andn2_saveexec_b32 s16, s16
; %bb.5761:                             ;   in Loop: Header=BB6_5548 Depth=3
	v_bfe_u32 v29, v28, 23, 1
; %bb.5762:                             ;   in Loop: Header=BB6_5548 Depth=3
	s_or_b32 exec_lo, exec_lo, s16
	v_lshrrev_b32_e32 v4, 20, v28
	v_min_i32_e32 v5, 15, v29
	v_cmp_gt_i32_e32 vcc_lo, 16, v29
	v_and_b32_sdwa v1, v1, v62 dst_sel:DWORD dst_unused:UNUSED_PAD src0_sel:BYTE_3 src1_sel:DWORD
	v_lshlrev_b32_e32 v5, 3, v5
	v_cndmask_b32_e32 v4, 7, v4, vcc_lo
	v_and_b32_e32 v5, 0xf8, v5
	v_or_b32_e32 v28, v29, v4
	v_and_b32_e32 v4, 7, v4
	v_cmp_ne_u32_e32 vcc_lo, 0, v28
	v_or3_b32 v1, v1, v5, v4
	v_lshlrev_b32_e32 v1, 8, v1
	v_cndmask_b32_e32 v123, 0, v1, vcc_lo
.LBB6_5763:                             ;   in Loop: Header=BB6_5548 Depth=3
	s_or_b32 exec_lo, exec_lo, s23
.LBB6_5764:                             ;   in Loop: Header=BB6_5548 Depth=3
	s_or_b32 exec_lo, exec_lo, s22
	v_and_b32_sdwa v1, v49, v72 dst_sel:DWORD dst_unused:UNUSED_PAD src0_sel:WORD_1 src1_sel:DWORD
	s_and_b32 vcc_lo, exec_lo, s19
	s_mov_b32 s22, -1
                                        ; implicit-def: $vgpr4
	v_cmp_lt_i16_e64 s16, 0x7f, v1
	s_cbranch_vccz .LBB6_5778
; %bb.5765:                             ;   in Loop: Header=BB6_5548 Depth=3
	s_mov_b32 s22, 0
	s_and_saveexec_b32 s23, s16
	s_xor_b32 s16, exec_lo, s23
	s_cbranch_execz .LBB6_7898
; %bb.5766:                             ;   in Loop: Header=BB6_5548 Depth=3
	s_mov_b32 s22, -1
	s_mov_b32 s23, exec_lo
	v_cmpx_eq_u16_e32 0x80, v1
; %bb.5767:                             ;   in Loop: Header=BB6_5548 Depth=3
	s_xor_b32 s22, exec_lo, -1
; %bb.5768:                             ;   in Loop: Header=BB6_5548 Depth=3
	s_or_b32 exec_lo, exec_lo, s23
	s_and_b32 s22, s22, exec_lo
	s_or_saveexec_b32 s16, s16
	v_mov_b32_e32 v4, 0x7f800001
	s_xor_b32 exec_lo, exec_lo, s16
	s_cbranch_execnz .LBB6_7899
.LBB6_5769:                             ;   in Loop: Header=BB6_5548 Depth=3
	s_or_b32 exec_lo, exec_lo, s16
	s_and_saveexec_b32 s16, s22
	s_cbranch_execz .LBB6_5771
.LBB6_5770:                             ;   in Loop: Header=BB6_5548 Depth=3
	v_bfe_u32 v4, v49, 16, 3
	v_bfe_u32 v5, v49, 19, 4
	v_ffbh_u32_e32 v28, v4
	v_cmp_eq_u32_e32 vcc_lo, 0, v5
	v_min_u32_e32 v28, 32, v28
	v_subrev_nc_u32_e32 v29, 28, v28
	v_sub_nc_u32_e32 v28, 29, v28
	v_lshlrev_b32_sdwa v29, v29, v49 dst_sel:DWORD dst_unused:UNUSED_PAD src0_sel:DWORD src1_sel:WORD_1
	v_cndmask_b32_e32 v5, v5, v28, vcc_lo
	v_lshlrev_b32_sdwa v28, v73, v49 dst_sel:DWORD dst_unused:UNUSED_PAD src0_sel:DWORD src1_sel:WORD_1
	v_and_b32_e32 v29, 7, v29
	v_lshl_add_u32 v5, v5, 23, 0x3b800000
	v_and_b32_e32 v28, 0x80000000, v28
	v_cndmask_b32_e32 v4, v4, v29, vcc_lo
	v_lshlrev_b32_e32 v4, 20, v4
	v_or3_b32 v4, v28, v5, v4
.LBB6_5771:                             ;   in Loop: Header=BB6_5548 Depth=3
	s_or_b32 exec_lo, exec_lo, s16
	v_and_b32_sdwa v28, v37, v72 dst_sel:DWORD dst_unused:UNUSED_PAD src0_sel:WORD_1 src1_sel:DWORD
	s_mov_b32 s22, 0
	s_mov_b32 s16, exec_lo
	v_cmpx_lt_i16_e32 0x7f, v28
	s_xor_b32 s16, exec_lo, s16
	s_cbranch_execz .LBB6_7900
; %bb.5772:                             ;   in Loop: Header=BB6_5548 Depth=3
	s_mov_b32 s22, -1
	s_mov_b32 s23, exec_lo
	v_cmpx_eq_u16_e32 0x80, v28
; %bb.5773:                             ;   in Loop: Header=BB6_5548 Depth=3
	s_xor_b32 s22, exec_lo, -1
; %bb.5774:                             ;   in Loop: Header=BB6_5548 Depth=3
	s_or_b32 exec_lo, exec_lo, s23
	s_and_b32 s22, s22, exec_lo
                                        ; implicit-def: $vgpr28
	s_or_saveexec_b32 s16, s16
	v_mov_b32_e32 v5, 0x7f800001
	s_xor_b32 exec_lo, exec_lo, s16
	s_cbranch_execnz .LBB6_7901
.LBB6_5775:                             ;   in Loop: Header=BB6_5548 Depth=3
	s_or_b32 exec_lo, exec_lo, s16
	s_and_saveexec_b32 s16, s22
	s_cbranch_execz .LBB6_5777
.LBB6_5776:                             ;   in Loop: Header=BB6_5548 Depth=3
	v_bfe_u32 v5, v37, 16, 3
	v_bfe_u32 v28, v37, 19, 4
	v_ffbh_u32_e32 v29, v5
	v_cmp_eq_u32_e32 vcc_lo, 0, v28
	v_min_u32_e32 v29, 32, v29
	v_subrev_nc_u32_e32 v30, 28, v29
	v_sub_nc_u32_e32 v29, 29, v29
	v_lshlrev_b32_sdwa v30, v30, v37 dst_sel:DWORD dst_unused:UNUSED_PAD src0_sel:DWORD src1_sel:WORD_1
	v_cndmask_b32_e32 v28, v28, v29, vcc_lo
	v_lshlrev_b32_sdwa v29, v73, v37 dst_sel:DWORD dst_unused:UNUSED_PAD src0_sel:DWORD src1_sel:WORD_1
	v_and_b32_e32 v30, 7, v30
	v_lshl_add_u32 v28, v28, 23, 0x3b800000
	v_and_b32_e32 v29, 0x80000000, v29
	v_cndmask_b32_e32 v5, v5, v30, vcc_lo
	v_lshlrev_b32_e32 v5, 20, v5
	v_or3_b32 v5, v29, v28, v5
.LBB6_5777:                             ;   in Loop: Header=BB6_5548 Depth=3
	s_or_b32 exec_lo, exec_lo, s16
	v_max_f32_e32 v5, v5, v5
	v_max_f32_e32 v4, v4, v4
	s_mov_b32 s22, 0
	v_max_f32_e32 v4, v4, v5
.LBB6_5778:                             ;   in Loop: Header=BB6_5548 Depth=3
	s_and_b32 vcc_lo, exec_lo, s22
	s_cbranch_vccz .LBB6_5792
; %bb.5779:                             ;   in Loop: Header=BB6_5548 Depth=3
	s_mov_b32 s22, 0
	s_mov_b32 s16, exec_lo
	v_cmpx_lt_i16_e32 0x7f, v1
	s_xor_b32 s16, exec_lo, s16
	s_cbranch_execz .LBB6_7902
; %bb.5780:                             ;   in Loop: Header=BB6_5548 Depth=3
	s_mov_b32 s22, -1
	s_mov_b32 s23, exec_lo
	v_cmpx_eq_u16_e32 0x80, v1
; %bb.5781:                             ;   in Loop: Header=BB6_5548 Depth=3
	s_xor_b32 s22, exec_lo, -1
; %bb.5782:                             ;   in Loop: Header=BB6_5548 Depth=3
	s_or_b32 exec_lo, exec_lo, s23
	s_and_b32 s22, s22, exec_lo
                                        ; implicit-def: $vgpr1
	s_or_saveexec_b32 s16, s16
	v_mov_b32_e32 v4, 0x7f800001
	s_xor_b32 exec_lo, exec_lo, s16
	s_cbranch_execnz .LBB6_7903
.LBB6_5783:                             ;   in Loop: Header=BB6_5548 Depth=3
	s_or_b32 exec_lo, exec_lo, s16
	s_and_saveexec_b32 s16, s22
	s_cbranch_execz .LBB6_5785
.LBB6_5784:                             ;   in Loop: Header=BB6_5548 Depth=3
	v_bfe_u32 v1, v49, 16, 3
	v_bfe_u32 v4, v49, 19, 4
	v_ffbh_u32_e32 v5, v1
	v_cmp_eq_u32_e32 vcc_lo, 0, v4
	v_min_u32_e32 v5, 32, v5
	v_subrev_nc_u32_e32 v28, 28, v5
	v_sub_nc_u32_e32 v5, 29, v5
	v_lshlrev_b32_sdwa v28, v28, v49 dst_sel:DWORD dst_unused:UNUSED_PAD src0_sel:DWORD src1_sel:WORD_1
	v_cndmask_b32_e32 v4, v4, v5, vcc_lo
	v_lshlrev_b32_sdwa v5, v73, v49 dst_sel:DWORD dst_unused:UNUSED_PAD src0_sel:DWORD src1_sel:WORD_1
	v_and_b32_e32 v28, 7, v28
	v_lshl_add_u32 v4, v4, 23, 0x3b800000
	v_and_b32_e32 v5, 0x80000000, v5
	v_cndmask_b32_e32 v1, v1, v28, vcc_lo
	v_lshlrev_b32_e32 v1, 20, v1
	v_or3_b32 v4, v5, v4, v1
.LBB6_5785:                             ;   in Loop: Header=BB6_5548 Depth=3
	s_or_b32 exec_lo, exec_lo, s16
	v_and_b32_sdwa v5, v37, v72 dst_sel:DWORD dst_unused:UNUSED_PAD src0_sel:WORD_1 src1_sel:DWORD
	s_mov_b32 s22, 0
	s_mov_b32 s16, exec_lo
	v_cmpx_lt_i16_e32 0x7f, v5
	s_xor_b32 s16, exec_lo, s16
	s_cbranch_execz .LBB6_7904
; %bb.5786:                             ;   in Loop: Header=BB6_5548 Depth=3
	s_mov_b32 s22, -1
	s_mov_b32 s23, exec_lo
	v_cmpx_eq_u16_e32 0x80, v5
; %bb.5787:                             ;   in Loop: Header=BB6_5548 Depth=3
	s_xor_b32 s22, exec_lo, -1
; %bb.5788:                             ;   in Loop: Header=BB6_5548 Depth=3
	s_or_b32 exec_lo, exec_lo, s23
	s_and_b32 s22, s22, exec_lo
                                        ; implicit-def: $vgpr5
	s_or_saveexec_b32 s16, s16
	v_mov_b32_e32 v1, 0x7f800001
	s_xor_b32 exec_lo, exec_lo, s16
	s_cbranch_execnz .LBB6_7905
.LBB6_5789:                             ;   in Loop: Header=BB6_5548 Depth=3
	s_or_b32 exec_lo, exec_lo, s16
	s_and_saveexec_b32 s16, s22
	s_cbranch_execz .LBB6_5791
.LBB6_5790:                             ;   in Loop: Header=BB6_5548 Depth=3
	v_bfe_u32 v1, v37, 16, 3
	v_bfe_u32 v5, v37, 19, 4
	v_ffbh_u32_e32 v28, v1
	v_cmp_eq_u32_e32 vcc_lo, 0, v5
	v_min_u32_e32 v28, 32, v28
	v_subrev_nc_u32_e32 v29, 28, v28
	v_sub_nc_u32_e32 v28, 29, v28
	v_lshlrev_b32_sdwa v29, v29, v37 dst_sel:DWORD dst_unused:UNUSED_PAD src0_sel:DWORD src1_sel:WORD_1
	v_cndmask_b32_e32 v5, v5, v28, vcc_lo
	v_lshlrev_b32_sdwa v28, v73, v37 dst_sel:DWORD dst_unused:UNUSED_PAD src0_sel:DWORD src1_sel:WORD_1
	v_and_b32_e32 v29, 7, v29
	v_lshl_add_u32 v5, v5, 23, 0x3b800000
	v_and_b32_e32 v28, 0x80000000, v28
	v_cndmask_b32_e32 v1, v1, v29, vcc_lo
	v_lshlrev_b32_e32 v1, 20, v1
	v_or3_b32 v1, v28, v5, v1
.LBB6_5791:                             ;   in Loop: Header=BB6_5548 Depth=3
	s_or_b32 exec_lo, exec_lo, s16
	v_max_f32_e32 v1, v1, v1
	v_max_f32_e32 v4, v4, v4
	v_min_f32_e32 v4, v4, v1
.LBB6_5792:                             ;   in Loop: Header=BB6_5548 Depth=3
	v_and_b32_e32 v1, 0x7f800000, v4
	v_mov_b32_e32 v124, 0x80
	s_mov_b32 s22, exec_lo
	v_cmpx_ne_u32_e32 0x7f800000, v1
	s_cbranch_execz .LBB6_5800
; %bb.5793:                             ;   in Loop: Header=BB6_5548 Depth=3
	v_mov_b32_e32 v124, 0
	s_mov_b32 s23, exec_lo
	v_cmpx_ne_u32_e32 0, v4
	s_cbranch_execz .LBB6_5799
; %bb.5794:                             ;   in Loop: Header=BB6_5548 Depth=3
	v_bfe_u32 v5, v4, 23, 8
	v_and_b32_e32 v1, 0x7fffff, v4
	v_cmp_gt_u32_e64 s16, 0x79, v5
	v_sub_nc_u32_e32 v28, 0x78, v5
	v_cmp_eq_u32_e32 vcc_lo, 0, v5
	v_or_b32_e32 v29, 0x800000, v1
	v_cndmask_b32_e64 v28, 0, v28, s16
	v_cndmask_b32_e32 v1, v29, v1, vcc_lo
	v_cndmask_b32_e64 v28, v28, 0x77, vcc_lo
	v_lshl_add_u32 v29, 0x100000, v28, -1
	v_lshlrev_b32_e64 v30, v28, 0x80000
	v_and_b32_e32 v29, v29, v1
	v_cmp_eq_u32_e64 s16, v29, v30
	v_lshrrev_b32_e32 v29, v28, v1
	v_add_nc_u32_e32 v1, 0xffffff89, v5
	v_lshrrev_b32_e32 v5, 23, v29
	v_cndmask_b32_e64 v1, v1, 0xffffff8a, vcc_lo
	v_xor_b32_e32 v5, 1, v5
	v_add_nc_u32_e32 v1, v28, v1
	v_bfe_u32 v28, v29, 20, 1
	v_add_nc_u32_e32 v28, -1, v28
	v_cndmask_b32_e64 v28, 0, v28, s16
	s_mov_b32 s16, exec_lo
	v_add_nc_u32_e32 v28, v28, v29
	v_and_b32_e32 v28, 0xfffff, v28
	v_add_nc_u32_e32 v28, v28, v29
                                        ; implicit-def: $vgpr29
	v_cmpx_ne_u32_e64 v1, v5
	s_xor_b32 s16, exec_lo, s16
; %bb.5795:                             ;   in Loop: Header=BB6_5548 Depth=3
	v_cmp_lt_u32_e32 vcc_lo, 0xffffff, v28
	v_sub_nc_u32_e32 v1, v1, v5
	v_cndmask_b32_e64 v5, 0, 1, vcc_lo
	v_add_co_ci_u32_e64 v29, null, 0, v1, vcc_lo
	v_lshrrev_b32_e32 v28, v5, v28
; %bb.5796:                             ;   in Loop: Header=BB6_5548 Depth=3
	s_andn2_saveexec_b32 s16, s16
; %bb.5797:                             ;   in Loop: Header=BB6_5548 Depth=3
	v_bfe_u32 v29, v28, 23, 1
; %bb.5798:                             ;   in Loop: Header=BB6_5548 Depth=3
	s_or_b32 exec_lo, exec_lo, s16
	v_and_b32_sdwa v1, v4, v62 dst_sel:DWORD dst_unused:UNUSED_PAD src0_sel:BYTE_3 src1_sel:DWORD
	v_lshrrev_b32_e32 v4, 20, v28
	v_min_i32_e32 v5, 15, v29
	v_cmp_gt_i32_e32 vcc_lo, 16, v29
	v_lshlrev_b32_e32 v5, 3, v5
	v_cndmask_b32_e32 v4, 7, v4, vcc_lo
	v_and_b32_e32 v5, 0xf8, v5
	v_or_b32_e32 v28, v29, v4
	v_and_b32_e32 v4, 7, v4
	v_cmp_ne_u32_e32 vcc_lo, 0, v28
	v_or3_b32 v1, v5, v1, v4
	v_cndmask_b32_e32 v124, 0, v1, vcc_lo
.LBB6_5799:                             ;   in Loop: Header=BB6_5548 Depth=3
	s_or_b32 exec_lo, exec_lo, s23
.LBB6_5800:                             ;   in Loop: Header=BB6_5548 Depth=3
	s_or_b32 exec_lo, exec_lo, s22
	v_cmp_gt_i16_sdwa s23, v49, v61 src0_sel:BYTE_3 src1_sel:DWORD
	s_and_b32 vcc_lo, exec_lo, s19
	s_mov_b32 s16, -1
                                        ; implicit-def: $vgpr1
	s_cbranch_vccz .LBB6_5814
; %bb.5801:                             ;   in Loop: Header=BB6_5548 Depth=3
	s_mov_b32 s22, 0
	s_and_saveexec_b32 s16, s23
	s_xor_b32 s16, exec_lo, s16
	s_cbranch_execz .LBB6_7906
; %bb.5802:                             ;   in Loop: Header=BB6_5548 Depth=3
	v_cmp_eq_u16_sdwa s73, v49, v62 src0_sel:BYTE_3 src1_sel:DWORD
	s_mov_b32 s22, -1
	s_and_saveexec_b32 s23, s73
; %bb.5803:                             ;   in Loop: Header=BB6_5548 Depth=3
	s_xor_b32 s22, exec_lo, -1
; %bb.5804:                             ;   in Loop: Header=BB6_5548 Depth=3
	s_or_b32 exec_lo, exec_lo, s23
	s_and_b32 s22, s22, exec_lo
	s_or_saveexec_b32 s16, s16
	v_mov_b32_e32 v1, 0x7f800001
	s_xor_b32 exec_lo, exec_lo, s16
	s_cbranch_execnz .LBB6_7907
.LBB6_5805:                             ;   in Loop: Header=BB6_5548 Depth=3
	s_or_b32 exec_lo, exec_lo, s16
	s_and_saveexec_b32 s16, s22
	s_cbranch_execz .LBB6_5807
.LBB6_5806:                             ;   in Loop: Header=BB6_5548 Depth=3
	v_bfe_u32 v1, v49, 24, 3
	v_bfe_u32 v28, v49, 27, 4
	v_ffbh_u32_e32 v4, v1
	v_cmp_eq_u32_e32 vcc_lo, 0, v28
	v_min_u32_e32 v4, 32, v4
	v_subrev_nc_u32_e32 v5, 28, v4
	v_sub_nc_u32_e32 v4, 29, v4
	v_lshlrev_b32_sdwa v5, v5, v49 dst_sel:DWORD dst_unused:UNUSED_PAD src0_sel:DWORD src1_sel:BYTE_3
	v_cndmask_b32_e32 v4, v28, v4, vcc_lo
	v_and_b32_e32 v5, 7, v5
	v_lshl_add_u32 v4, v4, 23, 0x3b800000
	v_cndmask_b32_e32 v1, v1, v5, vcc_lo
	v_and_b32_e32 v5, 0x80000000, v49
	v_lshlrev_b32_e32 v1, 20, v1
	v_or3_b32 v1, v5, v4, v1
.LBB6_5807:                             ;   in Loop: Header=BB6_5548 Depth=3
	s_or_b32 exec_lo, exec_lo, s16
	v_cmp_gt_i16_sdwa s16, v37, v61 src0_sel:BYTE_3 src1_sel:DWORD
	s_mov_b32 s22, 0
	s_and_saveexec_b32 s23, s16
	s_xor_b32 s16, exec_lo, s23
	s_cbranch_execz .LBB6_7908
; %bb.5808:                             ;   in Loop: Header=BB6_5548 Depth=3
	v_cmp_eq_u16_sdwa s73, v37, v62 src0_sel:BYTE_3 src1_sel:DWORD
	s_mov_b32 s22, -1
	s_and_saveexec_b32 s23, s73
; %bb.5809:                             ;   in Loop: Header=BB6_5548 Depth=3
	s_xor_b32 s22, exec_lo, -1
; %bb.5810:                             ;   in Loop: Header=BB6_5548 Depth=3
	s_or_b32 exec_lo, exec_lo, s23
	s_and_b32 s22, s22, exec_lo
	s_or_saveexec_b32 s16, s16
	v_mov_b32_e32 v4, 0x7f800001
	s_xor_b32 exec_lo, exec_lo, s16
	s_cbranch_execnz .LBB6_7909
.LBB6_5811:                             ;   in Loop: Header=BB6_5548 Depth=3
	s_or_b32 exec_lo, exec_lo, s16
	s_and_saveexec_b32 s16, s22
	s_cbranch_execz .LBB6_5813
.LBB6_5812:                             ;   in Loop: Header=BB6_5548 Depth=3
	v_bfe_u32 v4, v37, 24, 3
	v_bfe_u32 v29, v37, 27, 4
	v_ffbh_u32_e32 v5, v4
	v_cmp_eq_u32_e32 vcc_lo, 0, v29
	v_min_u32_e32 v5, 32, v5
	v_subrev_nc_u32_e32 v28, 28, v5
	v_sub_nc_u32_e32 v5, 29, v5
	v_lshlrev_b32_sdwa v28, v28, v37 dst_sel:DWORD dst_unused:UNUSED_PAD src0_sel:DWORD src1_sel:BYTE_3
	v_cndmask_b32_e32 v5, v29, v5, vcc_lo
	v_and_b32_e32 v28, 7, v28
	v_lshl_add_u32 v5, v5, 23, 0x3b800000
	v_cndmask_b32_e32 v4, v4, v28, vcc_lo
	v_and_b32_e32 v28, 0x80000000, v37
	v_lshlrev_b32_e32 v4, 20, v4
	v_or3_b32 v4, v28, v5, v4
.LBB6_5813:                             ;   in Loop: Header=BB6_5548 Depth=3
	s_or_b32 exec_lo, exec_lo, s16
	v_max_f32_e32 v4, v4, v4
	v_max_f32_e32 v1, v1, v1
	s_mov_b32 s16, 0
	v_max_f32_e32 v1, v1, v4
.LBB6_5814:                             ;   in Loop: Header=BB6_5548 Depth=3
	s_and_b32 vcc_lo, exec_lo, s16
	s_cbranch_vccz .LBB6_5828
; %bb.5815:                             ;   in Loop: Header=BB6_5548 Depth=3
	v_cmp_gt_i16_sdwa s16, v49, v61 src0_sel:BYTE_3 src1_sel:DWORD
	s_mov_b32 s22, 0
	s_and_saveexec_b32 s23, s16
	s_xor_b32 s16, exec_lo, s23
	s_cbranch_execz .LBB6_7910
; %bb.5816:                             ;   in Loop: Header=BB6_5548 Depth=3
	v_cmp_eq_u16_sdwa s73, v49, v62 src0_sel:BYTE_3 src1_sel:DWORD
	s_mov_b32 s22, -1
	s_and_saveexec_b32 s23, s73
; %bb.5817:                             ;   in Loop: Header=BB6_5548 Depth=3
	s_xor_b32 s22, exec_lo, -1
; %bb.5818:                             ;   in Loop: Header=BB6_5548 Depth=3
	s_or_b32 exec_lo, exec_lo, s23
	s_and_b32 s22, s22, exec_lo
	s_or_saveexec_b32 s16, s16
	v_mov_b32_e32 v1, 0x7f800001
	s_xor_b32 exec_lo, exec_lo, s16
	s_cbranch_execnz .LBB6_7911
.LBB6_5819:                             ;   in Loop: Header=BB6_5548 Depth=3
	s_or_b32 exec_lo, exec_lo, s16
	s_and_saveexec_b32 s16, s22
	s_cbranch_execz .LBB6_5821
.LBB6_5820:                             ;   in Loop: Header=BB6_5548 Depth=3
	v_bfe_u32 v1, v49, 24, 3
	v_bfe_u32 v28, v49, 27, 4
	v_ffbh_u32_e32 v4, v1
	v_cmp_eq_u32_e32 vcc_lo, 0, v28
	v_min_u32_e32 v4, 32, v4
	v_subrev_nc_u32_e32 v5, 28, v4
	v_sub_nc_u32_e32 v4, 29, v4
	v_lshlrev_b32_sdwa v5, v5, v49 dst_sel:DWORD dst_unused:UNUSED_PAD src0_sel:DWORD src1_sel:BYTE_3
	v_cndmask_b32_e32 v4, v28, v4, vcc_lo
	v_and_b32_e32 v5, 7, v5
	v_lshl_add_u32 v4, v4, 23, 0x3b800000
	v_cndmask_b32_e32 v1, v1, v5, vcc_lo
	v_and_b32_e32 v5, 0x80000000, v49
	v_lshlrev_b32_e32 v1, 20, v1
	v_or3_b32 v1, v5, v4, v1
.LBB6_5821:                             ;   in Loop: Header=BB6_5548 Depth=3
	s_or_b32 exec_lo, exec_lo, s16
	v_cmp_gt_i16_sdwa s16, v37, v61 src0_sel:BYTE_3 src1_sel:DWORD
	s_mov_b32 s22, 0
	s_and_saveexec_b32 s23, s16
	s_xor_b32 s16, exec_lo, s23
	s_cbranch_execz .LBB6_7912
; %bb.5822:                             ;   in Loop: Header=BB6_5548 Depth=3
	v_cmp_eq_u16_sdwa s73, v37, v62 src0_sel:BYTE_3 src1_sel:DWORD
	s_mov_b32 s22, -1
	s_and_saveexec_b32 s23, s73
; %bb.5823:                             ;   in Loop: Header=BB6_5548 Depth=3
	s_xor_b32 s22, exec_lo, -1
; %bb.5824:                             ;   in Loop: Header=BB6_5548 Depth=3
	s_or_b32 exec_lo, exec_lo, s23
	s_and_b32 s22, s22, exec_lo
	s_or_saveexec_b32 s16, s16
	v_mov_b32_e32 v4, 0x7f800001
	s_xor_b32 exec_lo, exec_lo, s16
	s_cbranch_execnz .LBB6_7913
.LBB6_5825:                             ;   in Loop: Header=BB6_5548 Depth=3
	s_or_b32 exec_lo, exec_lo, s16
	s_and_saveexec_b32 s16, s22
	s_cbranch_execz .LBB6_5827
.LBB6_5826:                             ;   in Loop: Header=BB6_5548 Depth=3
	v_bfe_u32 v4, v37, 24, 3
	v_bfe_u32 v29, v37, 27, 4
	v_ffbh_u32_e32 v5, v4
	v_cmp_eq_u32_e32 vcc_lo, 0, v29
	v_min_u32_e32 v5, 32, v5
	v_subrev_nc_u32_e32 v28, 28, v5
	v_sub_nc_u32_e32 v5, 29, v5
	v_lshlrev_b32_sdwa v28, v28, v37 dst_sel:DWORD dst_unused:UNUSED_PAD src0_sel:DWORD src1_sel:BYTE_3
	v_cndmask_b32_e32 v5, v29, v5, vcc_lo
	v_and_b32_e32 v28, 7, v28
	v_lshl_add_u32 v5, v5, 23, 0x3b800000
	v_cndmask_b32_e32 v4, v4, v28, vcc_lo
	v_and_b32_e32 v28, 0x80000000, v37
	v_lshlrev_b32_e32 v4, 20, v4
	v_or3_b32 v4, v28, v5, v4
.LBB6_5827:                             ;   in Loop: Header=BB6_5548 Depth=3
	s_or_b32 exec_lo, exec_lo, s16
	v_max_f32_e32 v4, v4, v4
	v_max_f32_e32 v1, v1, v1
	v_min_f32_e32 v1, v1, v4
.LBB6_5828:                             ;   in Loop: Header=BB6_5548 Depth=3
	v_and_b32_e32 v4, 0x7f800000, v1
	v_mov_b32_e32 v37, 0x8000
	s_mov_b32 s22, exec_lo
	v_cmpx_ne_u32_e32 0x7f800000, v4
	s_cbranch_execz .LBB6_5836
; %bb.5829:                             ;   in Loop: Header=BB6_5548 Depth=3
	v_mov_b32_e32 v37, 0
	s_mov_b32 s23, exec_lo
	v_cmpx_ne_u32_e32 0, v1
	s_cbranch_execz .LBB6_5835
; %bb.5830:                             ;   in Loop: Header=BB6_5548 Depth=3
	v_bfe_u32 v5, v1, 23, 8
	v_and_b32_e32 v4, 0x7fffff, v1
	v_cmp_gt_u32_e64 s16, 0x79, v5
	v_sub_nc_u32_e32 v28, 0x78, v5
	v_cmp_eq_u32_e32 vcc_lo, 0, v5
	v_or_b32_e32 v29, 0x800000, v4
	v_cndmask_b32_e64 v28, 0, v28, s16
	v_cndmask_b32_e32 v4, v29, v4, vcc_lo
	v_cndmask_b32_e64 v28, v28, 0x77, vcc_lo
	v_lshl_add_u32 v29, 0x100000, v28, -1
	v_lshlrev_b32_e64 v30, v28, 0x80000
	v_and_b32_e32 v29, v29, v4
	v_cmp_eq_u32_e64 s16, v29, v30
	v_lshrrev_b32_e32 v29, v28, v4
	v_add_nc_u32_e32 v4, 0xffffff89, v5
	v_lshrrev_b32_e32 v5, 23, v29
	v_cndmask_b32_e64 v4, v4, 0xffffff8a, vcc_lo
	v_xor_b32_e32 v5, 1, v5
	v_add_nc_u32_e32 v4, v28, v4
	v_bfe_u32 v28, v29, 20, 1
	v_add_nc_u32_e32 v28, -1, v28
	v_cndmask_b32_e64 v28, 0, v28, s16
	s_mov_b32 s16, exec_lo
	v_add_nc_u32_e32 v28, v28, v29
	v_and_b32_e32 v28, 0xfffff, v28
	v_add_nc_u32_e32 v28, v28, v29
                                        ; implicit-def: $vgpr29
	v_cmpx_ne_u32_e64 v4, v5
	s_xor_b32 s16, exec_lo, s16
; %bb.5831:                             ;   in Loop: Header=BB6_5548 Depth=3
	v_cmp_lt_u32_e32 vcc_lo, 0xffffff, v28
	v_sub_nc_u32_e32 v4, v4, v5
	v_cndmask_b32_e64 v5, 0, 1, vcc_lo
	v_add_co_ci_u32_e64 v29, null, 0, v4, vcc_lo
	v_lshrrev_b32_e32 v28, v5, v28
; %bb.5832:                             ;   in Loop: Header=BB6_5548 Depth=3
	s_andn2_saveexec_b32 s16, s16
; %bb.5833:                             ;   in Loop: Header=BB6_5548 Depth=3
	v_bfe_u32 v29, v28, 23, 1
; %bb.5834:                             ;   in Loop: Header=BB6_5548 Depth=3
	s_or_b32 exec_lo, exec_lo, s16
	v_lshrrev_b32_e32 v4, 20, v28
	v_min_i32_e32 v5, 15, v29
	v_cmp_gt_i32_e32 vcc_lo, 16, v29
	v_and_b32_sdwa v1, v1, v62 dst_sel:DWORD dst_unused:UNUSED_PAD src0_sel:BYTE_3 src1_sel:DWORD
	v_lshlrev_b32_e32 v5, 3, v5
	v_cndmask_b32_e32 v4, 7, v4, vcc_lo
	v_and_b32_e32 v5, 0xf8, v5
	v_or_b32_e32 v28, v29, v4
	v_and_b32_e32 v4, 7, v4
	v_cmp_ne_u32_e32 vcc_lo, 0, v28
	v_or3_b32 v1, v1, v5, v4
	v_lshlrev_b32_e32 v1, 8, v1
	v_cndmask_b32_e32 v37, 0, v1, vcc_lo
.LBB6_5835:                             ;   in Loop: Header=BB6_5548 Depth=3
	s_or_b32 exec_lo, exec_lo, s23
.LBB6_5836:                             ;   in Loop: Header=BB6_5548 Depth=3
	s_or_b32 exec_lo, exec_lo, s22
	v_cmp_gt_i16_sdwa s23, v50, v61 src0_sel:BYTE_0 src1_sel:DWORD
	s_and_b32 vcc_lo, exec_lo, s19
	s_mov_b32 s16, -1
                                        ; implicit-def: $vgpr1
	s_cbranch_vccz .LBB6_5850
; %bb.5837:                             ;   in Loop: Header=BB6_5548 Depth=3
	s_mov_b32 s22, 0
	s_and_saveexec_b32 s16, s23
	s_xor_b32 s16, exec_lo, s16
	s_cbranch_execz .LBB6_7914
; %bb.5838:                             ;   in Loop: Header=BB6_5548 Depth=3
	v_cmp_eq_u16_sdwa s73, v50, v62 src0_sel:BYTE_0 src1_sel:DWORD
	s_mov_b32 s22, -1
	s_and_saveexec_b32 s23, s73
; %bb.5839:                             ;   in Loop: Header=BB6_5548 Depth=3
	s_xor_b32 s22, exec_lo, -1
; %bb.5840:                             ;   in Loop: Header=BB6_5548 Depth=3
	s_or_b32 exec_lo, exec_lo, s23
	s_and_b32 s22, s22, exec_lo
	s_or_saveexec_b32 s16, s16
	v_mov_b32_e32 v1, 0x7f800001
	s_xor_b32 exec_lo, exec_lo, s16
	s_cbranch_execnz .LBB6_7915
.LBB6_5841:                             ;   in Loop: Header=BB6_5548 Depth=3
	s_or_b32 exec_lo, exec_lo, s16
	s_and_saveexec_b32 s16, s22
	s_cbranch_execz .LBB6_5843
.LBB6_5842:                             ;   in Loop: Header=BB6_5548 Depth=3
	v_and_b32_e32 v1, 7, v50
	v_bfe_u32 v4, v50, 3, 4
	v_ffbh_u32_e32 v5, v1
	v_cmp_eq_u32_e32 vcc_lo, 0, v4
	v_min_u32_e32 v5, 32, v5
	v_subrev_nc_u32_e32 v28, 28, v5
	v_sub_nc_u32_e32 v5, 29, v5
	v_lshlrev_b32_e32 v28, v28, v50
	v_cndmask_b32_e32 v4, v4, v5, vcc_lo
	v_lshlrev_b32_e32 v5, 24, v50
	v_and_b32_e32 v28, 7, v28
	v_lshl_add_u32 v4, v4, 23, 0x3b800000
	v_and_b32_e32 v5, 0x80000000, v5
	v_cndmask_b32_e32 v1, v1, v28, vcc_lo
	v_lshlrev_b32_e32 v1, 20, v1
	v_or3_b32 v1, v5, v4, v1
.LBB6_5843:                             ;   in Loop: Header=BB6_5548 Depth=3
	s_or_b32 exec_lo, exec_lo, s16
	v_cmp_gt_i16_sdwa s16, v38, v61 src0_sel:BYTE_0 src1_sel:DWORD
	s_mov_b32 s22, 0
	s_and_saveexec_b32 s23, s16
	s_xor_b32 s16, exec_lo, s23
	s_cbranch_execz .LBB6_7916
; %bb.5844:                             ;   in Loop: Header=BB6_5548 Depth=3
	v_cmp_eq_u16_sdwa s73, v38, v62 src0_sel:BYTE_0 src1_sel:DWORD
	s_mov_b32 s22, -1
	s_and_saveexec_b32 s23, s73
; %bb.5845:                             ;   in Loop: Header=BB6_5548 Depth=3
	s_xor_b32 s22, exec_lo, -1
; %bb.5846:                             ;   in Loop: Header=BB6_5548 Depth=3
	s_or_b32 exec_lo, exec_lo, s23
	s_and_b32 s22, s22, exec_lo
	s_or_saveexec_b32 s16, s16
	v_mov_b32_e32 v4, 0x7f800001
	s_xor_b32 exec_lo, exec_lo, s16
	s_cbranch_execnz .LBB6_7917
.LBB6_5847:                             ;   in Loop: Header=BB6_5548 Depth=3
	s_or_b32 exec_lo, exec_lo, s16
	s_and_saveexec_b32 s16, s22
	s_cbranch_execz .LBB6_5849
.LBB6_5848:                             ;   in Loop: Header=BB6_5548 Depth=3
	v_and_b32_e32 v4, 7, v38
	v_bfe_u32 v5, v38, 3, 4
	v_ffbh_u32_e32 v28, v4
	v_cmp_eq_u32_e32 vcc_lo, 0, v5
	v_min_u32_e32 v28, 32, v28
	v_subrev_nc_u32_e32 v29, 28, v28
	v_sub_nc_u32_e32 v28, 29, v28
	v_lshlrev_b32_e32 v29, v29, v38
	v_cndmask_b32_e32 v5, v5, v28, vcc_lo
	v_lshlrev_b32_e32 v28, 24, v38
	v_and_b32_e32 v29, 7, v29
	v_lshl_add_u32 v5, v5, 23, 0x3b800000
	v_and_b32_e32 v28, 0x80000000, v28
	v_cndmask_b32_e32 v4, v4, v29, vcc_lo
	v_lshlrev_b32_e32 v4, 20, v4
	v_or3_b32 v4, v28, v5, v4
.LBB6_5849:                             ;   in Loop: Header=BB6_5548 Depth=3
	s_or_b32 exec_lo, exec_lo, s16
	v_max_f32_e32 v4, v4, v4
	v_max_f32_e32 v1, v1, v1
	s_mov_b32 s16, 0
	v_max_f32_e32 v1, v1, v4
.LBB6_5850:                             ;   in Loop: Header=BB6_5548 Depth=3
	s_and_b32 vcc_lo, exec_lo, s16
	s_cbranch_vccz .LBB6_5864
; %bb.5851:                             ;   in Loop: Header=BB6_5548 Depth=3
	v_cmp_gt_i16_sdwa s16, v50, v61 src0_sel:BYTE_0 src1_sel:DWORD
	s_mov_b32 s22, 0
	s_and_saveexec_b32 s23, s16
	s_xor_b32 s16, exec_lo, s23
	s_cbranch_execz .LBB6_7918
; %bb.5852:                             ;   in Loop: Header=BB6_5548 Depth=3
	v_cmp_eq_u16_sdwa s73, v50, v62 src0_sel:BYTE_0 src1_sel:DWORD
	s_mov_b32 s22, -1
	s_and_saveexec_b32 s23, s73
; %bb.5853:                             ;   in Loop: Header=BB6_5548 Depth=3
	s_xor_b32 s22, exec_lo, -1
; %bb.5854:                             ;   in Loop: Header=BB6_5548 Depth=3
	s_or_b32 exec_lo, exec_lo, s23
	s_and_b32 s22, s22, exec_lo
	s_or_saveexec_b32 s16, s16
	v_mov_b32_e32 v1, 0x7f800001
	s_xor_b32 exec_lo, exec_lo, s16
	s_cbranch_execnz .LBB6_7919
.LBB6_5855:                             ;   in Loop: Header=BB6_5548 Depth=3
	s_or_b32 exec_lo, exec_lo, s16
	s_and_saveexec_b32 s16, s22
	s_cbranch_execz .LBB6_5857
.LBB6_5856:                             ;   in Loop: Header=BB6_5548 Depth=3
	v_and_b32_e32 v1, 7, v50
	v_bfe_u32 v4, v50, 3, 4
	v_ffbh_u32_e32 v5, v1
	v_cmp_eq_u32_e32 vcc_lo, 0, v4
	v_min_u32_e32 v5, 32, v5
	v_subrev_nc_u32_e32 v28, 28, v5
	v_sub_nc_u32_e32 v5, 29, v5
	v_lshlrev_b32_e32 v28, v28, v50
	v_cndmask_b32_e32 v4, v4, v5, vcc_lo
	v_lshlrev_b32_e32 v5, 24, v50
	v_and_b32_e32 v28, 7, v28
	v_lshl_add_u32 v4, v4, 23, 0x3b800000
	v_and_b32_e32 v5, 0x80000000, v5
	v_cndmask_b32_e32 v1, v1, v28, vcc_lo
	v_lshlrev_b32_e32 v1, 20, v1
	v_or3_b32 v1, v5, v4, v1
.LBB6_5857:                             ;   in Loop: Header=BB6_5548 Depth=3
	s_or_b32 exec_lo, exec_lo, s16
	v_cmp_gt_i16_sdwa s16, v38, v61 src0_sel:BYTE_0 src1_sel:DWORD
	s_mov_b32 s22, 0
	s_and_saveexec_b32 s23, s16
	s_xor_b32 s16, exec_lo, s23
	s_cbranch_execz .LBB6_7920
; %bb.5858:                             ;   in Loop: Header=BB6_5548 Depth=3
	v_cmp_eq_u16_sdwa s73, v38, v62 src0_sel:BYTE_0 src1_sel:DWORD
	s_mov_b32 s22, -1
	s_and_saveexec_b32 s23, s73
; %bb.5859:                             ;   in Loop: Header=BB6_5548 Depth=3
	s_xor_b32 s22, exec_lo, -1
; %bb.5860:                             ;   in Loop: Header=BB6_5548 Depth=3
	s_or_b32 exec_lo, exec_lo, s23
	s_and_b32 s22, s22, exec_lo
	s_or_saveexec_b32 s16, s16
	v_mov_b32_e32 v4, 0x7f800001
	s_xor_b32 exec_lo, exec_lo, s16
	s_cbranch_execnz .LBB6_7921
.LBB6_5861:                             ;   in Loop: Header=BB6_5548 Depth=3
	s_or_b32 exec_lo, exec_lo, s16
	s_and_saveexec_b32 s16, s22
	s_cbranch_execz .LBB6_5863
.LBB6_5862:                             ;   in Loop: Header=BB6_5548 Depth=3
	v_and_b32_e32 v4, 7, v38
	v_bfe_u32 v5, v38, 3, 4
	v_ffbh_u32_e32 v28, v4
	v_cmp_eq_u32_e32 vcc_lo, 0, v5
	v_min_u32_e32 v28, 32, v28
	v_subrev_nc_u32_e32 v29, 28, v28
	v_sub_nc_u32_e32 v28, 29, v28
	v_lshlrev_b32_e32 v29, v29, v38
	v_cndmask_b32_e32 v5, v5, v28, vcc_lo
	v_lshlrev_b32_e32 v28, 24, v38
	v_and_b32_e32 v29, 7, v29
	v_lshl_add_u32 v5, v5, 23, 0x3b800000
	v_and_b32_e32 v28, 0x80000000, v28
	v_cndmask_b32_e32 v4, v4, v29, vcc_lo
	v_lshlrev_b32_e32 v4, 20, v4
	v_or3_b32 v4, v28, v5, v4
.LBB6_5863:                             ;   in Loop: Header=BB6_5548 Depth=3
	s_or_b32 exec_lo, exec_lo, s16
	v_max_f32_e32 v4, v4, v4
	v_max_f32_e32 v1, v1, v1
	v_min_f32_e32 v1, v1, v4
.LBB6_5864:                             ;   in Loop: Header=BB6_5548 Depth=3
	v_and_b32_e32 v4, 0x7f800000, v1
	v_mov_b32_e32 v49, 0x80
	s_mov_b32 s22, exec_lo
	v_cmpx_ne_u32_e32 0x7f800000, v4
	s_cbranch_execz .LBB6_5872
; %bb.5865:                             ;   in Loop: Header=BB6_5548 Depth=3
	v_mov_b32_e32 v49, 0
	s_mov_b32 s23, exec_lo
	v_cmpx_ne_u32_e32 0, v1
	s_cbranch_execz .LBB6_5871
; %bb.5866:                             ;   in Loop: Header=BB6_5548 Depth=3
	v_bfe_u32 v5, v1, 23, 8
	v_and_b32_e32 v4, 0x7fffff, v1
	v_cmp_gt_u32_e64 s16, 0x79, v5
	v_sub_nc_u32_e32 v28, 0x78, v5
	v_cmp_eq_u32_e32 vcc_lo, 0, v5
	v_or_b32_e32 v29, 0x800000, v4
	v_cndmask_b32_e64 v28, 0, v28, s16
	v_cndmask_b32_e32 v4, v29, v4, vcc_lo
	v_cndmask_b32_e64 v28, v28, 0x77, vcc_lo
	v_lshl_add_u32 v29, 0x100000, v28, -1
	v_lshlrev_b32_e64 v30, v28, 0x80000
	v_and_b32_e32 v29, v29, v4
	v_cmp_eq_u32_e64 s16, v29, v30
	v_lshrrev_b32_e32 v29, v28, v4
	v_add_nc_u32_e32 v4, 0xffffff89, v5
	v_lshrrev_b32_e32 v5, 23, v29
	v_cndmask_b32_e64 v4, v4, 0xffffff8a, vcc_lo
	v_xor_b32_e32 v5, 1, v5
	v_add_nc_u32_e32 v4, v28, v4
	v_bfe_u32 v28, v29, 20, 1
	v_add_nc_u32_e32 v28, -1, v28
	v_cndmask_b32_e64 v28, 0, v28, s16
	s_mov_b32 s16, exec_lo
	v_add_nc_u32_e32 v28, v28, v29
	v_and_b32_e32 v28, 0xfffff, v28
	v_add_nc_u32_e32 v28, v28, v29
                                        ; implicit-def: $vgpr29
	v_cmpx_ne_u32_e64 v4, v5
	s_xor_b32 s16, exec_lo, s16
; %bb.5867:                             ;   in Loop: Header=BB6_5548 Depth=3
	v_cmp_lt_u32_e32 vcc_lo, 0xffffff, v28
	v_sub_nc_u32_e32 v4, v4, v5
	v_cndmask_b32_e64 v5, 0, 1, vcc_lo
	v_add_co_ci_u32_e64 v29, null, 0, v4, vcc_lo
	v_lshrrev_b32_e32 v28, v5, v28
; %bb.5868:                             ;   in Loop: Header=BB6_5548 Depth=3
	s_andn2_saveexec_b32 s16, s16
; %bb.5869:                             ;   in Loop: Header=BB6_5548 Depth=3
	v_bfe_u32 v29, v28, 23, 1
; %bb.5870:                             ;   in Loop: Header=BB6_5548 Depth=3
	s_or_b32 exec_lo, exec_lo, s16
	v_lshrrev_b32_e32 v4, 20, v28
	v_min_i32_e32 v5, 15, v29
	v_cmp_gt_i32_e32 vcc_lo, 16, v29
	v_and_b32_sdwa v1, v1, v62 dst_sel:DWORD dst_unused:UNUSED_PAD src0_sel:BYTE_3 src1_sel:DWORD
	v_lshlrev_b32_e32 v5, 3, v5
	v_cndmask_b32_e32 v4, 7, v4, vcc_lo
	v_and_b32_e32 v5, 0xf8, v5
	v_or_b32_e32 v28, v29, v4
	v_and_b32_e32 v4, 7, v4
	v_cmp_ne_u32_e32 vcc_lo, 0, v28
	v_or3_b32 v1, v5, v1, v4
	v_cndmask_b32_e32 v49, 0, v1, vcc_lo
.LBB6_5871:                             ;   in Loop: Header=BB6_5548 Depth=3
	s_or_b32 exec_lo, exec_lo, s23
.LBB6_5872:                             ;   in Loop: Header=BB6_5548 Depth=3
	s_or_b32 exec_lo, exec_lo, s22
	v_cmp_gt_i16_sdwa s23, v50, v61 src0_sel:BYTE_1 src1_sel:DWORD
	s_and_b32 vcc_lo, exec_lo, s19
	s_mov_b32 s16, -1
                                        ; implicit-def: $vgpr1
	s_cbranch_vccz .LBB6_5886
; %bb.5873:                             ;   in Loop: Header=BB6_5548 Depth=3
	s_mov_b32 s22, 0
	s_and_saveexec_b32 s16, s23
	s_xor_b32 s16, exec_lo, s16
	s_cbranch_execz .LBB6_7922
; %bb.5874:                             ;   in Loop: Header=BB6_5548 Depth=3
	v_cmp_eq_u16_sdwa s73, v50, v62 src0_sel:BYTE_1 src1_sel:DWORD
	s_mov_b32 s22, -1
	s_and_saveexec_b32 s23, s73
; %bb.5875:                             ;   in Loop: Header=BB6_5548 Depth=3
	s_xor_b32 s22, exec_lo, -1
; %bb.5876:                             ;   in Loop: Header=BB6_5548 Depth=3
	s_or_b32 exec_lo, exec_lo, s23
	s_and_b32 s22, s22, exec_lo
	s_or_saveexec_b32 s16, s16
	v_mov_b32_e32 v1, 0x7f800001
	s_xor_b32 exec_lo, exec_lo, s16
	s_cbranch_execnz .LBB6_7923
.LBB6_5877:                             ;   in Loop: Header=BB6_5548 Depth=3
	s_or_b32 exec_lo, exec_lo, s16
	s_and_saveexec_b32 s16, s22
	s_cbranch_execz .LBB6_5879
.LBB6_5878:                             ;   in Loop: Header=BB6_5548 Depth=3
	v_and_b32_sdwa v1, v63, v50 dst_sel:DWORD dst_unused:UNUSED_PAD src0_sel:DWORD src1_sel:BYTE_1
	v_and_b32_e32 v4, 7, v1
	v_bfe_u32 v29, v1, 3, 4
	v_ffbh_u32_e32 v5, v4
	v_cmp_eq_u32_e32 vcc_lo, 0, v29
	v_min_u32_e32 v5, 32, v5
	v_subrev_nc_u32_e32 v28, 28, v5
	v_sub_nc_u32_e32 v5, 29, v5
	v_lshlrev_b32_e32 v1, v28, v1
	v_lshlrev_b32_e32 v28, 16, v50
	v_cndmask_b32_e32 v5, v29, v5, vcc_lo
	v_and_b32_e32 v1, 7, v1
	v_lshl_add_u32 v5, v5, 23, 0x3b800000
	v_cndmask_b32_e32 v1, v4, v1, vcc_lo
	v_and_b32_e32 v4, 0x80000000, v28
	v_lshlrev_b32_e32 v1, 20, v1
	v_or3_b32 v1, v4, v5, v1
.LBB6_5879:                             ;   in Loop: Header=BB6_5548 Depth=3
	s_or_b32 exec_lo, exec_lo, s16
	v_cmp_gt_i16_sdwa s16, v38, v61 src0_sel:BYTE_1 src1_sel:DWORD
	s_mov_b32 s22, 0
	s_and_saveexec_b32 s23, s16
	s_xor_b32 s16, exec_lo, s23
	s_cbranch_execz .LBB6_7924
; %bb.5880:                             ;   in Loop: Header=BB6_5548 Depth=3
	v_cmp_eq_u16_sdwa s73, v38, v62 src0_sel:BYTE_1 src1_sel:DWORD
	s_mov_b32 s22, -1
	s_and_saveexec_b32 s23, s73
; %bb.5881:                             ;   in Loop: Header=BB6_5548 Depth=3
	s_xor_b32 s22, exec_lo, -1
; %bb.5882:                             ;   in Loop: Header=BB6_5548 Depth=3
	s_or_b32 exec_lo, exec_lo, s23
	s_and_b32 s22, s22, exec_lo
	s_or_saveexec_b32 s16, s16
	v_mov_b32_e32 v4, 0x7f800001
	s_xor_b32 exec_lo, exec_lo, s16
	s_cbranch_execnz .LBB6_7925
.LBB6_5883:                             ;   in Loop: Header=BB6_5548 Depth=3
	s_or_b32 exec_lo, exec_lo, s16
	s_and_saveexec_b32 s16, s22
	s_cbranch_execz .LBB6_5885
.LBB6_5884:                             ;   in Loop: Header=BB6_5548 Depth=3
	v_and_b32_sdwa v4, v63, v38 dst_sel:DWORD dst_unused:UNUSED_PAD src0_sel:DWORD src1_sel:BYTE_1
	v_and_b32_e32 v5, 7, v4
	v_bfe_u32 v30, v4, 3, 4
	v_ffbh_u32_e32 v28, v5
	v_cmp_eq_u32_e32 vcc_lo, 0, v30
	v_min_u32_e32 v28, 32, v28
	v_subrev_nc_u32_e32 v29, 28, v28
	v_sub_nc_u32_e32 v28, 29, v28
	v_lshlrev_b32_e32 v4, v29, v4
	v_lshlrev_b32_e32 v29, 16, v38
	v_cndmask_b32_e32 v28, v30, v28, vcc_lo
	v_and_b32_e32 v4, 7, v4
	v_lshl_add_u32 v28, v28, 23, 0x3b800000
	v_cndmask_b32_e32 v4, v5, v4, vcc_lo
	v_and_b32_e32 v5, 0x80000000, v29
	v_lshlrev_b32_e32 v4, 20, v4
	v_or3_b32 v4, v5, v28, v4
.LBB6_5885:                             ;   in Loop: Header=BB6_5548 Depth=3
	s_or_b32 exec_lo, exec_lo, s16
	v_max_f32_e32 v4, v4, v4
	v_max_f32_e32 v1, v1, v1
	s_mov_b32 s16, 0
	v_max_f32_e32 v1, v1, v4
.LBB6_5886:                             ;   in Loop: Header=BB6_5548 Depth=3
	s_and_b32 vcc_lo, exec_lo, s16
	s_cbranch_vccz .LBB6_5900
; %bb.5887:                             ;   in Loop: Header=BB6_5548 Depth=3
	v_cmp_gt_i16_sdwa s16, v50, v61 src0_sel:BYTE_1 src1_sel:DWORD
	s_mov_b32 s22, 0
	s_and_saveexec_b32 s23, s16
	s_xor_b32 s16, exec_lo, s23
	s_cbranch_execz .LBB6_7926
; %bb.5888:                             ;   in Loop: Header=BB6_5548 Depth=3
	v_cmp_eq_u16_sdwa s73, v50, v62 src0_sel:BYTE_1 src1_sel:DWORD
	s_mov_b32 s22, -1
	s_and_saveexec_b32 s23, s73
; %bb.5889:                             ;   in Loop: Header=BB6_5548 Depth=3
	s_xor_b32 s22, exec_lo, -1
; %bb.5890:                             ;   in Loop: Header=BB6_5548 Depth=3
	s_or_b32 exec_lo, exec_lo, s23
	s_and_b32 s22, s22, exec_lo
	s_or_saveexec_b32 s16, s16
	v_mov_b32_e32 v1, 0x7f800001
	s_xor_b32 exec_lo, exec_lo, s16
	s_cbranch_execnz .LBB6_7927
.LBB6_5891:                             ;   in Loop: Header=BB6_5548 Depth=3
	s_or_b32 exec_lo, exec_lo, s16
	s_and_saveexec_b32 s16, s22
	s_cbranch_execz .LBB6_5893
.LBB6_5892:                             ;   in Loop: Header=BB6_5548 Depth=3
	v_and_b32_sdwa v1, v63, v50 dst_sel:DWORD dst_unused:UNUSED_PAD src0_sel:DWORD src1_sel:BYTE_1
	v_and_b32_e32 v4, 7, v1
	v_bfe_u32 v29, v1, 3, 4
	v_ffbh_u32_e32 v5, v4
	v_cmp_eq_u32_e32 vcc_lo, 0, v29
	v_min_u32_e32 v5, 32, v5
	v_subrev_nc_u32_e32 v28, 28, v5
	v_sub_nc_u32_e32 v5, 29, v5
	v_lshlrev_b32_e32 v1, v28, v1
	v_lshlrev_b32_e32 v28, 16, v50
	v_cndmask_b32_e32 v5, v29, v5, vcc_lo
	v_and_b32_e32 v1, 7, v1
	v_lshl_add_u32 v5, v5, 23, 0x3b800000
	v_cndmask_b32_e32 v1, v4, v1, vcc_lo
	v_and_b32_e32 v4, 0x80000000, v28
	v_lshlrev_b32_e32 v1, 20, v1
	v_or3_b32 v1, v4, v5, v1
.LBB6_5893:                             ;   in Loop: Header=BB6_5548 Depth=3
	s_or_b32 exec_lo, exec_lo, s16
	v_cmp_gt_i16_sdwa s16, v38, v61 src0_sel:BYTE_1 src1_sel:DWORD
	s_mov_b32 s22, 0
	s_and_saveexec_b32 s23, s16
	s_xor_b32 s16, exec_lo, s23
	s_cbranch_execz .LBB6_7928
; %bb.5894:                             ;   in Loop: Header=BB6_5548 Depth=3
	v_cmp_eq_u16_sdwa s73, v38, v62 src0_sel:BYTE_1 src1_sel:DWORD
	s_mov_b32 s22, -1
	s_and_saveexec_b32 s23, s73
; %bb.5895:                             ;   in Loop: Header=BB6_5548 Depth=3
	s_xor_b32 s22, exec_lo, -1
; %bb.5896:                             ;   in Loop: Header=BB6_5548 Depth=3
	s_or_b32 exec_lo, exec_lo, s23
	s_and_b32 s22, s22, exec_lo
	s_or_saveexec_b32 s16, s16
	v_mov_b32_e32 v4, 0x7f800001
	s_xor_b32 exec_lo, exec_lo, s16
	s_cbranch_execnz .LBB6_7929
.LBB6_5897:                             ;   in Loop: Header=BB6_5548 Depth=3
	s_or_b32 exec_lo, exec_lo, s16
	s_and_saveexec_b32 s16, s22
	s_cbranch_execz .LBB6_5899
.LBB6_5898:                             ;   in Loop: Header=BB6_5548 Depth=3
	v_and_b32_sdwa v4, v63, v38 dst_sel:DWORD dst_unused:UNUSED_PAD src0_sel:DWORD src1_sel:BYTE_1
	v_and_b32_e32 v5, 7, v4
	v_bfe_u32 v30, v4, 3, 4
	v_ffbh_u32_e32 v28, v5
	v_cmp_eq_u32_e32 vcc_lo, 0, v30
	v_min_u32_e32 v28, 32, v28
	v_subrev_nc_u32_e32 v29, 28, v28
	v_sub_nc_u32_e32 v28, 29, v28
	v_lshlrev_b32_e32 v4, v29, v4
	v_lshlrev_b32_e32 v29, 16, v38
	v_cndmask_b32_e32 v28, v30, v28, vcc_lo
	v_and_b32_e32 v4, 7, v4
	v_lshl_add_u32 v28, v28, 23, 0x3b800000
	v_cndmask_b32_e32 v4, v5, v4, vcc_lo
	v_and_b32_e32 v5, 0x80000000, v29
	v_lshlrev_b32_e32 v4, 20, v4
	v_or3_b32 v4, v5, v28, v4
.LBB6_5899:                             ;   in Loop: Header=BB6_5548 Depth=3
	s_or_b32 exec_lo, exec_lo, s16
	v_max_f32_e32 v4, v4, v4
	v_max_f32_e32 v1, v1, v1
	v_min_f32_e32 v1, v1, v4
.LBB6_5900:                             ;   in Loop: Header=BB6_5548 Depth=3
	v_and_b32_e32 v4, 0x7f800000, v1
	v_mov_b32_e32 v125, 0x8000
	s_mov_b32 s22, exec_lo
	v_cmpx_ne_u32_e32 0x7f800000, v4
	s_cbranch_execz .LBB6_5908
; %bb.5901:                             ;   in Loop: Header=BB6_5548 Depth=3
	v_mov_b32_e32 v125, 0
	s_mov_b32 s23, exec_lo
	v_cmpx_ne_u32_e32 0, v1
	s_cbranch_execz .LBB6_5907
; %bb.5902:                             ;   in Loop: Header=BB6_5548 Depth=3
	v_bfe_u32 v5, v1, 23, 8
	v_and_b32_e32 v4, 0x7fffff, v1
	v_cmp_gt_u32_e64 s16, 0x79, v5
	v_sub_nc_u32_e32 v28, 0x78, v5
	v_cmp_eq_u32_e32 vcc_lo, 0, v5
	v_or_b32_e32 v29, 0x800000, v4
	v_cndmask_b32_e64 v28, 0, v28, s16
	v_cndmask_b32_e32 v4, v29, v4, vcc_lo
	v_cndmask_b32_e64 v28, v28, 0x77, vcc_lo
	v_lshl_add_u32 v29, 0x100000, v28, -1
	v_lshlrev_b32_e64 v30, v28, 0x80000
	v_and_b32_e32 v29, v29, v4
	v_cmp_eq_u32_e64 s16, v29, v30
	v_lshrrev_b32_e32 v29, v28, v4
	v_add_nc_u32_e32 v4, 0xffffff89, v5
	v_lshrrev_b32_e32 v5, 23, v29
	v_cndmask_b32_e64 v4, v4, 0xffffff8a, vcc_lo
	v_xor_b32_e32 v5, 1, v5
	v_add_nc_u32_e32 v4, v28, v4
	v_bfe_u32 v28, v29, 20, 1
	v_add_nc_u32_e32 v28, -1, v28
	v_cndmask_b32_e64 v28, 0, v28, s16
	s_mov_b32 s16, exec_lo
	v_add_nc_u32_e32 v28, v28, v29
	v_and_b32_e32 v28, 0xfffff, v28
	v_add_nc_u32_e32 v28, v28, v29
                                        ; implicit-def: $vgpr29
	v_cmpx_ne_u32_e64 v4, v5
	s_xor_b32 s16, exec_lo, s16
; %bb.5903:                             ;   in Loop: Header=BB6_5548 Depth=3
	v_cmp_lt_u32_e32 vcc_lo, 0xffffff, v28
	v_sub_nc_u32_e32 v4, v4, v5
	v_cndmask_b32_e64 v5, 0, 1, vcc_lo
	v_add_co_ci_u32_e64 v29, null, 0, v4, vcc_lo
	v_lshrrev_b32_e32 v28, v5, v28
; %bb.5904:                             ;   in Loop: Header=BB6_5548 Depth=3
	s_andn2_saveexec_b32 s16, s16
; %bb.5905:                             ;   in Loop: Header=BB6_5548 Depth=3
	v_bfe_u32 v29, v28, 23, 1
; %bb.5906:                             ;   in Loop: Header=BB6_5548 Depth=3
	s_or_b32 exec_lo, exec_lo, s16
	v_lshrrev_b32_e32 v4, 20, v28
	v_min_i32_e32 v5, 15, v29
	v_cmp_gt_i32_e32 vcc_lo, 16, v29
	v_and_b32_sdwa v1, v1, v62 dst_sel:DWORD dst_unused:UNUSED_PAD src0_sel:BYTE_3 src1_sel:DWORD
	v_lshlrev_b32_e32 v5, 3, v5
	v_cndmask_b32_e32 v4, 7, v4, vcc_lo
	v_and_b32_e32 v5, 0xf8, v5
	v_or_b32_e32 v28, v29, v4
	v_and_b32_e32 v4, 7, v4
	v_cmp_ne_u32_e32 vcc_lo, 0, v28
	v_or3_b32 v1, v1, v5, v4
	v_lshlrev_b32_e32 v1, 8, v1
	v_cndmask_b32_e32 v125, 0, v1, vcc_lo
.LBB6_5907:                             ;   in Loop: Header=BB6_5548 Depth=3
	s_or_b32 exec_lo, exec_lo, s23
.LBB6_5908:                             ;   in Loop: Header=BB6_5548 Depth=3
	s_or_b32 exec_lo, exec_lo, s22
	v_and_b32_sdwa v1, v50, v72 dst_sel:DWORD dst_unused:UNUSED_PAD src0_sel:WORD_1 src1_sel:DWORD
	s_mov_b32 s22, -1
	s_and_b32 vcc_lo, exec_lo, s19
                                        ; implicit-def: $vgpr4
	v_cmp_lt_i16_e64 s16, 0x7f, v1
	s_cbranch_vccz .LBB6_5922
; %bb.5909:                             ;   in Loop: Header=BB6_5548 Depth=3
	s_mov_b32 s22, 0
	s_and_saveexec_b32 s23, s16
	s_xor_b32 s16, exec_lo, s23
	s_cbranch_execz .LBB6_7930
; %bb.5910:                             ;   in Loop: Header=BB6_5548 Depth=3
	s_mov_b32 s22, -1
	s_mov_b32 s23, exec_lo
	v_cmpx_eq_u16_e32 0x80, v1
; %bb.5911:                             ;   in Loop: Header=BB6_5548 Depth=3
	s_xor_b32 s22, exec_lo, -1
; %bb.5912:                             ;   in Loop: Header=BB6_5548 Depth=3
	s_or_b32 exec_lo, exec_lo, s23
	s_and_b32 s22, s22, exec_lo
	s_or_saveexec_b32 s16, s16
	v_mov_b32_e32 v4, 0x7f800001
	s_xor_b32 exec_lo, exec_lo, s16
	s_cbranch_execnz .LBB6_7931
.LBB6_5913:                             ;   in Loop: Header=BB6_5548 Depth=3
	s_or_b32 exec_lo, exec_lo, s16
	s_and_saveexec_b32 s16, s22
	s_cbranch_execz .LBB6_5915
.LBB6_5914:                             ;   in Loop: Header=BB6_5548 Depth=3
	v_bfe_u32 v4, v50, 16, 3
	v_bfe_u32 v5, v50, 19, 4
	v_ffbh_u32_e32 v28, v4
	v_cmp_eq_u32_e32 vcc_lo, 0, v5
	v_min_u32_e32 v28, 32, v28
	v_subrev_nc_u32_e32 v29, 28, v28
	v_sub_nc_u32_e32 v28, 29, v28
	v_lshlrev_b32_sdwa v29, v29, v50 dst_sel:DWORD dst_unused:UNUSED_PAD src0_sel:DWORD src1_sel:WORD_1
	v_cndmask_b32_e32 v5, v5, v28, vcc_lo
	v_lshlrev_b32_sdwa v28, v73, v50 dst_sel:DWORD dst_unused:UNUSED_PAD src0_sel:DWORD src1_sel:WORD_1
	v_and_b32_e32 v29, 7, v29
	v_lshl_add_u32 v5, v5, 23, 0x3b800000
	v_and_b32_e32 v28, 0x80000000, v28
	v_cndmask_b32_e32 v4, v4, v29, vcc_lo
	v_lshlrev_b32_e32 v4, 20, v4
	v_or3_b32 v4, v28, v5, v4
.LBB6_5915:                             ;   in Loop: Header=BB6_5548 Depth=3
	s_or_b32 exec_lo, exec_lo, s16
	v_and_b32_sdwa v28, v38, v72 dst_sel:DWORD dst_unused:UNUSED_PAD src0_sel:WORD_1 src1_sel:DWORD
	s_mov_b32 s22, 0
	s_mov_b32 s16, exec_lo
	v_cmpx_lt_i16_e32 0x7f, v28
	s_xor_b32 s16, exec_lo, s16
	s_cbranch_execz .LBB6_7932
; %bb.5916:                             ;   in Loop: Header=BB6_5548 Depth=3
	s_mov_b32 s22, -1
	s_mov_b32 s23, exec_lo
	v_cmpx_eq_u16_e32 0x80, v28
; %bb.5917:                             ;   in Loop: Header=BB6_5548 Depth=3
	s_xor_b32 s22, exec_lo, -1
; %bb.5918:                             ;   in Loop: Header=BB6_5548 Depth=3
	s_or_b32 exec_lo, exec_lo, s23
	s_and_b32 s22, s22, exec_lo
                                        ; implicit-def: $vgpr28
	s_or_saveexec_b32 s16, s16
	v_mov_b32_e32 v5, 0x7f800001
	s_xor_b32 exec_lo, exec_lo, s16
	s_cbranch_execnz .LBB6_7933
.LBB6_5919:                             ;   in Loop: Header=BB6_5548 Depth=3
	s_or_b32 exec_lo, exec_lo, s16
	s_and_saveexec_b32 s16, s22
	s_cbranch_execz .LBB6_5921
.LBB6_5920:                             ;   in Loop: Header=BB6_5548 Depth=3
	v_bfe_u32 v5, v38, 16, 3
	v_bfe_u32 v28, v38, 19, 4
	v_ffbh_u32_e32 v29, v5
	v_cmp_eq_u32_e32 vcc_lo, 0, v28
	v_min_u32_e32 v29, 32, v29
	v_subrev_nc_u32_e32 v30, 28, v29
	v_sub_nc_u32_e32 v29, 29, v29
	v_lshlrev_b32_sdwa v30, v30, v38 dst_sel:DWORD dst_unused:UNUSED_PAD src0_sel:DWORD src1_sel:WORD_1
	v_cndmask_b32_e32 v28, v28, v29, vcc_lo
	v_lshlrev_b32_sdwa v29, v73, v38 dst_sel:DWORD dst_unused:UNUSED_PAD src0_sel:DWORD src1_sel:WORD_1
	v_and_b32_e32 v30, 7, v30
	v_lshl_add_u32 v28, v28, 23, 0x3b800000
	v_and_b32_e32 v29, 0x80000000, v29
	v_cndmask_b32_e32 v5, v5, v30, vcc_lo
	v_lshlrev_b32_e32 v5, 20, v5
	v_or3_b32 v5, v29, v28, v5
.LBB6_5921:                             ;   in Loop: Header=BB6_5548 Depth=3
	s_or_b32 exec_lo, exec_lo, s16
	v_max_f32_e32 v5, v5, v5
	v_max_f32_e32 v4, v4, v4
	s_mov_b32 s22, 0
	v_max_f32_e32 v4, v4, v5
.LBB6_5922:                             ;   in Loop: Header=BB6_5548 Depth=3
	s_and_b32 vcc_lo, exec_lo, s22
	s_cbranch_vccz .LBB6_5936
; %bb.5923:                             ;   in Loop: Header=BB6_5548 Depth=3
	s_mov_b32 s22, 0
	s_mov_b32 s16, exec_lo
	v_cmpx_lt_i16_e32 0x7f, v1
	s_xor_b32 s16, exec_lo, s16
	s_cbranch_execz .LBB6_7934
; %bb.5924:                             ;   in Loop: Header=BB6_5548 Depth=3
	s_mov_b32 s22, -1
	s_mov_b32 s23, exec_lo
	v_cmpx_eq_u16_e32 0x80, v1
; %bb.5925:                             ;   in Loop: Header=BB6_5548 Depth=3
	s_xor_b32 s22, exec_lo, -1
; %bb.5926:                             ;   in Loop: Header=BB6_5548 Depth=3
	s_or_b32 exec_lo, exec_lo, s23
	s_and_b32 s22, s22, exec_lo
                                        ; implicit-def: $vgpr1
	s_or_saveexec_b32 s16, s16
	v_mov_b32_e32 v4, 0x7f800001
	s_xor_b32 exec_lo, exec_lo, s16
	s_cbranch_execnz .LBB6_7935
.LBB6_5927:                             ;   in Loop: Header=BB6_5548 Depth=3
	s_or_b32 exec_lo, exec_lo, s16
	s_and_saveexec_b32 s16, s22
	s_cbranch_execz .LBB6_5929
.LBB6_5928:                             ;   in Loop: Header=BB6_5548 Depth=3
	v_bfe_u32 v1, v50, 16, 3
	v_bfe_u32 v4, v50, 19, 4
	v_ffbh_u32_e32 v5, v1
	v_cmp_eq_u32_e32 vcc_lo, 0, v4
	v_min_u32_e32 v5, 32, v5
	v_subrev_nc_u32_e32 v28, 28, v5
	v_sub_nc_u32_e32 v5, 29, v5
	v_lshlrev_b32_sdwa v28, v28, v50 dst_sel:DWORD dst_unused:UNUSED_PAD src0_sel:DWORD src1_sel:WORD_1
	v_cndmask_b32_e32 v4, v4, v5, vcc_lo
	v_lshlrev_b32_sdwa v5, v73, v50 dst_sel:DWORD dst_unused:UNUSED_PAD src0_sel:DWORD src1_sel:WORD_1
	v_and_b32_e32 v28, 7, v28
	v_lshl_add_u32 v4, v4, 23, 0x3b800000
	v_and_b32_e32 v5, 0x80000000, v5
	v_cndmask_b32_e32 v1, v1, v28, vcc_lo
	v_lshlrev_b32_e32 v1, 20, v1
	v_or3_b32 v4, v5, v4, v1
.LBB6_5929:                             ;   in Loop: Header=BB6_5548 Depth=3
	s_or_b32 exec_lo, exec_lo, s16
	v_and_b32_sdwa v5, v38, v72 dst_sel:DWORD dst_unused:UNUSED_PAD src0_sel:WORD_1 src1_sel:DWORD
	s_mov_b32 s22, 0
	s_mov_b32 s16, exec_lo
	v_cmpx_lt_i16_e32 0x7f, v5
	s_xor_b32 s16, exec_lo, s16
	s_cbranch_execz .LBB6_7936
; %bb.5930:                             ;   in Loop: Header=BB6_5548 Depth=3
	s_mov_b32 s22, -1
	s_mov_b32 s23, exec_lo
	v_cmpx_eq_u16_e32 0x80, v5
; %bb.5931:                             ;   in Loop: Header=BB6_5548 Depth=3
	s_xor_b32 s22, exec_lo, -1
; %bb.5932:                             ;   in Loop: Header=BB6_5548 Depth=3
	s_or_b32 exec_lo, exec_lo, s23
	s_and_b32 s22, s22, exec_lo
                                        ; implicit-def: $vgpr5
	s_or_saveexec_b32 s16, s16
	v_mov_b32_e32 v1, 0x7f800001
	s_xor_b32 exec_lo, exec_lo, s16
	s_cbranch_execnz .LBB6_7937
.LBB6_5933:                             ;   in Loop: Header=BB6_5548 Depth=3
	s_or_b32 exec_lo, exec_lo, s16
	s_and_saveexec_b32 s16, s22
	s_cbranch_execz .LBB6_5935
.LBB6_5934:                             ;   in Loop: Header=BB6_5548 Depth=3
	v_bfe_u32 v1, v38, 16, 3
	v_bfe_u32 v5, v38, 19, 4
	v_ffbh_u32_e32 v28, v1
	v_cmp_eq_u32_e32 vcc_lo, 0, v5
	v_min_u32_e32 v28, 32, v28
	v_subrev_nc_u32_e32 v29, 28, v28
	v_sub_nc_u32_e32 v28, 29, v28
	v_lshlrev_b32_sdwa v29, v29, v38 dst_sel:DWORD dst_unused:UNUSED_PAD src0_sel:DWORD src1_sel:WORD_1
	v_cndmask_b32_e32 v5, v5, v28, vcc_lo
	v_lshlrev_b32_sdwa v28, v73, v38 dst_sel:DWORD dst_unused:UNUSED_PAD src0_sel:DWORD src1_sel:WORD_1
	v_and_b32_e32 v29, 7, v29
	v_lshl_add_u32 v5, v5, 23, 0x3b800000
	v_and_b32_e32 v28, 0x80000000, v28
	v_cndmask_b32_e32 v1, v1, v29, vcc_lo
	v_lshlrev_b32_e32 v1, 20, v1
	v_or3_b32 v1, v28, v5, v1
.LBB6_5935:                             ;   in Loop: Header=BB6_5548 Depth=3
	s_or_b32 exec_lo, exec_lo, s16
	v_max_f32_e32 v1, v1, v1
	v_max_f32_e32 v4, v4, v4
	v_min_f32_e32 v4, v4, v1
.LBB6_5936:                             ;   in Loop: Header=BB6_5548 Depth=3
	v_and_b32_e32 v1, 0x7f800000, v4
	v_mov_b32_e32 v126, 0x80
	s_mov_b32 s22, exec_lo
	v_cmpx_ne_u32_e32 0x7f800000, v1
	s_cbranch_execz .LBB6_5944
; %bb.5937:                             ;   in Loop: Header=BB6_5548 Depth=3
	v_mov_b32_e32 v126, 0
	s_mov_b32 s23, exec_lo
	v_cmpx_ne_u32_e32 0, v4
	s_cbranch_execz .LBB6_5943
; %bb.5938:                             ;   in Loop: Header=BB6_5548 Depth=3
	v_bfe_u32 v5, v4, 23, 8
	v_and_b32_e32 v1, 0x7fffff, v4
	v_cmp_gt_u32_e64 s16, 0x79, v5
	v_sub_nc_u32_e32 v28, 0x78, v5
	v_cmp_eq_u32_e32 vcc_lo, 0, v5
	v_or_b32_e32 v29, 0x800000, v1
	v_cndmask_b32_e64 v28, 0, v28, s16
	v_cndmask_b32_e32 v1, v29, v1, vcc_lo
	v_cndmask_b32_e64 v28, v28, 0x77, vcc_lo
	v_lshl_add_u32 v29, 0x100000, v28, -1
	v_lshlrev_b32_e64 v30, v28, 0x80000
	v_and_b32_e32 v29, v29, v1
	v_cmp_eq_u32_e64 s16, v29, v30
	v_lshrrev_b32_e32 v29, v28, v1
	v_add_nc_u32_e32 v1, 0xffffff89, v5
	v_lshrrev_b32_e32 v5, 23, v29
	v_cndmask_b32_e64 v1, v1, 0xffffff8a, vcc_lo
	v_xor_b32_e32 v5, 1, v5
	v_add_nc_u32_e32 v1, v28, v1
	v_bfe_u32 v28, v29, 20, 1
	v_add_nc_u32_e32 v28, -1, v28
	v_cndmask_b32_e64 v28, 0, v28, s16
	s_mov_b32 s16, exec_lo
	v_add_nc_u32_e32 v28, v28, v29
	v_and_b32_e32 v28, 0xfffff, v28
	v_add_nc_u32_e32 v28, v28, v29
                                        ; implicit-def: $vgpr29
	v_cmpx_ne_u32_e64 v1, v5
	s_xor_b32 s16, exec_lo, s16
; %bb.5939:                             ;   in Loop: Header=BB6_5548 Depth=3
	v_cmp_lt_u32_e32 vcc_lo, 0xffffff, v28
	v_sub_nc_u32_e32 v1, v1, v5
	v_cndmask_b32_e64 v5, 0, 1, vcc_lo
	v_add_co_ci_u32_e64 v29, null, 0, v1, vcc_lo
	v_lshrrev_b32_e32 v28, v5, v28
; %bb.5940:                             ;   in Loop: Header=BB6_5548 Depth=3
	s_andn2_saveexec_b32 s16, s16
; %bb.5941:                             ;   in Loop: Header=BB6_5548 Depth=3
	v_bfe_u32 v29, v28, 23, 1
; %bb.5942:                             ;   in Loop: Header=BB6_5548 Depth=3
	s_or_b32 exec_lo, exec_lo, s16
	v_and_b32_sdwa v1, v4, v62 dst_sel:DWORD dst_unused:UNUSED_PAD src0_sel:BYTE_3 src1_sel:DWORD
	v_lshrrev_b32_e32 v4, 20, v28
	v_min_i32_e32 v5, 15, v29
	v_cmp_gt_i32_e32 vcc_lo, 16, v29
	v_lshlrev_b32_e32 v5, 3, v5
	v_cndmask_b32_e32 v4, 7, v4, vcc_lo
	v_and_b32_e32 v5, 0xf8, v5
	v_or_b32_e32 v28, v29, v4
	v_and_b32_e32 v4, 7, v4
	v_cmp_ne_u32_e32 vcc_lo, 0, v28
	v_or3_b32 v1, v5, v1, v4
	v_cndmask_b32_e32 v126, 0, v1, vcc_lo
.LBB6_5943:                             ;   in Loop: Header=BB6_5548 Depth=3
	s_or_b32 exec_lo, exec_lo, s23
.LBB6_5944:                             ;   in Loop: Header=BB6_5548 Depth=3
	s_or_b32 exec_lo, exec_lo, s22
	v_cmp_gt_i16_sdwa s23, v50, v61 src0_sel:BYTE_3 src1_sel:DWORD
	s_mov_b32 s16, -1
	s_and_b32 vcc_lo, exec_lo, s19
                                        ; implicit-def: $vgpr1
	s_cbranch_vccz .LBB6_5958
; %bb.5945:                             ;   in Loop: Header=BB6_5548 Depth=3
	s_mov_b32 s22, 0
	s_and_saveexec_b32 s16, s23
	s_xor_b32 s16, exec_lo, s16
	s_cbranch_execz .LBB6_7938
; %bb.5946:                             ;   in Loop: Header=BB6_5548 Depth=3
	v_cmp_eq_u16_sdwa s73, v50, v62 src0_sel:BYTE_3 src1_sel:DWORD
	s_mov_b32 s22, -1
	s_and_saveexec_b32 s23, s73
; %bb.5947:                             ;   in Loop: Header=BB6_5548 Depth=3
	s_xor_b32 s22, exec_lo, -1
; %bb.5948:                             ;   in Loop: Header=BB6_5548 Depth=3
	s_or_b32 exec_lo, exec_lo, s23
	s_and_b32 s22, s22, exec_lo
	s_or_saveexec_b32 s16, s16
	v_mov_b32_e32 v1, 0x7f800001
	s_xor_b32 exec_lo, exec_lo, s16
	s_cbranch_execnz .LBB6_7939
.LBB6_5949:                             ;   in Loop: Header=BB6_5548 Depth=3
	s_or_b32 exec_lo, exec_lo, s16
	s_and_saveexec_b32 s16, s22
	s_cbranch_execz .LBB6_5951
.LBB6_5950:                             ;   in Loop: Header=BB6_5548 Depth=3
	v_bfe_u32 v1, v50, 24, 3
	v_bfe_u32 v28, v50, 27, 4
	v_ffbh_u32_e32 v4, v1
	v_cmp_eq_u32_e32 vcc_lo, 0, v28
	v_min_u32_e32 v4, 32, v4
	v_subrev_nc_u32_e32 v5, 28, v4
	v_sub_nc_u32_e32 v4, 29, v4
	v_lshlrev_b32_sdwa v5, v5, v50 dst_sel:DWORD dst_unused:UNUSED_PAD src0_sel:DWORD src1_sel:BYTE_3
	v_cndmask_b32_e32 v4, v28, v4, vcc_lo
	v_and_b32_e32 v5, 7, v5
	v_lshl_add_u32 v4, v4, 23, 0x3b800000
	v_cndmask_b32_e32 v1, v1, v5, vcc_lo
	v_and_b32_e32 v5, 0x80000000, v50
	v_lshlrev_b32_e32 v1, 20, v1
	v_or3_b32 v1, v5, v4, v1
.LBB6_5951:                             ;   in Loop: Header=BB6_5548 Depth=3
	s_or_b32 exec_lo, exec_lo, s16
	v_cmp_gt_i16_sdwa s16, v38, v61 src0_sel:BYTE_3 src1_sel:DWORD
	s_mov_b32 s22, 0
	s_and_saveexec_b32 s23, s16
	s_xor_b32 s16, exec_lo, s23
	s_cbranch_execz .LBB6_7940
; %bb.5952:                             ;   in Loop: Header=BB6_5548 Depth=3
	v_cmp_eq_u16_sdwa s73, v38, v62 src0_sel:BYTE_3 src1_sel:DWORD
	s_mov_b32 s22, -1
	s_and_saveexec_b32 s23, s73
; %bb.5953:                             ;   in Loop: Header=BB6_5548 Depth=3
	s_xor_b32 s22, exec_lo, -1
; %bb.5954:                             ;   in Loop: Header=BB6_5548 Depth=3
	s_or_b32 exec_lo, exec_lo, s23
	s_and_b32 s22, s22, exec_lo
	s_or_saveexec_b32 s16, s16
	v_mov_b32_e32 v4, 0x7f800001
	s_xor_b32 exec_lo, exec_lo, s16
	s_cbranch_execnz .LBB6_7941
.LBB6_5955:                             ;   in Loop: Header=BB6_5548 Depth=3
	s_or_b32 exec_lo, exec_lo, s16
	s_and_saveexec_b32 s16, s22
	s_cbranch_execz .LBB6_5957
.LBB6_5956:                             ;   in Loop: Header=BB6_5548 Depth=3
	v_bfe_u32 v4, v38, 24, 3
	v_bfe_u32 v29, v38, 27, 4
	v_ffbh_u32_e32 v5, v4
	v_cmp_eq_u32_e32 vcc_lo, 0, v29
	v_min_u32_e32 v5, 32, v5
	v_subrev_nc_u32_e32 v28, 28, v5
	v_sub_nc_u32_e32 v5, 29, v5
	v_lshlrev_b32_sdwa v28, v28, v38 dst_sel:DWORD dst_unused:UNUSED_PAD src0_sel:DWORD src1_sel:BYTE_3
	v_cndmask_b32_e32 v5, v29, v5, vcc_lo
	v_and_b32_e32 v28, 7, v28
	v_lshl_add_u32 v5, v5, 23, 0x3b800000
	v_cndmask_b32_e32 v4, v4, v28, vcc_lo
	v_and_b32_e32 v28, 0x80000000, v38
	v_lshlrev_b32_e32 v4, 20, v4
	v_or3_b32 v4, v28, v5, v4
.LBB6_5957:                             ;   in Loop: Header=BB6_5548 Depth=3
	s_or_b32 exec_lo, exec_lo, s16
	v_max_f32_e32 v4, v4, v4
	v_max_f32_e32 v1, v1, v1
	s_mov_b32 s16, 0
	v_max_f32_e32 v1, v1, v4
.LBB6_5958:                             ;   in Loop: Header=BB6_5548 Depth=3
	s_and_b32 vcc_lo, exec_lo, s16
	s_cbranch_vccz .LBB6_5972
; %bb.5959:                             ;   in Loop: Header=BB6_5548 Depth=3
	v_cmp_gt_i16_sdwa s16, v50, v61 src0_sel:BYTE_3 src1_sel:DWORD
	s_mov_b32 s22, 0
	s_and_saveexec_b32 s23, s16
	s_xor_b32 s16, exec_lo, s23
	s_cbranch_execz .LBB6_7942
; %bb.5960:                             ;   in Loop: Header=BB6_5548 Depth=3
	v_cmp_eq_u16_sdwa s73, v50, v62 src0_sel:BYTE_3 src1_sel:DWORD
	s_mov_b32 s22, -1
	s_and_saveexec_b32 s23, s73
; %bb.5961:                             ;   in Loop: Header=BB6_5548 Depth=3
	s_xor_b32 s22, exec_lo, -1
; %bb.5962:                             ;   in Loop: Header=BB6_5548 Depth=3
	s_or_b32 exec_lo, exec_lo, s23
	s_and_b32 s22, s22, exec_lo
	s_or_saveexec_b32 s16, s16
	v_mov_b32_e32 v1, 0x7f800001
	s_xor_b32 exec_lo, exec_lo, s16
	s_cbranch_execnz .LBB6_7943
.LBB6_5963:                             ;   in Loop: Header=BB6_5548 Depth=3
	s_or_b32 exec_lo, exec_lo, s16
	s_and_saveexec_b32 s16, s22
	s_cbranch_execz .LBB6_5965
.LBB6_5964:                             ;   in Loop: Header=BB6_5548 Depth=3
	v_bfe_u32 v1, v50, 24, 3
	v_bfe_u32 v28, v50, 27, 4
	v_ffbh_u32_e32 v4, v1
	v_cmp_eq_u32_e32 vcc_lo, 0, v28
	v_min_u32_e32 v4, 32, v4
	v_subrev_nc_u32_e32 v5, 28, v4
	v_sub_nc_u32_e32 v4, 29, v4
	v_lshlrev_b32_sdwa v5, v5, v50 dst_sel:DWORD dst_unused:UNUSED_PAD src0_sel:DWORD src1_sel:BYTE_3
	v_cndmask_b32_e32 v4, v28, v4, vcc_lo
	v_and_b32_e32 v5, 7, v5
	v_lshl_add_u32 v4, v4, 23, 0x3b800000
	v_cndmask_b32_e32 v1, v1, v5, vcc_lo
	v_and_b32_e32 v5, 0x80000000, v50
	v_lshlrev_b32_e32 v1, 20, v1
	v_or3_b32 v1, v5, v4, v1
.LBB6_5965:                             ;   in Loop: Header=BB6_5548 Depth=3
	s_or_b32 exec_lo, exec_lo, s16
	v_cmp_gt_i16_sdwa s16, v38, v61 src0_sel:BYTE_3 src1_sel:DWORD
	s_mov_b32 s22, 0
	s_and_saveexec_b32 s23, s16
	s_xor_b32 s16, exec_lo, s23
	s_cbranch_execz .LBB6_7944
; %bb.5966:                             ;   in Loop: Header=BB6_5548 Depth=3
	v_cmp_eq_u16_sdwa s73, v38, v62 src0_sel:BYTE_3 src1_sel:DWORD
	s_mov_b32 s22, -1
	s_and_saveexec_b32 s23, s73
; %bb.5967:                             ;   in Loop: Header=BB6_5548 Depth=3
	s_xor_b32 s22, exec_lo, -1
; %bb.5968:                             ;   in Loop: Header=BB6_5548 Depth=3
	s_or_b32 exec_lo, exec_lo, s23
	s_and_b32 s22, s22, exec_lo
	s_or_saveexec_b32 s16, s16
	v_mov_b32_e32 v4, 0x7f800001
	s_xor_b32 exec_lo, exec_lo, s16
	s_cbranch_execnz .LBB6_7945
.LBB6_5969:                             ;   in Loop: Header=BB6_5548 Depth=3
	s_or_b32 exec_lo, exec_lo, s16
	s_and_saveexec_b32 s16, s22
	s_cbranch_execz .LBB6_5971
.LBB6_5970:                             ;   in Loop: Header=BB6_5548 Depth=3
	v_bfe_u32 v4, v38, 24, 3
	v_bfe_u32 v29, v38, 27, 4
	v_ffbh_u32_e32 v5, v4
	v_cmp_eq_u32_e32 vcc_lo, 0, v29
	v_min_u32_e32 v5, 32, v5
	v_subrev_nc_u32_e32 v28, 28, v5
	v_sub_nc_u32_e32 v5, 29, v5
	v_lshlrev_b32_sdwa v28, v28, v38 dst_sel:DWORD dst_unused:UNUSED_PAD src0_sel:DWORD src1_sel:BYTE_3
	v_cndmask_b32_e32 v5, v29, v5, vcc_lo
	v_and_b32_e32 v28, 7, v28
	v_lshl_add_u32 v5, v5, 23, 0x3b800000
	v_cndmask_b32_e32 v4, v4, v28, vcc_lo
	v_and_b32_e32 v28, 0x80000000, v38
	v_lshlrev_b32_e32 v4, 20, v4
	v_or3_b32 v4, v28, v5, v4
.LBB6_5971:                             ;   in Loop: Header=BB6_5548 Depth=3
	s_or_b32 exec_lo, exec_lo, s16
	v_max_f32_e32 v4, v4, v4
	v_max_f32_e32 v1, v1, v1
	v_min_f32_e32 v1, v1, v4
.LBB6_5972:                             ;   in Loop: Header=BB6_5548 Depth=3
	v_and_b32_e32 v4, 0x7f800000, v1
	v_mov_b32_e32 v38, 0x8000
	s_mov_b32 s22, exec_lo
	v_cmpx_ne_u32_e32 0x7f800000, v4
	s_cbranch_execz .LBB6_5980
; %bb.5973:                             ;   in Loop: Header=BB6_5548 Depth=3
	v_mov_b32_e32 v38, 0
	s_mov_b32 s23, exec_lo
	v_cmpx_ne_u32_e32 0, v1
	s_cbranch_execz .LBB6_5979
; %bb.5974:                             ;   in Loop: Header=BB6_5548 Depth=3
	v_bfe_u32 v5, v1, 23, 8
	v_and_b32_e32 v4, 0x7fffff, v1
	v_cmp_gt_u32_e64 s16, 0x79, v5
	v_sub_nc_u32_e32 v28, 0x78, v5
	v_cmp_eq_u32_e32 vcc_lo, 0, v5
	v_or_b32_e32 v29, 0x800000, v4
	v_cndmask_b32_e64 v28, 0, v28, s16
	v_cndmask_b32_e32 v4, v29, v4, vcc_lo
	v_cndmask_b32_e64 v28, v28, 0x77, vcc_lo
	v_lshl_add_u32 v29, 0x100000, v28, -1
	v_lshlrev_b32_e64 v30, v28, 0x80000
	v_and_b32_e32 v29, v29, v4
	v_cmp_eq_u32_e64 s16, v29, v30
	v_lshrrev_b32_e32 v29, v28, v4
	v_add_nc_u32_e32 v4, 0xffffff89, v5
	v_lshrrev_b32_e32 v5, 23, v29
	v_cndmask_b32_e64 v4, v4, 0xffffff8a, vcc_lo
	v_xor_b32_e32 v5, 1, v5
	v_add_nc_u32_e32 v4, v28, v4
	v_bfe_u32 v28, v29, 20, 1
	v_add_nc_u32_e32 v28, -1, v28
	v_cndmask_b32_e64 v28, 0, v28, s16
	s_mov_b32 s16, exec_lo
	v_add_nc_u32_e32 v28, v28, v29
	v_and_b32_e32 v28, 0xfffff, v28
	v_add_nc_u32_e32 v28, v28, v29
                                        ; implicit-def: $vgpr29
	v_cmpx_ne_u32_e64 v4, v5
	s_xor_b32 s16, exec_lo, s16
; %bb.5975:                             ;   in Loop: Header=BB6_5548 Depth=3
	v_cmp_lt_u32_e32 vcc_lo, 0xffffff, v28
	v_sub_nc_u32_e32 v4, v4, v5
	v_cndmask_b32_e64 v5, 0, 1, vcc_lo
	v_add_co_ci_u32_e64 v29, null, 0, v4, vcc_lo
	v_lshrrev_b32_e32 v28, v5, v28
; %bb.5976:                             ;   in Loop: Header=BB6_5548 Depth=3
	s_andn2_saveexec_b32 s16, s16
; %bb.5977:                             ;   in Loop: Header=BB6_5548 Depth=3
	v_bfe_u32 v29, v28, 23, 1
; %bb.5978:                             ;   in Loop: Header=BB6_5548 Depth=3
	s_or_b32 exec_lo, exec_lo, s16
	v_lshrrev_b32_e32 v4, 20, v28
	v_min_i32_e32 v5, 15, v29
	v_cmp_gt_i32_e32 vcc_lo, 16, v29
	v_and_b32_sdwa v1, v1, v62 dst_sel:DWORD dst_unused:UNUSED_PAD src0_sel:BYTE_3 src1_sel:DWORD
	v_lshlrev_b32_e32 v5, 3, v5
	v_cndmask_b32_e32 v4, 7, v4, vcc_lo
	v_and_b32_e32 v5, 0xf8, v5
	v_or_b32_e32 v28, v29, v4
	v_and_b32_e32 v4, 7, v4
	v_cmp_ne_u32_e32 vcc_lo, 0, v28
	v_or3_b32 v1, v1, v5, v4
	v_lshlrev_b32_e32 v1, 8, v1
	v_cndmask_b32_e32 v38, 0, v1, vcc_lo
.LBB6_5979:                             ;   in Loop: Header=BB6_5548 Depth=3
	s_or_b32 exec_lo, exec_lo, s23
.LBB6_5980:                             ;   in Loop: Header=BB6_5548 Depth=3
	s_or_b32 exec_lo, exec_lo, s22
	v_cmp_gt_i16_sdwa s23, v51, v61 src0_sel:BYTE_0 src1_sel:DWORD
	s_and_b32 vcc_lo, exec_lo, s19
	s_mov_b32 s16, -1
                                        ; implicit-def: $vgpr1
	s_cbranch_vccz .LBB6_5994
; %bb.5981:                             ;   in Loop: Header=BB6_5548 Depth=3
	s_mov_b32 s22, 0
	s_and_saveexec_b32 s16, s23
	s_xor_b32 s16, exec_lo, s16
	s_cbranch_execz .LBB6_7946
; %bb.5982:                             ;   in Loop: Header=BB6_5548 Depth=3
	v_cmp_eq_u16_sdwa s73, v51, v62 src0_sel:BYTE_0 src1_sel:DWORD
	s_mov_b32 s22, -1
	s_and_saveexec_b32 s23, s73
; %bb.5983:                             ;   in Loop: Header=BB6_5548 Depth=3
	s_xor_b32 s22, exec_lo, -1
; %bb.5984:                             ;   in Loop: Header=BB6_5548 Depth=3
	s_or_b32 exec_lo, exec_lo, s23
	s_and_b32 s22, s22, exec_lo
	s_or_saveexec_b32 s16, s16
	v_mov_b32_e32 v1, 0x7f800001
	s_xor_b32 exec_lo, exec_lo, s16
	s_cbranch_execnz .LBB6_7947
.LBB6_5985:                             ;   in Loop: Header=BB6_5548 Depth=3
	s_or_b32 exec_lo, exec_lo, s16
	s_and_saveexec_b32 s16, s22
	s_cbranch_execz .LBB6_5987
.LBB6_5986:                             ;   in Loop: Header=BB6_5548 Depth=3
	v_and_b32_e32 v1, 7, v51
	v_bfe_u32 v4, v51, 3, 4
	v_ffbh_u32_e32 v5, v1
	v_cmp_eq_u32_e32 vcc_lo, 0, v4
	v_min_u32_e32 v5, 32, v5
	v_subrev_nc_u32_e32 v28, 28, v5
	v_sub_nc_u32_e32 v5, 29, v5
	v_lshlrev_b32_e32 v28, v28, v51
	v_cndmask_b32_e32 v4, v4, v5, vcc_lo
	v_lshlrev_b32_e32 v5, 24, v51
	v_and_b32_e32 v28, 7, v28
	v_lshl_add_u32 v4, v4, 23, 0x3b800000
	v_and_b32_e32 v5, 0x80000000, v5
	v_cndmask_b32_e32 v1, v1, v28, vcc_lo
	v_lshlrev_b32_e32 v1, 20, v1
	v_or3_b32 v1, v5, v4, v1
.LBB6_5987:                             ;   in Loop: Header=BB6_5548 Depth=3
	s_or_b32 exec_lo, exec_lo, s16
	v_cmp_gt_i16_sdwa s16, v39, v61 src0_sel:BYTE_0 src1_sel:DWORD
	s_mov_b32 s22, 0
	s_and_saveexec_b32 s23, s16
	s_xor_b32 s16, exec_lo, s23
	s_cbranch_execz .LBB6_7948
; %bb.5988:                             ;   in Loop: Header=BB6_5548 Depth=3
	v_cmp_eq_u16_sdwa s73, v39, v62 src0_sel:BYTE_0 src1_sel:DWORD
	s_mov_b32 s22, -1
	s_and_saveexec_b32 s23, s73
; %bb.5989:                             ;   in Loop: Header=BB6_5548 Depth=3
	s_xor_b32 s22, exec_lo, -1
; %bb.5990:                             ;   in Loop: Header=BB6_5548 Depth=3
	s_or_b32 exec_lo, exec_lo, s23
	s_and_b32 s22, s22, exec_lo
	s_or_saveexec_b32 s16, s16
	v_mov_b32_e32 v4, 0x7f800001
	s_xor_b32 exec_lo, exec_lo, s16
	s_cbranch_execnz .LBB6_7949
.LBB6_5991:                             ;   in Loop: Header=BB6_5548 Depth=3
	s_or_b32 exec_lo, exec_lo, s16
	s_and_saveexec_b32 s16, s22
	s_cbranch_execz .LBB6_5993
.LBB6_5992:                             ;   in Loop: Header=BB6_5548 Depth=3
	v_and_b32_e32 v4, 7, v39
	v_bfe_u32 v5, v39, 3, 4
	v_ffbh_u32_e32 v28, v4
	v_cmp_eq_u32_e32 vcc_lo, 0, v5
	v_min_u32_e32 v28, 32, v28
	v_subrev_nc_u32_e32 v29, 28, v28
	v_sub_nc_u32_e32 v28, 29, v28
	v_lshlrev_b32_e32 v29, v29, v39
	v_cndmask_b32_e32 v5, v5, v28, vcc_lo
	v_lshlrev_b32_e32 v28, 24, v39
	v_and_b32_e32 v29, 7, v29
	v_lshl_add_u32 v5, v5, 23, 0x3b800000
	v_and_b32_e32 v28, 0x80000000, v28
	v_cndmask_b32_e32 v4, v4, v29, vcc_lo
	v_lshlrev_b32_e32 v4, 20, v4
	v_or3_b32 v4, v28, v5, v4
.LBB6_5993:                             ;   in Loop: Header=BB6_5548 Depth=3
	s_or_b32 exec_lo, exec_lo, s16
	v_max_f32_e32 v4, v4, v4
	v_max_f32_e32 v1, v1, v1
	s_mov_b32 s16, 0
	v_max_f32_e32 v1, v1, v4
.LBB6_5994:                             ;   in Loop: Header=BB6_5548 Depth=3
	s_and_b32 vcc_lo, exec_lo, s16
	s_cbranch_vccz .LBB6_6008
; %bb.5995:                             ;   in Loop: Header=BB6_5548 Depth=3
	v_cmp_gt_i16_sdwa s16, v51, v61 src0_sel:BYTE_0 src1_sel:DWORD
	s_mov_b32 s22, 0
	s_and_saveexec_b32 s23, s16
	s_xor_b32 s16, exec_lo, s23
	s_cbranch_execz .LBB6_7950
; %bb.5996:                             ;   in Loop: Header=BB6_5548 Depth=3
	v_cmp_eq_u16_sdwa s73, v51, v62 src0_sel:BYTE_0 src1_sel:DWORD
	s_mov_b32 s22, -1
	s_and_saveexec_b32 s23, s73
; %bb.5997:                             ;   in Loop: Header=BB6_5548 Depth=3
	s_xor_b32 s22, exec_lo, -1
; %bb.5998:                             ;   in Loop: Header=BB6_5548 Depth=3
	s_or_b32 exec_lo, exec_lo, s23
	s_and_b32 s22, s22, exec_lo
	s_or_saveexec_b32 s16, s16
	v_mov_b32_e32 v1, 0x7f800001
	s_xor_b32 exec_lo, exec_lo, s16
	s_cbranch_execnz .LBB6_7951
.LBB6_5999:                             ;   in Loop: Header=BB6_5548 Depth=3
	s_or_b32 exec_lo, exec_lo, s16
	s_and_saveexec_b32 s16, s22
	s_cbranch_execz .LBB6_6001
.LBB6_6000:                             ;   in Loop: Header=BB6_5548 Depth=3
	v_and_b32_e32 v1, 7, v51
	v_bfe_u32 v4, v51, 3, 4
	v_ffbh_u32_e32 v5, v1
	v_cmp_eq_u32_e32 vcc_lo, 0, v4
	v_min_u32_e32 v5, 32, v5
	v_subrev_nc_u32_e32 v28, 28, v5
	v_sub_nc_u32_e32 v5, 29, v5
	v_lshlrev_b32_e32 v28, v28, v51
	v_cndmask_b32_e32 v4, v4, v5, vcc_lo
	v_lshlrev_b32_e32 v5, 24, v51
	v_and_b32_e32 v28, 7, v28
	v_lshl_add_u32 v4, v4, 23, 0x3b800000
	v_and_b32_e32 v5, 0x80000000, v5
	v_cndmask_b32_e32 v1, v1, v28, vcc_lo
	v_lshlrev_b32_e32 v1, 20, v1
	v_or3_b32 v1, v5, v4, v1
.LBB6_6001:                             ;   in Loop: Header=BB6_5548 Depth=3
	s_or_b32 exec_lo, exec_lo, s16
	v_cmp_gt_i16_sdwa s16, v39, v61 src0_sel:BYTE_0 src1_sel:DWORD
	s_mov_b32 s22, 0
	s_and_saveexec_b32 s23, s16
	s_xor_b32 s16, exec_lo, s23
	s_cbranch_execz .LBB6_7952
; %bb.6002:                             ;   in Loop: Header=BB6_5548 Depth=3
	v_cmp_eq_u16_sdwa s73, v39, v62 src0_sel:BYTE_0 src1_sel:DWORD
	s_mov_b32 s22, -1
	s_and_saveexec_b32 s23, s73
; %bb.6003:                             ;   in Loop: Header=BB6_5548 Depth=3
	s_xor_b32 s22, exec_lo, -1
; %bb.6004:                             ;   in Loop: Header=BB6_5548 Depth=3
	s_or_b32 exec_lo, exec_lo, s23
	s_and_b32 s22, s22, exec_lo
	s_or_saveexec_b32 s16, s16
	v_mov_b32_e32 v4, 0x7f800001
	s_xor_b32 exec_lo, exec_lo, s16
	s_cbranch_execnz .LBB6_7953
.LBB6_6005:                             ;   in Loop: Header=BB6_5548 Depth=3
	s_or_b32 exec_lo, exec_lo, s16
	s_and_saveexec_b32 s16, s22
	s_cbranch_execz .LBB6_6007
.LBB6_6006:                             ;   in Loop: Header=BB6_5548 Depth=3
	v_and_b32_e32 v4, 7, v39
	v_bfe_u32 v5, v39, 3, 4
	v_ffbh_u32_e32 v28, v4
	v_cmp_eq_u32_e32 vcc_lo, 0, v5
	v_min_u32_e32 v28, 32, v28
	v_subrev_nc_u32_e32 v29, 28, v28
	v_sub_nc_u32_e32 v28, 29, v28
	v_lshlrev_b32_e32 v29, v29, v39
	v_cndmask_b32_e32 v5, v5, v28, vcc_lo
	v_lshlrev_b32_e32 v28, 24, v39
	v_and_b32_e32 v29, 7, v29
	v_lshl_add_u32 v5, v5, 23, 0x3b800000
	v_and_b32_e32 v28, 0x80000000, v28
	v_cndmask_b32_e32 v4, v4, v29, vcc_lo
	v_lshlrev_b32_e32 v4, 20, v4
	v_or3_b32 v4, v28, v5, v4
.LBB6_6007:                             ;   in Loop: Header=BB6_5548 Depth=3
	s_or_b32 exec_lo, exec_lo, s16
	v_max_f32_e32 v4, v4, v4
	v_max_f32_e32 v1, v1, v1
	v_min_f32_e32 v1, v1, v4
.LBB6_6008:                             ;   in Loop: Header=BB6_5548 Depth=3
	v_and_b32_e32 v4, 0x7f800000, v1
	v_mov_b32_e32 v50, 0x80
	s_mov_b32 s22, exec_lo
	v_cmpx_ne_u32_e32 0x7f800000, v4
	s_cbranch_execz .LBB6_6016
; %bb.6009:                             ;   in Loop: Header=BB6_5548 Depth=3
	v_mov_b32_e32 v50, 0
	s_mov_b32 s23, exec_lo
	v_cmpx_ne_u32_e32 0, v1
	s_cbranch_execz .LBB6_6015
; %bb.6010:                             ;   in Loop: Header=BB6_5548 Depth=3
	v_bfe_u32 v5, v1, 23, 8
	v_and_b32_e32 v4, 0x7fffff, v1
	v_cmp_gt_u32_e64 s16, 0x79, v5
	v_sub_nc_u32_e32 v28, 0x78, v5
	v_cmp_eq_u32_e32 vcc_lo, 0, v5
	v_or_b32_e32 v29, 0x800000, v4
	v_cndmask_b32_e64 v28, 0, v28, s16
	v_cndmask_b32_e32 v4, v29, v4, vcc_lo
	v_cndmask_b32_e64 v28, v28, 0x77, vcc_lo
	v_lshl_add_u32 v29, 0x100000, v28, -1
	v_lshlrev_b32_e64 v30, v28, 0x80000
	v_and_b32_e32 v29, v29, v4
	v_cmp_eq_u32_e64 s16, v29, v30
	v_lshrrev_b32_e32 v29, v28, v4
	v_add_nc_u32_e32 v4, 0xffffff89, v5
	v_lshrrev_b32_e32 v5, 23, v29
	v_cndmask_b32_e64 v4, v4, 0xffffff8a, vcc_lo
	v_xor_b32_e32 v5, 1, v5
	v_add_nc_u32_e32 v4, v28, v4
	v_bfe_u32 v28, v29, 20, 1
	v_add_nc_u32_e32 v28, -1, v28
	v_cndmask_b32_e64 v28, 0, v28, s16
	s_mov_b32 s16, exec_lo
	v_add_nc_u32_e32 v28, v28, v29
	v_and_b32_e32 v28, 0xfffff, v28
	v_add_nc_u32_e32 v28, v28, v29
                                        ; implicit-def: $vgpr29
	v_cmpx_ne_u32_e64 v4, v5
	s_xor_b32 s16, exec_lo, s16
; %bb.6011:                             ;   in Loop: Header=BB6_5548 Depth=3
	v_cmp_lt_u32_e32 vcc_lo, 0xffffff, v28
	v_sub_nc_u32_e32 v4, v4, v5
	v_cndmask_b32_e64 v5, 0, 1, vcc_lo
	v_add_co_ci_u32_e64 v29, null, 0, v4, vcc_lo
	v_lshrrev_b32_e32 v28, v5, v28
; %bb.6012:                             ;   in Loop: Header=BB6_5548 Depth=3
	s_andn2_saveexec_b32 s16, s16
; %bb.6013:                             ;   in Loop: Header=BB6_5548 Depth=3
	v_bfe_u32 v29, v28, 23, 1
; %bb.6014:                             ;   in Loop: Header=BB6_5548 Depth=3
	s_or_b32 exec_lo, exec_lo, s16
	v_lshrrev_b32_e32 v4, 20, v28
	v_min_i32_e32 v5, 15, v29
	v_cmp_gt_i32_e32 vcc_lo, 16, v29
	v_and_b32_sdwa v1, v1, v62 dst_sel:DWORD dst_unused:UNUSED_PAD src0_sel:BYTE_3 src1_sel:DWORD
	v_lshlrev_b32_e32 v5, 3, v5
	v_cndmask_b32_e32 v4, 7, v4, vcc_lo
	v_and_b32_e32 v5, 0xf8, v5
	v_or_b32_e32 v28, v29, v4
	v_and_b32_e32 v4, 7, v4
	v_cmp_ne_u32_e32 vcc_lo, 0, v28
	v_or3_b32 v1, v5, v1, v4
	v_cndmask_b32_e32 v50, 0, v1, vcc_lo
.LBB6_6015:                             ;   in Loop: Header=BB6_5548 Depth=3
	s_or_b32 exec_lo, exec_lo, s23
.LBB6_6016:                             ;   in Loop: Header=BB6_5548 Depth=3
	s_or_b32 exec_lo, exec_lo, s22
	v_cmp_gt_i16_sdwa s23, v51, v61 src0_sel:BYTE_1 src1_sel:DWORD
	s_mov_b32 s16, -1
	s_and_b32 vcc_lo, exec_lo, s19
                                        ; implicit-def: $vgpr1
	s_cbranch_vccz .LBB6_6030
; %bb.6017:                             ;   in Loop: Header=BB6_5548 Depth=3
	s_mov_b32 s22, 0
	s_and_saveexec_b32 s16, s23
	s_xor_b32 s16, exec_lo, s16
	s_cbranch_execz .LBB6_7954
; %bb.6018:                             ;   in Loop: Header=BB6_5548 Depth=3
	v_cmp_eq_u16_sdwa s73, v51, v62 src0_sel:BYTE_1 src1_sel:DWORD
	s_mov_b32 s22, -1
	s_and_saveexec_b32 s23, s73
; %bb.6019:                             ;   in Loop: Header=BB6_5548 Depth=3
	s_xor_b32 s22, exec_lo, -1
; %bb.6020:                             ;   in Loop: Header=BB6_5548 Depth=3
	s_or_b32 exec_lo, exec_lo, s23
	s_and_b32 s22, s22, exec_lo
	s_or_saveexec_b32 s16, s16
	v_mov_b32_e32 v1, 0x7f800001
	s_xor_b32 exec_lo, exec_lo, s16
	s_cbranch_execnz .LBB6_7955
.LBB6_6021:                             ;   in Loop: Header=BB6_5548 Depth=3
	s_or_b32 exec_lo, exec_lo, s16
	s_and_saveexec_b32 s16, s22
	s_cbranch_execz .LBB6_6023
.LBB6_6022:                             ;   in Loop: Header=BB6_5548 Depth=3
	v_and_b32_sdwa v1, v63, v51 dst_sel:DWORD dst_unused:UNUSED_PAD src0_sel:DWORD src1_sel:BYTE_1
	v_and_b32_e32 v4, 7, v1
	v_bfe_u32 v29, v1, 3, 4
	v_ffbh_u32_e32 v5, v4
	v_cmp_eq_u32_e32 vcc_lo, 0, v29
	v_min_u32_e32 v5, 32, v5
	v_subrev_nc_u32_e32 v28, 28, v5
	v_sub_nc_u32_e32 v5, 29, v5
	v_lshlrev_b32_e32 v1, v28, v1
	v_lshlrev_b32_e32 v28, 16, v51
	v_cndmask_b32_e32 v5, v29, v5, vcc_lo
	v_and_b32_e32 v1, 7, v1
	v_lshl_add_u32 v5, v5, 23, 0x3b800000
	v_cndmask_b32_e32 v1, v4, v1, vcc_lo
	v_and_b32_e32 v4, 0x80000000, v28
	v_lshlrev_b32_e32 v1, 20, v1
	v_or3_b32 v1, v4, v5, v1
.LBB6_6023:                             ;   in Loop: Header=BB6_5548 Depth=3
	s_or_b32 exec_lo, exec_lo, s16
	v_cmp_gt_i16_sdwa s16, v39, v61 src0_sel:BYTE_1 src1_sel:DWORD
	s_mov_b32 s22, 0
	s_and_saveexec_b32 s23, s16
	s_xor_b32 s16, exec_lo, s23
	s_cbranch_execz .LBB6_7956
; %bb.6024:                             ;   in Loop: Header=BB6_5548 Depth=3
	v_cmp_eq_u16_sdwa s73, v39, v62 src0_sel:BYTE_1 src1_sel:DWORD
	s_mov_b32 s22, -1
	s_and_saveexec_b32 s23, s73
; %bb.6025:                             ;   in Loop: Header=BB6_5548 Depth=3
	s_xor_b32 s22, exec_lo, -1
; %bb.6026:                             ;   in Loop: Header=BB6_5548 Depth=3
	s_or_b32 exec_lo, exec_lo, s23
	s_and_b32 s22, s22, exec_lo
	s_or_saveexec_b32 s16, s16
	v_mov_b32_e32 v4, 0x7f800001
	s_xor_b32 exec_lo, exec_lo, s16
	s_cbranch_execnz .LBB6_7957
.LBB6_6027:                             ;   in Loop: Header=BB6_5548 Depth=3
	s_or_b32 exec_lo, exec_lo, s16
	s_and_saveexec_b32 s16, s22
	s_cbranch_execz .LBB6_6029
.LBB6_6028:                             ;   in Loop: Header=BB6_5548 Depth=3
	v_and_b32_sdwa v4, v63, v39 dst_sel:DWORD dst_unused:UNUSED_PAD src0_sel:DWORD src1_sel:BYTE_1
	v_and_b32_e32 v5, 7, v4
	v_bfe_u32 v30, v4, 3, 4
	v_ffbh_u32_e32 v28, v5
	v_cmp_eq_u32_e32 vcc_lo, 0, v30
	v_min_u32_e32 v28, 32, v28
	v_subrev_nc_u32_e32 v29, 28, v28
	v_sub_nc_u32_e32 v28, 29, v28
	v_lshlrev_b32_e32 v4, v29, v4
	v_lshlrev_b32_e32 v29, 16, v39
	v_cndmask_b32_e32 v28, v30, v28, vcc_lo
	v_and_b32_e32 v4, 7, v4
	v_lshl_add_u32 v28, v28, 23, 0x3b800000
	v_cndmask_b32_e32 v4, v5, v4, vcc_lo
	v_and_b32_e32 v5, 0x80000000, v29
	v_lshlrev_b32_e32 v4, 20, v4
	v_or3_b32 v4, v5, v28, v4
.LBB6_6029:                             ;   in Loop: Header=BB6_5548 Depth=3
	s_or_b32 exec_lo, exec_lo, s16
	v_max_f32_e32 v4, v4, v4
	v_max_f32_e32 v1, v1, v1
	s_mov_b32 s16, 0
	v_max_f32_e32 v1, v1, v4
.LBB6_6030:                             ;   in Loop: Header=BB6_5548 Depth=3
	s_and_b32 vcc_lo, exec_lo, s16
	s_cbranch_vccz .LBB6_6044
; %bb.6031:                             ;   in Loop: Header=BB6_5548 Depth=3
	v_cmp_gt_i16_sdwa s16, v51, v61 src0_sel:BYTE_1 src1_sel:DWORD
	s_mov_b32 s22, 0
	s_and_saveexec_b32 s23, s16
	s_xor_b32 s16, exec_lo, s23
	s_cbranch_execz .LBB6_7958
; %bb.6032:                             ;   in Loop: Header=BB6_5548 Depth=3
	v_cmp_eq_u16_sdwa s73, v51, v62 src0_sel:BYTE_1 src1_sel:DWORD
	s_mov_b32 s22, -1
	s_and_saveexec_b32 s23, s73
; %bb.6033:                             ;   in Loop: Header=BB6_5548 Depth=3
	s_xor_b32 s22, exec_lo, -1
; %bb.6034:                             ;   in Loop: Header=BB6_5548 Depth=3
	s_or_b32 exec_lo, exec_lo, s23
	s_and_b32 s22, s22, exec_lo
	s_or_saveexec_b32 s16, s16
	v_mov_b32_e32 v1, 0x7f800001
	s_xor_b32 exec_lo, exec_lo, s16
	s_cbranch_execnz .LBB6_7959
.LBB6_6035:                             ;   in Loop: Header=BB6_5548 Depth=3
	s_or_b32 exec_lo, exec_lo, s16
	s_and_saveexec_b32 s16, s22
	s_cbranch_execz .LBB6_6037
.LBB6_6036:                             ;   in Loop: Header=BB6_5548 Depth=3
	v_and_b32_sdwa v1, v63, v51 dst_sel:DWORD dst_unused:UNUSED_PAD src0_sel:DWORD src1_sel:BYTE_1
	v_and_b32_e32 v4, 7, v1
	v_bfe_u32 v29, v1, 3, 4
	v_ffbh_u32_e32 v5, v4
	v_cmp_eq_u32_e32 vcc_lo, 0, v29
	v_min_u32_e32 v5, 32, v5
	v_subrev_nc_u32_e32 v28, 28, v5
	v_sub_nc_u32_e32 v5, 29, v5
	v_lshlrev_b32_e32 v1, v28, v1
	v_lshlrev_b32_e32 v28, 16, v51
	v_cndmask_b32_e32 v5, v29, v5, vcc_lo
	v_and_b32_e32 v1, 7, v1
	v_lshl_add_u32 v5, v5, 23, 0x3b800000
	v_cndmask_b32_e32 v1, v4, v1, vcc_lo
	v_and_b32_e32 v4, 0x80000000, v28
	v_lshlrev_b32_e32 v1, 20, v1
	v_or3_b32 v1, v4, v5, v1
.LBB6_6037:                             ;   in Loop: Header=BB6_5548 Depth=3
	s_or_b32 exec_lo, exec_lo, s16
	v_cmp_gt_i16_sdwa s16, v39, v61 src0_sel:BYTE_1 src1_sel:DWORD
	s_mov_b32 s22, 0
	s_and_saveexec_b32 s23, s16
	s_xor_b32 s16, exec_lo, s23
	s_cbranch_execz .LBB6_7960
; %bb.6038:                             ;   in Loop: Header=BB6_5548 Depth=3
	v_cmp_eq_u16_sdwa s73, v39, v62 src0_sel:BYTE_1 src1_sel:DWORD
	s_mov_b32 s22, -1
	s_and_saveexec_b32 s23, s73
; %bb.6039:                             ;   in Loop: Header=BB6_5548 Depth=3
	s_xor_b32 s22, exec_lo, -1
; %bb.6040:                             ;   in Loop: Header=BB6_5548 Depth=3
	s_or_b32 exec_lo, exec_lo, s23
	s_and_b32 s22, s22, exec_lo
	s_or_saveexec_b32 s16, s16
	v_mov_b32_e32 v4, 0x7f800001
	s_xor_b32 exec_lo, exec_lo, s16
	s_cbranch_execnz .LBB6_7961
.LBB6_6041:                             ;   in Loop: Header=BB6_5548 Depth=3
	s_or_b32 exec_lo, exec_lo, s16
	s_and_saveexec_b32 s16, s22
	s_cbranch_execz .LBB6_6043
.LBB6_6042:                             ;   in Loop: Header=BB6_5548 Depth=3
	v_and_b32_sdwa v4, v63, v39 dst_sel:DWORD dst_unused:UNUSED_PAD src0_sel:DWORD src1_sel:BYTE_1
	v_and_b32_e32 v5, 7, v4
	v_bfe_u32 v30, v4, 3, 4
	v_ffbh_u32_e32 v28, v5
	v_cmp_eq_u32_e32 vcc_lo, 0, v30
	v_min_u32_e32 v28, 32, v28
	v_subrev_nc_u32_e32 v29, 28, v28
	v_sub_nc_u32_e32 v28, 29, v28
	v_lshlrev_b32_e32 v4, v29, v4
	v_lshlrev_b32_e32 v29, 16, v39
	v_cndmask_b32_e32 v28, v30, v28, vcc_lo
	v_and_b32_e32 v4, 7, v4
	v_lshl_add_u32 v28, v28, 23, 0x3b800000
	v_cndmask_b32_e32 v4, v5, v4, vcc_lo
	v_and_b32_e32 v5, 0x80000000, v29
	v_lshlrev_b32_e32 v4, 20, v4
	v_or3_b32 v4, v5, v28, v4
.LBB6_6043:                             ;   in Loop: Header=BB6_5548 Depth=3
	s_or_b32 exec_lo, exec_lo, s16
	v_max_f32_e32 v4, v4, v4
	v_max_f32_e32 v1, v1, v1
	v_min_f32_e32 v1, v1, v4
.LBB6_6044:                             ;   in Loop: Header=BB6_5548 Depth=3
	v_and_b32_e32 v4, 0x7f800000, v1
	v_mov_b32_e32 v52, 0x8000
	s_mov_b32 s22, exec_lo
	v_cmpx_ne_u32_e32 0x7f800000, v4
	s_cbranch_execz .LBB6_6052
; %bb.6045:                             ;   in Loop: Header=BB6_5548 Depth=3
	v_mov_b32_e32 v52, 0
	s_mov_b32 s23, exec_lo
	v_cmpx_ne_u32_e32 0, v1
	s_cbranch_execz .LBB6_6051
; %bb.6046:                             ;   in Loop: Header=BB6_5548 Depth=3
	v_bfe_u32 v5, v1, 23, 8
	v_and_b32_e32 v4, 0x7fffff, v1
	v_cmp_gt_u32_e64 s16, 0x79, v5
	v_sub_nc_u32_e32 v28, 0x78, v5
	v_cmp_eq_u32_e32 vcc_lo, 0, v5
	v_or_b32_e32 v29, 0x800000, v4
	v_cndmask_b32_e64 v28, 0, v28, s16
	v_cndmask_b32_e32 v4, v29, v4, vcc_lo
	v_cndmask_b32_e64 v28, v28, 0x77, vcc_lo
	v_lshl_add_u32 v29, 0x100000, v28, -1
	v_lshlrev_b32_e64 v30, v28, 0x80000
	v_and_b32_e32 v29, v29, v4
	v_cmp_eq_u32_e64 s16, v29, v30
	v_lshrrev_b32_e32 v29, v28, v4
	v_add_nc_u32_e32 v4, 0xffffff89, v5
	v_lshrrev_b32_e32 v5, 23, v29
	v_cndmask_b32_e64 v4, v4, 0xffffff8a, vcc_lo
	v_xor_b32_e32 v5, 1, v5
	v_add_nc_u32_e32 v4, v28, v4
	v_bfe_u32 v28, v29, 20, 1
	v_add_nc_u32_e32 v28, -1, v28
	v_cndmask_b32_e64 v28, 0, v28, s16
	s_mov_b32 s16, exec_lo
	v_add_nc_u32_e32 v28, v28, v29
	v_and_b32_e32 v28, 0xfffff, v28
	v_add_nc_u32_e32 v28, v28, v29
                                        ; implicit-def: $vgpr29
	v_cmpx_ne_u32_e64 v4, v5
	s_xor_b32 s16, exec_lo, s16
; %bb.6047:                             ;   in Loop: Header=BB6_5548 Depth=3
	v_cmp_lt_u32_e32 vcc_lo, 0xffffff, v28
	v_sub_nc_u32_e32 v4, v4, v5
	v_cndmask_b32_e64 v5, 0, 1, vcc_lo
	v_add_co_ci_u32_e64 v29, null, 0, v4, vcc_lo
	v_lshrrev_b32_e32 v28, v5, v28
; %bb.6048:                             ;   in Loop: Header=BB6_5548 Depth=3
	s_andn2_saveexec_b32 s16, s16
; %bb.6049:                             ;   in Loop: Header=BB6_5548 Depth=3
	v_bfe_u32 v29, v28, 23, 1
; %bb.6050:                             ;   in Loop: Header=BB6_5548 Depth=3
	s_or_b32 exec_lo, exec_lo, s16
	v_lshrrev_b32_e32 v4, 20, v28
	v_min_i32_e32 v5, 15, v29
	v_cmp_gt_i32_e32 vcc_lo, 16, v29
	v_and_b32_sdwa v1, v1, v62 dst_sel:DWORD dst_unused:UNUSED_PAD src0_sel:BYTE_3 src1_sel:DWORD
	v_lshlrev_b32_e32 v5, 3, v5
	v_cndmask_b32_e32 v4, 7, v4, vcc_lo
	v_and_b32_e32 v5, 0xf8, v5
	v_or_b32_e32 v28, v29, v4
	v_and_b32_e32 v4, 7, v4
	v_cmp_ne_u32_e32 vcc_lo, 0, v28
	v_or3_b32 v1, v1, v5, v4
	v_lshlrev_b32_e32 v1, 8, v1
	v_cndmask_b32_e32 v52, 0, v1, vcc_lo
.LBB6_6051:                             ;   in Loop: Header=BB6_5548 Depth=3
	s_or_b32 exec_lo, exec_lo, s23
.LBB6_6052:                             ;   in Loop: Header=BB6_5548 Depth=3
	s_or_b32 exec_lo, exec_lo, s22
	v_and_b32_sdwa v1, v51, v72 dst_sel:DWORD dst_unused:UNUSED_PAD src0_sel:WORD_1 src1_sel:DWORD
	s_mov_b32 s22, -1
	s_and_b32 vcc_lo, exec_lo, s19
                                        ; implicit-def: $vgpr4
	v_cmp_lt_i16_e64 s16, 0x7f, v1
	s_cbranch_vccz .LBB6_6066
; %bb.6053:                             ;   in Loop: Header=BB6_5548 Depth=3
	s_mov_b32 s22, 0
	s_and_saveexec_b32 s23, s16
	s_xor_b32 s16, exec_lo, s23
	s_cbranch_execz .LBB6_7962
; %bb.6054:                             ;   in Loop: Header=BB6_5548 Depth=3
	s_mov_b32 s22, -1
	s_mov_b32 s23, exec_lo
	v_cmpx_eq_u16_e32 0x80, v1
; %bb.6055:                             ;   in Loop: Header=BB6_5548 Depth=3
	s_xor_b32 s22, exec_lo, -1
; %bb.6056:                             ;   in Loop: Header=BB6_5548 Depth=3
	s_or_b32 exec_lo, exec_lo, s23
	s_and_b32 s22, s22, exec_lo
	s_or_saveexec_b32 s16, s16
	v_mov_b32_e32 v4, 0x7f800001
	s_xor_b32 exec_lo, exec_lo, s16
	s_cbranch_execnz .LBB6_7963
.LBB6_6057:                             ;   in Loop: Header=BB6_5548 Depth=3
	s_or_b32 exec_lo, exec_lo, s16
	s_and_saveexec_b32 s16, s22
	s_cbranch_execz .LBB6_6059
.LBB6_6058:                             ;   in Loop: Header=BB6_5548 Depth=3
	v_bfe_u32 v4, v51, 16, 3
	v_bfe_u32 v5, v51, 19, 4
	v_ffbh_u32_e32 v28, v4
	v_cmp_eq_u32_e32 vcc_lo, 0, v5
	v_min_u32_e32 v28, 32, v28
	v_subrev_nc_u32_e32 v29, 28, v28
	v_sub_nc_u32_e32 v28, 29, v28
	v_lshlrev_b32_sdwa v29, v29, v51 dst_sel:DWORD dst_unused:UNUSED_PAD src0_sel:DWORD src1_sel:WORD_1
	v_cndmask_b32_e32 v5, v5, v28, vcc_lo
	v_lshlrev_b32_sdwa v28, v73, v51 dst_sel:DWORD dst_unused:UNUSED_PAD src0_sel:DWORD src1_sel:WORD_1
	v_and_b32_e32 v29, 7, v29
	v_lshl_add_u32 v5, v5, 23, 0x3b800000
	v_and_b32_e32 v28, 0x80000000, v28
	v_cndmask_b32_e32 v4, v4, v29, vcc_lo
	v_lshlrev_b32_e32 v4, 20, v4
	v_or3_b32 v4, v28, v5, v4
.LBB6_6059:                             ;   in Loop: Header=BB6_5548 Depth=3
	s_or_b32 exec_lo, exec_lo, s16
	v_and_b32_sdwa v28, v39, v72 dst_sel:DWORD dst_unused:UNUSED_PAD src0_sel:WORD_1 src1_sel:DWORD
	s_mov_b32 s22, 0
	s_mov_b32 s16, exec_lo
	v_cmpx_lt_i16_e32 0x7f, v28
	s_xor_b32 s16, exec_lo, s16
	s_cbranch_execz .LBB6_7964
; %bb.6060:                             ;   in Loop: Header=BB6_5548 Depth=3
	s_mov_b32 s22, -1
	s_mov_b32 s23, exec_lo
	v_cmpx_eq_u16_e32 0x80, v28
; %bb.6061:                             ;   in Loop: Header=BB6_5548 Depth=3
	s_xor_b32 s22, exec_lo, -1
; %bb.6062:                             ;   in Loop: Header=BB6_5548 Depth=3
	s_or_b32 exec_lo, exec_lo, s23
	s_and_b32 s22, s22, exec_lo
                                        ; implicit-def: $vgpr28
	s_or_saveexec_b32 s16, s16
	v_mov_b32_e32 v5, 0x7f800001
	s_xor_b32 exec_lo, exec_lo, s16
	s_cbranch_execnz .LBB6_7965
.LBB6_6063:                             ;   in Loop: Header=BB6_5548 Depth=3
	s_or_b32 exec_lo, exec_lo, s16
	s_and_saveexec_b32 s16, s22
	s_cbranch_execz .LBB6_6065
.LBB6_6064:                             ;   in Loop: Header=BB6_5548 Depth=3
	v_bfe_u32 v5, v39, 16, 3
	v_bfe_u32 v28, v39, 19, 4
	v_ffbh_u32_e32 v29, v5
	v_cmp_eq_u32_e32 vcc_lo, 0, v28
	v_min_u32_e32 v29, 32, v29
	v_subrev_nc_u32_e32 v30, 28, v29
	v_sub_nc_u32_e32 v29, 29, v29
	v_lshlrev_b32_sdwa v30, v30, v39 dst_sel:DWORD dst_unused:UNUSED_PAD src0_sel:DWORD src1_sel:WORD_1
	v_cndmask_b32_e32 v28, v28, v29, vcc_lo
	v_lshlrev_b32_sdwa v29, v73, v39 dst_sel:DWORD dst_unused:UNUSED_PAD src0_sel:DWORD src1_sel:WORD_1
	v_and_b32_e32 v30, 7, v30
	v_lshl_add_u32 v28, v28, 23, 0x3b800000
	v_and_b32_e32 v29, 0x80000000, v29
	v_cndmask_b32_e32 v5, v5, v30, vcc_lo
	v_lshlrev_b32_e32 v5, 20, v5
	v_or3_b32 v5, v29, v28, v5
.LBB6_6065:                             ;   in Loop: Header=BB6_5548 Depth=3
	s_or_b32 exec_lo, exec_lo, s16
	v_max_f32_e32 v5, v5, v5
	v_max_f32_e32 v4, v4, v4
	s_mov_b32 s22, 0
	v_max_f32_e32 v4, v4, v5
.LBB6_6066:                             ;   in Loop: Header=BB6_5548 Depth=3
	s_and_b32 vcc_lo, exec_lo, s22
	s_cbranch_vccz .LBB6_6080
; %bb.6067:                             ;   in Loop: Header=BB6_5548 Depth=3
	s_mov_b32 s22, 0
	s_mov_b32 s16, exec_lo
	v_cmpx_lt_i16_e32 0x7f, v1
	s_xor_b32 s16, exec_lo, s16
	s_cbranch_execz .LBB6_7966
; %bb.6068:                             ;   in Loop: Header=BB6_5548 Depth=3
	s_mov_b32 s22, -1
	s_mov_b32 s23, exec_lo
	v_cmpx_eq_u16_e32 0x80, v1
; %bb.6069:                             ;   in Loop: Header=BB6_5548 Depth=3
	s_xor_b32 s22, exec_lo, -1
; %bb.6070:                             ;   in Loop: Header=BB6_5548 Depth=3
	s_or_b32 exec_lo, exec_lo, s23
	s_and_b32 s22, s22, exec_lo
                                        ; implicit-def: $vgpr1
	s_or_saveexec_b32 s16, s16
	v_mov_b32_e32 v4, 0x7f800001
	s_xor_b32 exec_lo, exec_lo, s16
	s_cbranch_execnz .LBB6_7967
.LBB6_6071:                             ;   in Loop: Header=BB6_5548 Depth=3
	s_or_b32 exec_lo, exec_lo, s16
	s_and_saveexec_b32 s16, s22
	s_cbranch_execz .LBB6_6073
.LBB6_6072:                             ;   in Loop: Header=BB6_5548 Depth=3
	v_bfe_u32 v1, v51, 16, 3
	v_bfe_u32 v4, v51, 19, 4
	v_ffbh_u32_e32 v5, v1
	v_cmp_eq_u32_e32 vcc_lo, 0, v4
	v_min_u32_e32 v5, 32, v5
	v_subrev_nc_u32_e32 v28, 28, v5
	v_sub_nc_u32_e32 v5, 29, v5
	v_lshlrev_b32_sdwa v28, v28, v51 dst_sel:DWORD dst_unused:UNUSED_PAD src0_sel:DWORD src1_sel:WORD_1
	v_cndmask_b32_e32 v4, v4, v5, vcc_lo
	v_lshlrev_b32_sdwa v5, v73, v51 dst_sel:DWORD dst_unused:UNUSED_PAD src0_sel:DWORD src1_sel:WORD_1
	v_and_b32_e32 v28, 7, v28
	v_lshl_add_u32 v4, v4, 23, 0x3b800000
	v_and_b32_e32 v5, 0x80000000, v5
	v_cndmask_b32_e32 v1, v1, v28, vcc_lo
	v_lshlrev_b32_e32 v1, 20, v1
	v_or3_b32 v4, v5, v4, v1
.LBB6_6073:                             ;   in Loop: Header=BB6_5548 Depth=3
	s_or_b32 exec_lo, exec_lo, s16
	v_and_b32_sdwa v5, v39, v72 dst_sel:DWORD dst_unused:UNUSED_PAD src0_sel:WORD_1 src1_sel:DWORD
	s_mov_b32 s22, 0
	s_mov_b32 s16, exec_lo
	v_cmpx_lt_i16_e32 0x7f, v5
	s_xor_b32 s16, exec_lo, s16
	s_cbranch_execz .LBB6_7968
; %bb.6074:                             ;   in Loop: Header=BB6_5548 Depth=3
	s_mov_b32 s22, -1
	s_mov_b32 s23, exec_lo
	v_cmpx_eq_u16_e32 0x80, v5
; %bb.6075:                             ;   in Loop: Header=BB6_5548 Depth=3
	s_xor_b32 s22, exec_lo, -1
; %bb.6076:                             ;   in Loop: Header=BB6_5548 Depth=3
	s_or_b32 exec_lo, exec_lo, s23
	s_and_b32 s22, s22, exec_lo
                                        ; implicit-def: $vgpr5
	s_or_saveexec_b32 s16, s16
	v_mov_b32_e32 v1, 0x7f800001
	s_xor_b32 exec_lo, exec_lo, s16
	s_cbranch_execnz .LBB6_7969
.LBB6_6077:                             ;   in Loop: Header=BB6_5548 Depth=3
	s_or_b32 exec_lo, exec_lo, s16
	s_and_saveexec_b32 s16, s22
	s_cbranch_execz .LBB6_6079
.LBB6_6078:                             ;   in Loop: Header=BB6_5548 Depth=3
	v_bfe_u32 v1, v39, 16, 3
	v_bfe_u32 v5, v39, 19, 4
	v_ffbh_u32_e32 v28, v1
	v_cmp_eq_u32_e32 vcc_lo, 0, v5
	v_min_u32_e32 v28, 32, v28
	v_subrev_nc_u32_e32 v29, 28, v28
	v_sub_nc_u32_e32 v28, 29, v28
	v_lshlrev_b32_sdwa v29, v29, v39 dst_sel:DWORD dst_unused:UNUSED_PAD src0_sel:DWORD src1_sel:WORD_1
	v_cndmask_b32_e32 v5, v5, v28, vcc_lo
	v_lshlrev_b32_sdwa v28, v73, v39 dst_sel:DWORD dst_unused:UNUSED_PAD src0_sel:DWORD src1_sel:WORD_1
	v_and_b32_e32 v29, 7, v29
	v_lshl_add_u32 v5, v5, 23, 0x3b800000
	v_and_b32_e32 v28, 0x80000000, v28
	v_cndmask_b32_e32 v1, v1, v29, vcc_lo
	v_lshlrev_b32_e32 v1, 20, v1
	v_or3_b32 v1, v28, v5, v1
.LBB6_6079:                             ;   in Loop: Header=BB6_5548 Depth=3
	s_or_b32 exec_lo, exec_lo, s16
	v_max_f32_e32 v1, v1, v1
	v_max_f32_e32 v4, v4, v4
	v_min_f32_e32 v4, v4, v1
.LBB6_6080:                             ;   in Loop: Header=BB6_5548 Depth=3
	v_and_b32_e32 v1, 0x7f800000, v4
	v_mov_b32_e32 v53, 0x80
	s_mov_b32 s22, exec_lo
	v_cmpx_ne_u32_e32 0x7f800000, v1
	s_cbranch_execz .LBB6_6088
; %bb.6081:                             ;   in Loop: Header=BB6_5548 Depth=3
	v_mov_b32_e32 v53, 0
	s_mov_b32 s23, exec_lo
	v_cmpx_ne_u32_e32 0, v4
	s_cbranch_execz .LBB6_6087
; %bb.6082:                             ;   in Loop: Header=BB6_5548 Depth=3
	v_bfe_u32 v5, v4, 23, 8
	v_and_b32_e32 v1, 0x7fffff, v4
	v_cmp_gt_u32_e64 s16, 0x79, v5
	v_sub_nc_u32_e32 v28, 0x78, v5
	v_cmp_eq_u32_e32 vcc_lo, 0, v5
	v_or_b32_e32 v29, 0x800000, v1
	v_cndmask_b32_e64 v28, 0, v28, s16
	v_cndmask_b32_e32 v1, v29, v1, vcc_lo
	v_cndmask_b32_e64 v28, v28, 0x77, vcc_lo
	v_lshl_add_u32 v29, 0x100000, v28, -1
	v_lshlrev_b32_e64 v30, v28, 0x80000
	v_and_b32_e32 v29, v29, v1
	v_cmp_eq_u32_e64 s16, v29, v30
	v_lshrrev_b32_e32 v29, v28, v1
	v_add_nc_u32_e32 v1, 0xffffff89, v5
	v_lshrrev_b32_e32 v5, 23, v29
	v_cndmask_b32_e64 v1, v1, 0xffffff8a, vcc_lo
	v_xor_b32_e32 v5, 1, v5
	v_add_nc_u32_e32 v1, v28, v1
	v_bfe_u32 v28, v29, 20, 1
	v_add_nc_u32_e32 v28, -1, v28
	v_cndmask_b32_e64 v28, 0, v28, s16
	s_mov_b32 s16, exec_lo
	v_add_nc_u32_e32 v28, v28, v29
	v_and_b32_e32 v28, 0xfffff, v28
	v_add_nc_u32_e32 v28, v28, v29
                                        ; implicit-def: $vgpr29
	v_cmpx_ne_u32_e64 v1, v5
	s_xor_b32 s16, exec_lo, s16
; %bb.6083:                             ;   in Loop: Header=BB6_5548 Depth=3
	v_cmp_lt_u32_e32 vcc_lo, 0xffffff, v28
	v_sub_nc_u32_e32 v1, v1, v5
	v_cndmask_b32_e64 v5, 0, 1, vcc_lo
	v_add_co_ci_u32_e64 v29, null, 0, v1, vcc_lo
	v_lshrrev_b32_e32 v28, v5, v28
; %bb.6084:                             ;   in Loop: Header=BB6_5548 Depth=3
	s_andn2_saveexec_b32 s16, s16
; %bb.6085:                             ;   in Loop: Header=BB6_5548 Depth=3
	v_bfe_u32 v29, v28, 23, 1
; %bb.6086:                             ;   in Loop: Header=BB6_5548 Depth=3
	s_or_b32 exec_lo, exec_lo, s16
	v_and_b32_sdwa v1, v4, v62 dst_sel:DWORD dst_unused:UNUSED_PAD src0_sel:BYTE_3 src1_sel:DWORD
	v_lshrrev_b32_e32 v4, 20, v28
	v_min_i32_e32 v5, 15, v29
	v_cmp_gt_i32_e32 vcc_lo, 16, v29
	v_lshlrev_b32_e32 v5, 3, v5
	v_cndmask_b32_e32 v4, 7, v4, vcc_lo
	v_and_b32_e32 v5, 0xf8, v5
	v_or_b32_e32 v28, v29, v4
	v_and_b32_e32 v4, 7, v4
	v_cmp_ne_u32_e32 vcc_lo, 0, v28
	v_or3_b32 v1, v5, v1, v4
	v_cndmask_b32_e32 v53, 0, v1, vcc_lo
.LBB6_6087:                             ;   in Loop: Header=BB6_5548 Depth=3
	s_or_b32 exec_lo, exec_lo, s23
.LBB6_6088:                             ;   in Loop: Header=BB6_5548 Depth=3
	s_or_b32 exec_lo, exec_lo, s22
	v_cmp_gt_i16_sdwa s23, v51, v61 src0_sel:BYTE_3 src1_sel:DWORD
	s_mov_b32 s16, -1
	s_and_b32 vcc_lo, exec_lo, s19
                                        ; implicit-def: $vgpr1
	s_cbranch_vccz .LBB6_6102
; %bb.6089:                             ;   in Loop: Header=BB6_5548 Depth=3
	s_mov_b32 s22, 0
	s_and_saveexec_b32 s16, s23
	s_xor_b32 s16, exec_lo, s16
	s_cbranch_execz .LBB6_7970
; %bb.6090:                             ;   in Loop: Header=BB6_5548 Depth=3
	v_cmp_eq_u16_sdwa s73, v51, v62 src0_sel:BYTE_3 src1_sel:DWORD
	s_mov_b32 s22, -1
	s_and_saveexec_b32 s23, s73
; %bb.6091:                             ;   in Loop: Header=BB6_5548 Depth=3
	s_xor_b32 s22, exec_lo, -1
; %bb.6092:                             ;   in Loop: Header=BB6_5548 Depth=3
	s_or_b32 exec_lo, exec_lo, s23
	s_and_b32 s22, s22, exec_lo
	s_or_saveexec_b32 s16, s16
	v_mov_b32_e32 v1, 0x7f800001
	s_xor_b32 exec_lo, exec_lo, s16
	s_cbranch_execnz .LBB6_7971
.LBB6_6093:                             ;   in Loop: Header=BB6_5548 Depth=3
	s_or_b32 exec_lo, exec_lo, s16
	s_and_saveexec_b32 s16, s22
	s_cbranch_execz .LBB6_6095
.LBB6_6094:                             ;   in Loop: Header=BB6_5548 Depth=3
	v_bfe_u32 v1, v51, 24, 3
	v_bfe_u32 v28, v51, 27, 4
	v_ffbh_u32_e32 v4, v1
	v_cmp_eq_u32_e32 vcc_lo, 0, v28
	v_min_u32_e32 v4, 32, v4
	v_subrev_nc_u32_e32 v5, 28, v4
	v_sub_nc_u32_e32 v4, 29, v4
	v_lshlrev_b32_sdwa v5, v5, v51 dst_sel:DWORD dst_unused:UNUSED_PAD src0_sel:DWORD src1_sel:BYTE_3
	v_cndmask_b32_e32 v4, v28, v4, vcc_lo
	v_and_b32_e32 v5, 7, v5
	v_lshl_add_u32 v4, v4, 23, 0x3b800000
	v_cndmask_b32_e32 v1, v1, v5, vcc_lo
	v_and_b32_e32 v5, 0x80000000, v51
	v_lshlrev_b32_e32 v1, 20, v1
	v_or3_b32 v1, v5, v4, v1
.LBB6_6095:                             ;   in Loop: Header=BB6_5548 Depth=3
	s_or_b32 exec_lo, exec_lo, s16
	v_cmp_gt_i16_sdwa s16, v39, v61 src0_sel:BYTE_3 src1_sel:DWORD
	s_mov_b32 s22, 0
	s_and_saveexec_b32 s23, s16
	s_xor_b32 s16, exec_lo, s23
	s_cbranch_execz .LBB6_7972
; %bb.6096:                             ;   in Loop: Header=BB6_5548 Depth=3
	v_cmp_eq_u16_sdwa s73, v39, v62 src0_sel:BYTE_3 src1_sel:DWORD
	s_mov_b32 s22, -1
	s_and_saveexec_b32 s23, s73
; %bb.6097:                             ;   in Loop: Header=BB6_5548 Depth=3
	s_xor_b32 s22, exec_lo, -1
; %bb.6098:                             ;   in Loop: Header=BB6_5548 Depth=3
	s_or_b32 exec_lo, exec_lo, s23
	s_and_b32 s22, s22, exec_lo
	s_or_saveexec_b32 s16, s16
	v_mov_b32_e32 v4, 0x7f800001
	s_xor_b32 exec_lo, exec_lo, s16
	s_cbranch_execnz .LBB6_7973
.LBB6_6099:                             ;   in Loop: Header=BB6_5548 Depth=3
	s_or_b32 exec_lo, exec_lo, s16
	s_and_saveexec_b32 s16, s22
	s_cbranch_execz .LBB6_6101
.LBB6_6100:                             ;   in Loop: Header=BB6_5548 Depth=3
	v_bfe_u32 v4, v39, 24, 3
	v_bfe_u32 v29, v39, 27, 4
	v_ffbh_u32_e32 v5, v4
	v_cmp_eq_u32_e32 vcc_lo, 0, v29
	v_min_u32_e32 v5, 32, v5
	v_subrev_nc_u32_e32 v28, 28, v5
	v_sub_nc_u32_e32 v5, 29, v5
	v_lshlrev_b32_sdwa v28, v28, v39 dst_sel:DWORD dst_unused:UNUSED_PAD src0_sel:DWORD src1_sel:BYTE_3
	v_cndmask_b32_e32 v5, v29, v5, vcc_lo
	v_and_b32_e32 v28, 7, v28
	v_lshl_add_u32 v5, v5, 23, 0x3b800000
	v_cndmask_b32_e32 v4, v4, v28, vcc_lo
	v_and_b32_e32 v28, 0x80000000, v39
	v_lshlrev_b32_e32 v4, 20, v4
	v_or3_b32 v4, v28, v5, v4
.LBB6_6101:                             ;   in Loop: Header=BB6_5548 Depth=3
	s_or_b32 exec_lo, exec_lo, s16
	v_max_f32_e32 v4, v4, v4
	v_max_f32_e32 v1, v1, v1
	s_mov_b32 s16, 0
	v_max_f32_e32 v1, v1, v4
.LBB6_6102:                             ;   in Loop: Header=BB6_5548 Depth=3
	s_and_b32 vcc_lo, exec_lo, s16
	s_cbranch_vccz .LBB6_6116
; %bb.6103:                             ;   in Loop: Header=BB6_5548 Depth=3
	v_cmp_gt_i16_sdwa s16, v51, v61 src0_sel:BYTE_3 src1_sel:DWORD
	s_mov_b32 s22, 0
	s_and_saveexec_b32 s23, s16
	s_xor_b32 s16, exec_lo, s23
	s_cbranch_execz .LBB6_7974
; %bb.6104:                             ;   in Loop: Header=BB6_5548 Depth=3
	v_cmp_eq_u16_sdwa s73, v51, v62 src0_sel:BYTE_3 src1_sel:DWORD
	s_mov_b32 s22, -1
	s_and_saveexec_b32 s23, s73
; %bb.6105:                             ;   in Loop: Header=BB6_5548 Depth=3
	s_xor_b32 s22, exec_lo, -1
; %bb.6106:                             ;   in Loop: Header=BB6_5548 Depth=3
	s_or_b32 exec_lo, exec_lo, s23
	s_and_b32 s22, s22, exec_lo
	s_or_saveexec_b32 s16, s16
	v_mov_b32_e32 v1, 0x7f800001
	s_xor_b32 exec_lo, exec_lo, s16
	s_cbranch_execnz .LBB6_7975
.LBB6_6107:                             ;   in Loop: Header=BB6_5548 Depth=3
	s_or_b32 exec_lo, exec_lo, s16
	s_and_saveexec_b32 s16, s22
	s_cbranch_execz .LBB6_6109
.LBB6_6108:                             ;   in Loop: Header=BB6_5548 Depth=3
	v_bfe_u32 v1, v51, 24, 3
	v_bfe_u32 v28, v51, 27, 4
	v_ffbh_u32_e32 v4, v1
	v_cmp_eq_u32_e32 vcc_lo, 0, v28
	v_min_u32_e32 v4, 32, v4
	v_subrev_nc_u32_e32 v5, 28, v4
	v_sub_nc_u32_e32 v4, 29, v4
	v_lshlrev_b32_sdwa v5, v5, v51 dst_sel:DWORD dst_unused:UNUSED_PAD src0_sel:DWORD src1_sel:BYTE_3
	v_cndmask_b32_e32 v4, v28, v4, vcc_lo
	v_and_b32_e32 v5, 7, v5
	v_lshl_add_u32 v4, v4, 23, 0x3b800000
	v_cndmask_b32_e32 v1, v1, v5, vcc_lo
	v_and_b32_e32 v5, 0x80000000, v51
	v_lshlrev_b32_e32 v1, 20, v1
	v_or3_b32 v1, v5, v4, v1
.LBB6_6109:                             ;   in Loop: Header=BB6_5548 Depth=3
	s_or_b32 exec_lo, exec_lo, s16
	v_cmp_gt_i16_sdwa s16, v39, v61 src0_sel:BYTE_3 src1_sel:DWORD
	s_mov_b32 s22, 0
	s_and_saveexec_b32 s23, s16
	s_xor_b32 s16, exec_lo, s23
	s_cbranch_execz .LBB6_7976
; %bb.6110:                             ;   in Loop: Header=BB6_5548 Depth=3
	v_cmp_eq_u16_sdwa s73, v39, v62 src0_sel:BYTE_3 src1_sel:DWORD
	s_mov_b32 s22, -1
	s_and_saveexec_b32 s23, s73
; %bb.6111:                             ;   in Loop: Header=BB6_5548 Depth=3
	s_xor_b32 s22, exec_lo, -1
; %bb.6112:                             ;   in Loop: Header=BB6_5548 Depth=3
	s_or_b32 exec_lo, exec_lo, s23
	s_and_b32 s22, s22, exec_lo
	s_or_saveexec_b32 s16, s16
	v_mov_b32_e32 v4, 0x7f800001
	s_xor_b32 exec_lo, exec_lo, s16
	s_cbranch_execnz .LBB6_7977
.LBB6_6113:                             ;   in Loop: Header=BB6_5548 Depth=3
	s_or_b32 exec_lo, exec_lo, s16
	s_and_saveexec_b32 s16, s22
	s_cbranch_execz .LBB6_6115
.LBB6_6114:                             ;   in Loop: Header=BB6_5548 Depth=3
	v_bfe_u32 v4, v39, 24, 3
	v_bfe_u32 v29, v39, 27, 4
	v_ffbh_u32_e32 v5, v4
	v_cmp_eq_u32_e32 vcc_lo, 0, v29
	v_min_u32_e32 v5, 32, v5
	v_subrev_nc_u32_e32 v28, 28, v5
	v_sub_nc_u32_e32 v5, 29, v5
	v_lshlrev_b32_sdwa v28, v28, v39 dst_sel:DWORD dst_unused:UNUSED_PAD src0_sel:DWORD src1_sel:BYTE_3
	v_cndmask_b32_e32 v5, v29, v5, vcc_lo
	v_and_b32_e32 v28, 7, v28
	v_lshl_add_u32 v5, v5, 23, 0x3b800000
	v_cndmask_b32_e32 v4, v4, v28, vcc_lo
	v_and_b32_e32 v28, 0x80000000, v39
	v_lshlrev_b32_e32 v4, 20, v4
	v_or3_b32 v4, v28, v5, v4
.LBB6_6115:                             ;   in Loop: Header=BB6_5548 Depth=3
	s_or_b32 exec_lo, exec_lo, s16
	v_max_f32_e32 v4, v4, v4
	v_max_f32_e32 v1, v1, v1
	v_min_f32_e32 v1, v1, v4
.LBB6_6116:                             ;   in Loop: Header=BB6_5548 Depth=3
	v_and_b32_e32 v4, 0x7f800000, v1
	v_mov_b32_e32 v39, 0x8000
	s_mov_b32 s22, exec_lo
	v_cmpx_ne_u32_e32 0x7f800000, v4
	s_cbranch_execz .LBB6_6124
; %bb.6117:                             ;   in Loop: Header=BB6_5548 Depth=3
	v_mov_b32_e32 v39, 0
	s_mov_b32 s23, exec_lo
	v_cmpx_ne_u32_e32 0, v1
	s_cbranch_execz .LBB6_6123
; %bb.6118:                             ;   in Loop: Header=BB6_5548 Depth=3
	v_bfe_u32 v5, v1, 23, 8
	v_and_b32_e32 v4, 0x7fffff, v1
	v_cmp_gt_u32_e64 s16, 0x79, v5
	v_sub_nc_u32_e32 v28, 0x78, v5
	v_cmp_eq_u32_e32 vcc_lo, 0, v5
	v_or_b32_e32 v29, 0x800000, v4
	v_cndmask_b32_e64 v28, 0, v28, s16
	v_cndmask_b32_e32 v4, v29, v4, vcc_lo
	v_cndmask_b32_e64 v28, v28, 0x77, vcc_lo
	v_lshl_add_u32 v29, 0x100000, v28, -1
	v_lshlrev_b32_e64 v30, v28, 0x80000
	v_and_b32_e32 v29, v29, v4
	v_cmp_eq_u32_e64 s16, v29, v30
	v_lshrrev_b32_e32 v29, v28, v4
	v_add_nc_u32_e32 v4, 0xffffff89, v5
	v_lshrrev_b32_e32 v5, 23, v29
	v_cndmask_b32_e64 v4, v4, 0xffffff8a, vcc_lo
	v_xor_b32_e32 v5, 1, v5
	v_add_nc_u32_e32 v4, v28, v4
	v_bfe_u32 v28, v29, 20, 1
	v_add_nc_u32_e32 v28, -1, v28
	v_cndmask_b32_e64 v28, 0, v28, s16
	s_mov_b32 s16, exec_lo
	v_add_nc_u32_e32 v28, v28, v29
	v_and_b32_e32 v28, 0xfffff, v28
	v_add_nc_u32_e32 v28, v28, v29
                                        ; implicit-def: $vgpr29
	v_cmpx_ne_u32_e64 v4, v5
	s_xor_b32 s16, exec_lo, s16
; %bb.6119:                             ;   in Loop: Header=BB6_5548 Depth=3
	v_cmp_lt_u32_e32 vcc_lo, 0xffffff, v28
	v_sub_nc_u32_e32 v4, v4, v5
	v_cndmask_b32_e64 v5, 0, 1, vcc_lo
	v_add_co_ci_u32_e64 v29, null, 0, v4, vcc_lo
	v_lshrrev_b32_e32 v28, v5, v28
; %bb.6120:                             ;   in Loop: Header=BB6_5548 Depth=3
	s_andn2_saveexec_b32 s16, s16
; %bb.6121:                             ;   in Loop: Header=BB6_5548 Depth=3
	v_bfe_u32 v29, v28, 23, 1
; %bb.6122:                             ;   in Loop: Header=BB6_5548 Depth=3
	s_or_b32 exec_lo, exec_lo, s16
	v_lshrrev_b32_e32 v4, 20, v28
	v_min_i32_e32 v5, 15, v29
	v_cmp_gt_i32_e32 vcc_lo, 16, v29
	v_and_b32_sdwa v1, v1, v62 dst_sel:DWORD dst_unused:UNUSED_PAD src0_sel:BYTE_3 src1_sel:DWORD
	v_lshlrev_b32_e32 v5, 3, v5
	v_cndmask_b32_e32 v4, 7, v4, vcc_lo
	v_and_b32_e32 v5, 0xf8, v5
	v_or_b32_e32 v28, v29, v4
	v_and_b32_e32 v4, 7, v4
	v_cmp_ne_u32_e32 vcc_lo, 0, v28
	v_or3_b32 v1, v1, v5, v4
	v_lshlrev_b32_e32 v1, 8, v1
	v_cndmask_b32_e32 v39, 0, v1, vcc_lo
.LBB6_6123:                             ;   in Loop: Header=BB6_5548 Depth=3
	s_or_b32 exec_lo, exec_lo, s23
.LBB6_6124:                             ;   in Loop: Header=BB6_5548 Depth=3
	s_or_b32 exec_lo, exec_lo, s22
	v_cmp_gt_i16_sdwa s23, v32, v61 src0_sel:BYTE_0 src1_sel:DWORD
	s_andn2_b32 vcc_lo, exec_lo, s19
	s_mov_b32 s16, -1
                                        ; implicit-def: $vgpr1
	s_cbranch_vccnz .LBB6_6138
; %bb.6125:                             ;   in Loop: Header=BB6_5548 Depth=3
	s_mov_b32 s22, 0
	s_and_saveexec_b32 s16, s23
	s_xor_b32 s16, exec_lo, s16
	s_cbranch_execz .LBB6_7978
; %bb.6126:                             ;   in Loop: Header=BB6_5548 Depth=3
	v_cmp_eq_u16_sdwa s73, v32, v62 src0_sel:BYTE_0 src1_sel:DWORD
	s_mov_b32 s22, -1
	s_and_saveexec_b32 s23, s73
; %bb.6127:                             ;   in Loop: Header=BB6_5548 Depth=3
	s_xor_b32 s22, exec_lo, -1
; %bb.6128:                             ;   in Loop: Header=BB6_5548 Depth=3
	s_or_b32 exec_lo, exec_lo, s23
	s_and_b32 s22, s22, exec_lo
	s_or_saveexec_b32 s16, s16
	v_mov_b32_e32 v1, 0x7f800001
	s_xor_b32 exec_lo, exec_lo, s16
	s_cbranch_execnz .LBB6_7979
.LBB6_6129:                             ;   in Loop: Header=BB6_5548 Depth=3
	s_or_b32 exec_lo, exec_lo, s16
	s_and_saveexec_b32 s16, s22
	s_cbranch_execz .LBB6_6131
.LBB6_6130:                             ;   in Loop: Header=BB6_5548 Depth=3
	v_and_b32_e32 v1, 7, v32
	v_bfe_u32 v4, v32, 3, 4
	v_ffbh_u32_e32 v5, v1
	v_cmp_eq_u32_e32 vcc_lo, 0, v4
	v_min_u32_e32 v5, 32, v5
	v_subrev_nc_u32_e32 v28, 28, v5
	v_sub_nc_u32_e32 v5, 29, v5
	v_lshlrev_b32_e32 v28, v28, v32
	v_cndmask_b32_e32 v4, v4, v5, vcc_lo
	v_lshlrev_b32_e32 v5, 24, v32
	v_and_b32_e32 v28, 7, v28
	v_lshl_add_u32 v4, v4, 23, 0x3b800000
	v_and_b32_e32 v5, 0x80000000, v5
	v_cndmask_b32_e32 v1, v1, v28, vcc_lo
	v_lshlrev_b32_e32 v1, 20, v1
	v_or3_b32 v1, v5, v4, v1
.LBB6_6131:                             ;   in Loop: Header=BB6_5548 Depth=3
	s_or_b32 exec_lo, exec_lo, s16
	s_waitcnt vmcnt(2)
	v_cmp_gt_i16_sdwa s16, v24, v61 src0_sel:BYTE_0 src1_sel:DWORD
	s_mov_b32 s22, 0
	s_and_saveexec_b32 s23, s16
	s_xor_b32 s16, exec_lo, s23
	s_cbranch_execz .LBB6_7980
; %bb.6132:                             ;   in Loop: Header=BB6_5548 Depth=3
	v_cmp_eq_u16_sdwa s73, v24, v62 src0_sel:BYTE_0 src1_sel:DWORD
	s_mov_b32 s22, -1
	s_and_saveexec_b32 s23, s73
; %bb.6133:                             ;   in Loop: Header=BB6_5548 Depth=3
	s_xor_b32 s22, exec_lo, -1
; %bb.6134:                             ;   in Loop: Header=BB6_5548 Depth=3
	s_or_b32 exec_lo, exec_lo, s23
	s_and_b32 s22, s22, exec_lo
	s_or_saveexec_b32 s16, s16
	v_mov_b32_e32 v4, 0x7f800001
	s_xor_b32 exec_lo, exec_lo, s16
	s_cbranch_execnz .LBB6_7981
.LBB6_6135:                             ;   in Loop: Header=BB6_5548 Depth=3
	s_or_b32 exec_lo, exec_lo, s16
	s_and_saveexec_b32 s16, s22
	s_cbranch_execz .LBB6_6137
.LBB6_6136:                             ;   in Loop: Header=BB6_5548 Depth=3
	v_and_b32_e32 v4, 7, v24
	v_bfe_u32 v5, v24, 3, 4
	v_ffbh_u32_e32 v28, v4
	v_cmp_eq_u32_e32 vcc_lo, 0, v5
	v_min_u32_e32 v28, 32, v28
	v_subrev_nc_u32_e32 v29, 28, v28
	v_sub_nc_u32_e32 v28, 29, v28
	v_lshlrev_b32_e32 v29, v29, v24
	v_cndmask_b32_e32 v5, v5, v28, vcc_lo
	v_lshlrev_b32_e32 v28, 24, v24
	v_and_b32_e32 v29, 7, v29
	v_lshl_add_u32 v5, v5, 23, 0x3b800000
	v_and_b32_e32 v28, 0x80000000, v28
	v_cndmask_b32_e32 v4, v4, v29, vcc_lo
	v_lshlrev_b32_e32 v4, 20, v4
	v_or3_b32 v4, v28, v5, v4
.LBB6_6137:                             ;   in Loop: Header=BB6_5548 Depth=3
	s_or_b32 exec_lo, exec_lo, s16
	v_max_f32_e32 v4, v4, v4
	v_max_f32_e32 v1, v1, v1
	s_mov_b32 s16, 0
	v_max_f32_e32 v1, v1, v4
.LBB6_6138:                             ;   in Loop: Header=BB6_5548 Depth=3
	s_and_b32 vcc_lo, exec_lo, s16
	s_cbranch_vccz .LBB6_6152
; %bb.6139:                             ;   in Loop: Header=BB6_5548 Depth=3
	v_cmp_gt_i16_sdwa s16, v32, v61 src0_sel:BYTE_0 src1_sel:DWORD
	s_mov_b32 s22, 0
	s_and_saveexec_b32 s23, s16
	s_xor_b32 s16, exec_lo, s23
	s_cbranch_execz .LBB6_7982
; %bb.6140:                             ;   in Loop: Header=BB6_5548 Depth=3
	v_cmp_eq_u16_sdwa s73, v32, v62 src0_sel:BYTE_0 src1_sel:DWORD
	s_mov_b32 s22, -1
	s_and_saveexec_b32 s23, s73
; %bb.6141:                             ;   in Loop: Header=BB6_5548 Depth=3
	s_xor_b32 s22, exec_lo, -1
; %bb.6142:                             ;   in Loop: Header=BB6_5548 Depth=3
	s_or_b32 exec_lo, exec_lo, s23
	s_and_b32 s22, s22, exec_lo
	s_or_saveexec_b32 s16, s16
	v_mov_b32_e32 v1, 0x7f800001
	s_xor_b32 exec_lo, exec_lo, s16
	s_cbranch_execnz .LBB6_7983
.LBB6_6143:                             ;   in Loop: Header=BB6_5548 Depth=3
	s_or_b32 exec_lo, exec_lo, s16
	s_and_saveexec_b32 s16, s22
	s_cbranch_execz .LBB6_6145
.LBB6_6144:                             ;   in Loop: Header=BB6_5548 Depth=3
	v_and_b32_e32 v1, 7, v32
	v_bfe_u32 v4, v32, 3, 4
	v_ffbh_u32_e32 v5, v1
	v_cmp_eq_u32_e32 vcc_lo, 0, v4
	v_min_u32_e32 v5, 32, v5
	v_subrev_nc_u32_e32 v28, 28, v5
	v_sub_nc_u32_e32 v5, 29, v5
	v_lshlrev_b32_e32 v28, v28, v32
	v_cndmask_b32_e32 v4, v4, v5, vcc_lo
	v_lshlrev_b32_e32 v5, 24, v32
	v_and_b32_e32 v28, 7, v28
	v_lshl_add_u32 v4, v4, 23, 0x3b800000
	v_and_b32_e32 v5, 0x80000000, v5
	v_cndmask_b32_e32 v1, v1, v28, vcc_lo
	v_lshlrev_b32_e32 v1, 20, v1
	v_or3_b32 v1, v5, v4, v1
.LBB6_6145:                             ;   in Loop: Header=BB6_5548 Depth=3
	s_or_b32 exec_lo, exec_lo, s16
	s_waitcnt vmcnt(2)
	v_cmp_gt_i16_sdwa s16, v24, v61 src0_sel:BYTE_0 src1_sel:DWORD
	s_mov_b32 s22, 0
	s_and_saveexec_b32 s23, s16
	s_xor_b32 s16, exec_lo, s23
	s_cbranch_execz .LBB6_7984
; %bb.6146:                             ;   in Loop: Header=BB6_5548 Depth=3
	v_cmp_eq_u16_sdwa s73, v24, v62 src0_sel:BYTE_0 src1_sel:DWORD
	s_mov_b32 s22, -1
	s_and_saveexec_b32 s23, s73
; %bb.6147:                             ;   in Loop: Header=BB6_5548 Depth=3
	s_xor_b32 s22, exec_lo, -1
; %bb.6148:                             ;   in Loop: Header=BB6_5548 Depth=3
	s_or_b32 exec_lo, exec_lo, s23
	s_and_b32 s22, s22, exec_lo
	s_or_saveexec_b32 s16, s16
	v_mov_b32_e32 v4, 0x7f800001
	s_xor_b32 exec_lo, exec_lo, s16
	s_cbranch_execnz .LBB6_7985
.LBB6_6149:                             ;   in Loop: Header=BB6_5548 Depth=3
	s_or_b32 exec_lo, exec_lo, s16
	s_and_saveexec_b32 s16, s22
	s_cbranch_execz .LBB6_6151
.LBB6_6150:                             ;   in Loop: Header=BB6_5548 Depth=3
	v_and_b32_e32 v4, 7, v24
	v_bfe_u32 v5, v24, 3, 4
	v_ffbh_u32_e32 v28, v4
	v_cmp_eq_u32_e32 vcc_lo, 0, v5
	v_min_u32_e32 v28, 32, v28
	v_subrev_nc_u32_e32 v29, 28, v28
	v_sub_nc_u32_e32 v28, 29, v28
	v_lshlrev_b32_e32 v29, v29, v24
	v_cndmask_b32_e32 v5, v5, v28, vcc_lo
	v_lshlrev_b32_e32 v28, 24, v24
	v_and_b32_e32 v29, 7, v29
	v_lshl_add_u32 v5, v5, 23, 0x3b800000
	v_and_b32_e32 v28, 0x80000000, v28
	v_cndmask_b32_e32 v4, v4, v29, vcc_lo
	v_lshlrev_b32_e32 v4, 20, v4
	v_or3_b32 v4, v28, v5, v4
.LBB6_6151:                             ;   in Loop: Header=BB6_5548 Depth=3
	s_or_b32 exec_lo, exec_lo, s16
	v_max_f32_e32 v4, v4, v4
	v_max_f32_e32 v1, v1, v1
	v_min_f32_e32 v1, v1, v4
.LBB6_6152:                             ;   in Loop: Header=BB6_5548 Depth=3
	v_and_b32_e32 v4, 0x7f800000, v1
	v_mov_b32_e32 v51, 0x80
	s_mov_b32 s22, exec_lo
	v_cmpx_ne_u32_e32 0x7f800000, v4
	s_cbranch_execz .LBB6_6160
; %bb.6153:                             ;   in Loop: Header=BB6_5548 Depth=3
	v_mov_b32_e32 v51, 0
	s_mov_b32 s23, exec_lo
	v_cmpx_ne_u32_e32 0, v1
	s_cbranch_execz .LBB6_6159
; %bb.6154:                             ;   in Loop: Header=BB6_5548 Depth=3
	v_bfe_u32 v5, v1, 23, 8
	v_and_b32_e32 v4, 0x7fffff, v1
	v_cmp_gt_u32_e64 s16, 0x79, v5
	v_sub_nc_u32_e32 v28, 0x78, v5
	v_cmp_eq_u32_e32 vcc_lo, 0, v5
	v_or_b32_e32 v29, 0x800000, v4
	v_cndmask_b32_e64 v28, 0, v28, s16
	v_cndmask_b32_e32 v4, v29, v4, vcc_lo
	v_cndmask_b32_e64 v28, v28, 0x77, vcc_lo
	v_lshl_add_u32 v29, 0x100000, v28, -1
	v_lshlrev_b32_e64 v30, v28, 0x80000
	v_and_b32_e32 v29, v29, v4
	v_cmp_eq_u32_e64 s16, v29, v30
	v_lshrrev_b32_e32 v29, v28, v4
	v_add_nc_u32_e32 v4, 0xffffff89, v5
	v_lshrrev_b32_e32 v5, 23, v29
	v_cndmask_b32_e64 v4, v4, 0xffffff8a, vcc_lo
	v_xor_b32_e32 v5, 1, v5
	v_add_nc_u32_e32 v4, v28, v4
	v_bfe_u32 v28, v29, 20, 1
	v_add_nc_u32_e32 v28, -1, v28
	v_cndmask_b32_e64 v28, 0, v28, s16
	s_mov_b32 s16, exec_lo
	v_add_nc_u32_e32 v28, v28, v29
	v_and_b32_e32 v28, 0xfffff, v28
	v_add_nc_u32_e32 v28, v28, v29
                                        ; implicit-def: $vgpr29
	v_cmpx_ne_u32_e64 v4, v5
	s_xor_b32 s16, exec_lo, s16
; %bb.6155:                             ;   in Loop: Header=BB6_5548 Depth=3
	v_cmp_lt_u32_e32 vcc_lo, 0xffffff, v28
	v_sub_nc_u32_e32 v4, v4, v5
	v_cndmask_b32_e64 v5, 0, 1, vcc_lo
	v_add_co_ci_u32_e64 v29, null, 0, v4, vcc_lo
	v_lshrrev_b32_e32 v28, v5, v28
; %bb.6156:                             ;   in Loop: Header=BB6_5548 Depth=3
	s_andn2_saveexec_b32 s16, s16
; %bb.6157:                             ;   in Loop: Header=BB6_5548 Depth=3
	v_bfe_u32 v29, v28, 23, 1
; %bb.6158:                             ;   in Loop: Header=BB6_5548 Depth=3
	s_or_b32 exec_lo, exec_lo, s16
	v_lshrrev_b32_e32 v4, 20, v28
	v_min_i32_e32 v5, 15, v29
	v_cmp_gt_i32_e32 vcc_lo, 16, v29
	v_and_b32_sdwa v1, v1, v62 dst_sel:DWORD dst_unused:UNUSED_PAD src0_sel:BYTE_3 src1_sel:DWORD
	v_lshlrev_b32_e32 v5, 3, v5
	v_cndmask_b32_e32 v4, 7, v4, vcc_lo
	v_and_b32_e32 v5, 0xf8, v5
	v_or_b32_e32 v28, v29, v4
	v_and_b32_e32 v4, 7, v4
	v_cmp_ne_u32_e32 vcc_lo, 0, v28
	v_or3_b32 v1, v5, v1, v4
	v_cndmask_b32_e32 v51, 0, v1, vcc_lo
.LBB6_6159:                             ;   in Loop: Header=BB6_5548 Depth=3
	s_or_b32 exec_lo, exec_lo, s23
.LBB6_6160:                             ;   in Loop: Header=BB6_5548 Depth=3
	s_or_b32 exec_lo, exec_lo, s22
	v_cmp_gt_i16_sdwa s22, v32, v61 src0_sel:BYTE_1 src1_sel:DWORD
	s_andn2_b32 vcc_lo, exec_lo, s19
	s_mov_b32 s16, -1
                                        ; implicit-def: $vgpr1
	s_cbranch_vccnz .LBB6_6174
; %bb.6161:                             ;   in Loop: Header=BB6_5548 Depth=3
	s_mov_b32 s16, 0
	s_and_saveexec_b32 s23, s22
	s_xor_b32 s22, exec_lo, s23
	s_cbranch_execz .LBB6_7986
; %bb.6162:                             ;   in Loop: Header=BB6_5548 Depth=3
	v_cmp_eq_u16_sdwa s73, v32, v62 src0_sel:BYTE_1 src1_sel:DWORD
	s_mov_b32 s16, -1
	s_and_saveexec_b32 s23, s73
; %bb.6163:                             ;   in Loop: Header=BB6_5548 Depth=3
	s_xor_b32 s16, exec_lo, -1
; %bb.6164:                             ;   in Loop: Header=BB6_5548 Depth=3
	s_or_b32 exec_lo, exec_lo, s23
	s_and_b32 s16, s16, exec_lo
	s_or_saveexec_b32 s22, s22
	v_mov_b32_e32 v1, 0x7f800001
	s_xor_b32 exec_lo, exec_lo, s22
	s_cbranch_execnz .LBB6_7987
.LBB6_6165:                             ;   in Loop: Header=BB6_5548 Depth=3
	s_or_b32 exec_lo, exec_lo, s22
	s_and_saveexec_b32 s22, s16
	s_cbranch_execz .LBB6_6167
.LBB6_6166:                             ;   in Loop: Header=BB6_5548 Depth=3
	v_and_b32_sdwa v1, v63, v32 dst_sel:DWORD dst_unused:UNUSED_PAD src0_sel:DWORD src1_sel:BYTE_1
	v_and_b32_e32 v4, 7, v1
	v_bfe_u32 v29, v1, 3, 4
	v_ffbh_u32_e32 v5, v4
	v_cmp_eq_u32_e32 vcc_lo, 0, v29
	v_min_u32_e32 v5, 32, v5
	v_subrev_nc_u32_e32 v28, 28, v5
	v_sub_nc_u32_e32 v5, 29, v5
	v_lshlrev_b32_e32 v1, v28, v1
	v_lshlrev_b32_e32 v28, 16, v32
	v_cndmask_b32_e32 v5, v29, v5, vcc_lo
	v_and_b32_e32 v1, 7, v1
	v_lshl_add_u32 v5, v5, 23, 0x3b800000
	v_cndmask_b32_e32 v1, v4, v1, vcc_lo
	v_and_b32_e32 v4, 0x80000000, v28
	v_lshlrev_b32_e32 v1, 20, v1
	v_or3_b32 v1, v4, v5, v1
.LBB6_6167:                             ;   in Loop: Header=BB6_5548 Depth=3
	s_or_b32 exec_lo, exec_lo, s22
	s_waitcnt vmcnt(2)
	v_cmp_gt_i16_sdwa s22, v24, v61 src0_sel:BYTE_1 src1_sel:DWORD
	s_mov_b32 s16, 0
	s_and_saveexec_b32 s23, s22
	s_xor_b32 s22, exec_lo, s23
	s_cbranch_execz .LBB6_7988
; %bb.6168:                             ;   in Loop: Header=BB6_5548 Depth=3
	v_cmp_eq_u16_sdwa s73, v24, v62 src0_sel:BYTE_1 src1_sel:DWORD
	s_mov_b32 s16, -1
	s_and_saveexec_b32 s23, s73
; %bb.6169:                             ;   in Loop: Header=BB6_5548 Depth=3
	s_xor_b32 s16, exec_lo, -1
; %bb.6170:                             ;   in Loop: Header=BB6_5548 Depth=3
	s_or_b32 exec_lo, exec_lo, s23
	s_and_b32 s16, s16, exec_lo
	s_or_saveexec_b32 s22, s22
	v_mov_b32_e32 v4, 0x7f800001
	s_xor_b32 exec_lo, exec_lo, s22
	s_cbranch_execnz .LBB6_7989
.LBB6_6171:                             ;   in Loop: Header=BB6_5548 Depth=3
	s_or_b32 exec_lo, exec_lo, s22
	s_and_saveexec_b32 s22, s16
	s_cbranch_execz .LBB6_6173
.LBB6_6172:                             ;   in Loop: Header=BB6_5548 Depth=3
	v_and_b32_sdwa v4, v63, v24 dst_sel:DWORD dst_unused:UNUSED_PAD src0_sel:DWORD src1_sel:BYTE_1
	v_and_b32_e32 v5, 7, v4
	v_bfe_u32 v30, v4, 3, 4
	v_ffbh_u32_e32 v28, v5
	v_cmp_eq_u32_e32 vcc_lo, 0, v30
	v_min_u32_e32 v28, 32, v28
	v_subrev_nc_u32_e32 v29, 28, v28
	v_sub_nc_u32_e32 v28, 29, v28
	v_lshlrev_b32_e32 v4, v29, v4
	v_lshlrev_b32_e32 v29, 16, v24
	v_cndmask_b32_e32 v28, v30, v28, vcc_lo
	v_and_b32_e32 v4, 7, v4
	v_lshl_add_u32 v28, v28, 23, 0x3b800000
	v_cndmask_b32_e32 v4, v5, v4, vcc_lo
	v_and_b32_e32 v5, 0x80000000, v29
	v_lshlrev_b32_e32 v4, 20, v4
	v_or3_b32 v4, v5, v28, v4
.LBB6_6173:                             ;   in Loop: Header=BB6_5548 Depth=3
	s_or_b32 exec_lo, exec_lo, s22
	v_max_f32_e32 v4, v4, v4
	v_max_f32_e32 v1, v1, v1
	s_mov_b32 s16, 0
	v_max_f32_e32 v1, v1, v4
.LBB6_6174:                             ;   in Loop: Header=BB6_5548 Depth=3
	s_and_b32 vcc_lo, exec_lo, s16
	s_cbranch_vccz .LBB6_6188
; %bb.6175:                             ;   in Loop: Header=BB6_5548 Depth=3
	v_cmp_gt_i16_sdwa s22, v32, v61 src0_sel:BYTE_1 src1_sel:DWORD
	s_mov_b32 s16, 0
	s_and_saveexec_b32 s23, s22
	s_xor_b32 s22, exec_lo, s23
	s_cbranch_execz .LBB6_7990
; %bb.6176:                             ;   in Loop: Header=BB6_5548 Depth=3
	v_cmp_eq_u16_sdwa s73, v32, v62 src0_sel:BYTE_1 src1_sel:DWORD
	s_mov_b32 s16, -1
	s_and_saveexec_b32 s23, s73
; %bb.6177:                             ;   in Loop: Header=BB6_5548 Depth=3
	s_xor_b32 s16, exec_lo, -1
; %bb.6178:                             ;   in Loop: Header=BB6_5548 Depth=3
	s_or_b32 exec_lo, exec_lo, s23
	s_and_b32 s16, s16, exec_lo
	s_or_saveexec_b32 s22, s22
	v_mov_b32_e32 v1, 0x7f800001
	s_xor_b32 exec_lo, exec_lo, s22
	s_cbranch_execnz .LBB6_7991
.LBB6_6179:                             ;   in Loop: Header=BB6_5548 Depth=3
	s_or_b32 exec_lo, exec_lo, s22
	s_and_saveexec_b32 s22, s16
	s_cbranch_execz .LBB6_6181
.LBB6_6180:                             ;   in Loop: Header=BB6_5548 Depth=3
	v_and_b32_sdwa v1, v63, v32 dst_sel:DWORD dst_unused:UNUSED_PAD src0_sel:DWORD src1_sel:BYTE_1
	v_and_b32_e32 v4, 7, v1
	v_bfe_u32 v29, v1, 3, 4
	v_ffbh_u32_e32 v5, v4
	v_cmp_eq_u32_e32 vcc_lo, 0, v29
	v_min_u32_e32 v5, 32, v5
	v_subrev_nc_u32_e32 v28, 28, v5
	v_sub_nc_u32_e32 v5, 29, v5
	v_lshlrev_b32_e32 v1, v28, v1
	v_lshlrev_b32_e32 v28, 16, v32
	v_cndmask_b32_e32 v5, v29, v5, vcc_lo
	v_and_b32_e32 v1, 7, v1
	v_lshl_add_u32 v5, v5, 23, 0x3b800000
	v_cndmask_b32_e32 v1, v4, v1, vcc_lo
	v_and_b32_e32 v4, 0x80000000, v28
	v_lshlrev_b32_e32 v1, 20, v1
	v_or3_b32 v1, v4, v5, v1
.LBB6_6181:                             ;   in Loop: Header=BB6_5548 Depth=3
	s_or_b32 exec_lo, exec_lo, s22
	s_waitcnt vmcnt(2)
	v_cmp_gt_i16_sdwa s22, v24, v61 src0_sel:BYTE_1 src1_sel:DWORD
	s_mov_b32 s16, 0
	s_and_saveexec_b32 s23, s22
	s_xor_b32 s22, exec_lo, s23
	s_cbranch_execz .LBB6_7992
; %bb.6182:                             ;   in Loop: Header=BB6_5548 Depth=3
	v_cmp_eq_u16_sdwa s73, v24, v62 src0_sel:BYTE_1 src1_sel:DWORD
	s_mov_b32 s16, -1
	s_and_saveexec_b32 s23, s73
; %bb.6183:                             ;   in Loop: Header=BB6_5548 Depth=3
	s_xor_b32 s16, exec_lo, -1
; %bb.6184:                             ;   in Loop: Header=BB6_5548 Depth=3
	s_or_b32 exec_lo, exec_lo, s23
	s_and_b32 s16, s16, exec_lo
	s_or_saveexec_b32 s22, s22
	v_mov_b32_e32 v4, 0x7f800001
	s_xor_b32 exec_lo, exec_lo, s22
	s_cbranch_execnz .LBB6_7993
.LBB6_6185:                             ;   in Loop: Header=BB6_5548 Depth=3
	s_or_b32 exec_lo, exec_lo, s22
	s_and_saveexec_b32 s22, s16
	s_cbranch_execz .LBB6_6187
.LBB6_6186:                             ;   in Loop: Header=BB6_5548 Depth=3
	v_and_b32_sdwa v4, v63, v24 dst_sel:DWORD dst_unused:UNUSED_PAD src0_sel:DWORD src1_sel:BYTE_1
	v_and_b32_e32 v5, 7, v4
	v_bfe_u32 v30, v4, 3, 4
	v_ffbh_u32_e32 v28, v5
	v_cmp_eq_u32_e32 vcc_lo, 0, v30
	v_min_u32_e32 v28, 32, v28
	v_subrev_nc_u32_e32 v29, 28, v28
	v_sub_nc_u32_e32 v28, 29, v28
	v_lshlrev_b32_e32 v4, v29, v4
	v_lshlrev_b32_e32 v29, 16, v24
	v_cndmask_b32_e32 v28, v30, v28, vcc_lo
	v_and_b32_e32 v4, 7, v4
	v_lshl_add_u32 v28, v28, 23, 0x3b800000
	v_cndmask_b32_e32 v4, v5, v4, vcc_lo
	v_and_b32_e32 v5, 0x80000000, v29
	v_lshlrev_b32_e32 v4, 20, v4
	v_or3_b32 v4, v5, v28, v4
.LBB6_6187:                             ;   in Loop: Header=BB6_5548 Depth=3
	s_or_b32 exec_lo, exec_lo, s22
	v_max_f32_e32 v4, v4, v4
	v_max_f32_e32 v1, v1, v1
	v_min_f32_e32 v1, v1, v4
.LBB6_6188:                             ;   in Loop: Header=BB6_5548 Depth=3
	v_and_b32_e32 v4, 0x7f800000, v1
	v_mov_b32_e32 v30, 0x8000
	s_mov_b32 s22, exec_lo
	v_cmpx_ne_u32_e32 0x7f800000, v4
	s_cbranch_execz .LBB6_6196
; %bb.6189:                             ;   in Loop: Header=BB6_5548 Depth=3
	v_mov_b32_e32 v30, 0
	s_mov_b32 s23, exec_lo
	v_cmpx_ne_u32_e32 0, v1
	s_cbranch_execz .LBB6_6195
; %bb.6190:                             ;   in Loop: Header=BB6_5548 Depth=3
	v_bfe_u32 v5, v1, 23, 8
	v_and_b32_e32 v4, 0x7fffff, v1
	v_cmp_gt_u32_e64 s16, 0x79, v5
	v_sub_nc_u32_e32 v28, 0x78, v5
	v_cmp_eq_u32_e32 vcc_lo, 0, v5
	v_or_b32_e32 v29, 0x800000, v4
	v_cndmask_b32_e64 v28, 0, v28, s16
	v_cndmask_b32_e32 v4, v29, v4, vcc_lo
	v_cndmask_b32_e64 v28, v28, 0x77, vcc_lo
	v_lshl_add_u32 v29, 0x100000, v28, -1
	v_lshlrev_b32_e64 v30, v28, 0x80000
	v_and_b32_e32 v29, v29, v4
	v_cmp_eq_u32_e64 s16, v29, v30
	v_lshrrev_b32_e32 v29, v28, v4
	v_add_nc_u32_e32 v4, 0xffffff89, v5
	v_lshrrev_b32_e32 v5, 23, v29
	v_cndmask_b32_e64 v4, v4, 0xffffff8a, vcc_lo
	v_xor_b32_e32 v5, 1, v5
	v_add_nc_u32_e32 v4, v28, v4
	v_bfe_u32 v28, v29, 20, 1
	v_add_nc_u32_e32 v28, -1, v28
	v_cndmask_b32_e64 v28, 0, v28, s16
	s_mov_b32 s16, exec_lo
	v_add_nc_u32_e32 v28, v28, v29
	v_and_b32_e32 v28, 0xfffff, v28
	v_add_nc_u32_e32 v28, v28, v29
                                        ; implicit-def: $vgpr29
	v_cmpx_ne_u32_e64 v4, v5
	s_xor_b32 s16, exec_lo, s16
; %bb.6191:                             ;   in Loop: Header=BB6_5548 Depth=3
	v_cmp_lt_u32_e32 vcc_lo, 0xffffff, v28
	v_sub_nc_u32_e32 v4, v4, v5
	v_cndmask_b32_e64 v5, 0, 1, vcc_lo
	v_add_co_ci_u32_e64 v29, null, 0, v4, vcc_lo
	v_lshrrev_b32_e32 v28, v5, v28
; %bb.6192:                             ;   in Loop: Header=BB6_5548 Depth=3
	s_andn2_saveexec_b32 s16, s16
; %bb.6193:                             ;   in Loop: Header=BB6_5548 Depth=3
	v_bfe_u32 v29, v28, 23, 1
; %bb.6194:                             ;   in Loop: Header=BB6_5548 Depth=3
	s_or_b32 exec_lo, exec_lo, s16
	v_lshrrev_b32_e32 v4, 20, v28
	v_min_i32_e32 v5, 15, v29
	v_cmp_gt_i32_e32 vcc_lo, 16, v29
	v_and_b32_sdwa v1, v1, v62 dst_sel:DWORD dst_unused:UNUSED_PAD src0_sel:BYTE_3 src1_sel:DWORD
	v_lshlrev_b32_e32 v5, 3, v5
	v_cndmask_b32_e32 v4, 7, v4, vcc_lo
	v_and_b32_e32 v5, 0xf8, v5
	v_or_b32_e32 v28, v29, v4
	v_and_b32_e32 v4, 7, v4
	v_cmp_ne_u32_e32 vcc_lo, 0, v28
	v_or3_b32 v1, v1, v5, v4
	v_lshlrev_b32_e32 v1, 8, v1
	v_cndmask_b32_e32 v30, 0, v1, vcc_lo
.LBB6_6195:                             ;   in Loop: Header=BB6_5548 Depth=3
	s_or_b32 exec_lo, exec_lo, s23
.LBB6_6196:                             ;   in Loop: Header=BB6_5548 Depth=3
	s_or_b32 exec_lo, exec_lo, s22
	v_and_b32_sdwa v1, v32, v72 dst_sel:DWORD dst_unused:UNUSED_PAD src0_sel:WORD_1 src1_sel:DWORD
	s_andn2_b32 vcc_lo, exec_lo, s19
	s_mov_b32 s22, -1
                                        ; implicit-def: $vgpr4
	v_cmp_lt_i16_e64 s16, 0x7f, v1
	s_cbranch_vccnz .LBB6_6210
; %bb.6197:                             ;   in Loop: Header=BB6_5548 Depth=3
	s_mov_b32 s22, 0
	s_and_saveexec_b32 s23, s16
	s_xor_b32 s16, exec_lo, s23
	s_cbranch_execz .LBB6_7994
; %bb.6198:                             ;   in Loop: Header=BB6_5548 Depth=3
	s_mov_b32 s22, -1
	s_mov_b32 s23, exec_lo
	v_cmpx_eq_u16_e32 0x80, v1
; %bb.6199:                             ;   in Loop: Header=BB6_5548 Depth=3
	s_xor_b32 s22, exec_lo, -1
; %bb.6200:                             ;   in Loop: Header=BB6_5548 Depth=3
	s_or_b32 exec_lo, exec_lo, s23
	s_and_b32 s22, s22, exec_lo
	s_or_saveexec_b32 s16, s16
	v_mov_b32_e32 v4, 0x7f800001
	s_xor_b32 exec_lo, exec_lo, s16
	s_cbranch_execnz .LBB6_7995
.LBB6_6201:                             ;   in Loop: Header=BB6_5548 Depth=3
	s_or_b32 exec_lo, exec_lo, s16
	s_and_saveexec_b32 s16, s22
	s_cbranch_execz .LBB6_6203
.LBB6_6202:                             ;   in Loop: Header=BB6_5548 Depth=3
	v_bfe_u32 v4, v32, 16, 3
	v_bfe_u32 v5, v32, 19, 4
	v_ffbh_u32_e32 v28, v4
	v_cmp_eq_u32_e32 vcc_lo, 0, v5
	v_min_u32_e32 v28, 32, v28
	v_subrev_nc_u32_e32 v29, 28, v28
	v_sub_nc_u32_e32 v28, 29, v28
	v_lshlrev_b32_sdwa v29, v29, v32 dst_sel:DWORD dst_unused:UNUSED_PAD src0_sel:DWORD src1_sel:WORD_1
	v_cndmask_b32_e32 v5, v5, v28, vcc_lo
	v_lshlrev_b32_sdwa v28, v73, v32 dst_sel:DWORD dst_unused:UNUSED_PAD src0_sel:DWORD src1_sel:WORD_1
	v_and_b32_e32 v29, 7, v29
	v_lshl_add_u32 v5, v5, 23, 0x3b800000
	v_and_b32_e32 v28, 0x80000000, v28
	v_cndmask_b32_e32 v4, v4, v29, vcc_lo
	v_lshlrev_b32_e32 v4, 20, v4
	v_or3_b32 v4, v28, v5, v4
.LBB6_6203:                             ;   in Loop: Header=BB6_5548 Depth=3
	s_or_b32 exec_lo, exec_lo, s16
	s_waitcnt vmcnt(2)
	v_and_b32_sdwa v28, v24, v72 dst_sel:DWORD dst_unused:UNUSED_PAD src0_sel:WORD_1 src1_sel:DWORD
	s_mov_b32 s22, 0
	s_mov_b32 s16, exec_lo
	v_cmpx_lt_i16_e32 0x7f, v28
	s_xor_b32 s16, exec_lo, s16
	s_cbranch_execz .LBB6_7996
; %bb.6204:                             ;   in Loop: Header=BB6_5548 Depth=3
	s_mov_b32 s22, -1
	s_mov_b32 s23, exec_lo
	v_cmpx_eq_u16_e32 0x80, v28
; %bb.6205:                             ;   in Loop: Header=BB6_5548 Depth=3
	s_xor_b32 s22, exec_lo, -1
; %bb.6206:                             ;   in Loop: Header=BB6_5548 Depth=3
	s_or_b32 exec_lo, exec_lo, s23
	s_and_b32 s22, s22, exec_lo
                                        ; implicit-def: $vgpr28
	s_or_saveexec_b32 s16, s16
	v_mov_b32_e32 v5, 0x7f800001
	s_xor_b32 exec_lo, exec_lo, s16
	s_cbranch_execnz .LBB6_7997
.LBB6_6207:                             ;   in Loop: Header=BB6_5548 Depth=3
	s_or_b32 exec_lo, exec_lo, s16
	s_and_saveexec_b32 s16, s22
	s_cbranch_execz .LBB6_6209
.LBB6_6208:                             ;   in Loop: Header=BB6_5548 Depth=3
	v_bfe_u32 v5, v24, 16, 3
	v_bfe_u32 v28, v24, 19, 4
	v_ffbh_u32_e32 v29, v5
	v_cmp_eq_u32_e32 vcc_lo, 0, v28
	v_min_u32_e32 v29, 32, v29
	v_subrev_nc_u32_e32 v31, 28, v29
	v_sub_nc_u32_e32 v29, 29, v29
	v_lshlrev_b32_sdwa v31, v31, v24 dst_sel:DWORD dst_unused:UNUSED_PAD src0_sel:DWORD src1_sel:WORD_1
	v_cndmask_b32_e32 v28, v28, v29, vcc_lo
	v_lshlrev_b32_sdwa v29, v73, v24 dst_sel:DWORD dst_unused:UNUSED_PAD src0_sel:DWORD src1_sel:WORD_1
	v_and_b32_e32 v31, 7, v31
	v_lshl_add_u32 v28, v28, 23, 0x3b800000
	v_and_b32_e32 v29, 0x80000000, v29
	v_cndmask_b32_e32 v5, v5, v31, vcc_lo
	v_lshlrev_b32_e32 v5, 20, v5
	v_or3_b32 v5, v29, v28, v5
.LBB6_6209:                             ;   in Loop: Header=BB6_5548 Depth=3
	s_or_b32 exec_lo, exec_lo, s16
	v_max_f32_e32 v5, v5, v5
	v_max_f32_e32 v4, v4, v4
	s_mov_b32 s22, 0
	v_max_f32_e32 v4, v4, v5
.LBB6_6210:                             ;   in Loop: Header=BB6_5548 Depth=3
	s_and_b32 vcc_lo, exec_lo, s22
	s_cbranch_vccz .LBB6_6224
; %bb.6211:                             ;   in Loop: Header=BB6_5548 Depth=3
	s_mov_b32 s22, 0
	s_mov_b32 s16, exec_lo
	v_cmpx_lt_i16_e32 0x7f, v1
	s_xor_b32 s16, exec_lo, s16
	s_cbranch_execz .LBB6_7998
; %bb.6212:                             ;   in Loop: Header=BB6_5548 Depth=3
	s_mov_b32 s22, -1
	s_mov_b32 s23, exec_lo
	v_cmpx_eq_u16_e32 0x80, v1
; %bb.6213:                             ;   in Loop: Header=BB6_5548 Depth=3
	s_xor_b32 s22, exec_lo, -1
; %bb.6214:                             ;   in Loop: Header=BB6_5548 Depth=3
	s_or_b32 exec_lo, exec_lo, s23
	s_and_b32 s22, s22, exec_lo
                                        ; implicit-def: $vgpr1
	s_or_saveexec_b32 s16, s16
	v_mov_b32_e32 v4, 0x7f800001
	s_xor_b32 exec_lo, exec_lo, s16
	s_cbranch_execnz .LBB6_7999
.LBB6_6215:                             ;   in Loop: Header=BB6_5548 Depth=3
	s_or_b32 exec_lo, exec_lo, s16
	s_and_saveexec_b32 s16, s22
	s_cbranch_execz .LBB6_6217
.LBB6_6216:                             ;   in Loop: Header=BB6_5548 Depth=3
	v_bfe_u32 v1, v32, 16, 3
	v_bfe_u32 v4, v32, 19, 4
	v_ffbh_u32_e32 v5, v1
	v_cmp_eq_u32_e32 vcc_lo, 0, v4
	v_min_u32_e32 v5, 32, v5
	v_subrev_nc_u32_e32 v28, 28, v5
	v_sub_nc_u32_e32 v5, 29, v5
	v_lshlrev_b32_sdwa v28, v28, v32 dst_sel:DWORD dst_unused:UNUSED_PAD src0_sel:DWORD src1_sel:WORD_1
	v_cndmask_b32_e32 v4, v4, v5, vcc_lo
	v_lshlrev_b32_sdwa v5, v73, v32 dst_sel:DWORD dst_unused:UNUSED_PAD src0_sel:DWORD src1_sel:WORD_1
	v_and_b32_e32 v28, 7, v28
	v_lshl_add_u32 v4, v4, 23, 0x3b800000
	v_and_b32_e32 v5, 0x80000000, v5
	v_cndmask_b32_e32 v1, v1, v28, vcc_lo
	v_lshlrev_b32_e32 v1, 20, v1
	v_or3_b32 v4, v5, v4, v1
.LBB6_6217:                             ;   in Loop: Header=BB6_5548 Depth=3
	s_or_b32 exec_lo, exec_lo, s16
	s_waitcnt vmcnt(2)
	v_and_b32_sdwa v5, v24, v72 dst_sel:DWORD dst_unused:UNUSED_PAD src0_sel:WORD_1 src1_sel:DWORD
	s_mov_b32 s22, 0
	s_mov_b32 s16, exec_lo
	v_cmpx_lt_i16_e32 0x7f, v5
	s_xor_b32 s16, exec_lo, s16
	s_cbranch_execz .LBB6_8000
; %bb.6218:                             ;   in Loop: Header=BB6_5548 Depth=3
	s_mov_b32 s22, -1
	s_mov_b32 s23, exec_lo
	v_cmpx_eq_u16_e32 0x80, v5
; %bb.6219:                             ;   in Loop: Header=BB6_5548 Depth=3
	s_xor_b32 s22, exec_lo, -1
; %bb.6220:                             ;   in Loop: Header=BB6_5548 Depth=3
	s_or_b32 exec_lo, exec_lo, s23
	s_and_b32 s22, s22, exec_lo
                                        ; implicit-def: $vgpr5
	s_or_saveexec_b32 s16, s16
	v_mov_b32_e32 v1, 0x7f800001
	s_xor_b32 exec_lo, exec_lo, s16
	s_cbranch_execnz .LBB6_8001
.LBB6_6221:                             ;   in Loop: Header=BB6_5548 Depth=3
	s_or_b32 exec_lo, exec_lo, s16
	s_and_saveexec_b32 s16, s22
	s_cbranch_execz .LBB6_6223
.LBB6_6222:                             ;   in Loop: Header=BB6_5548 Depth=3
	v_bfe_u32 v1, v24, 16, 3
	v_bfe_u32 v5, v24, 19, 4
	v_ffbh_u32_e32 v28, v1
	v_cmp_eq_u32_e32 vcc_lo, 0, v5
	v_min_u32_e32 v28, 32, v28
	v_subrev_nc_u32_e32 v29, 28, v28
	v_sub_nc_u32_e32 v28, 29, v28
	v_lshlrev_b32_sdwa v29, v29, v24 dst_sel:DWORD dst_unused:UNUSED_PAD src0_sel:DWORD src1_sel:WORD_1
	v_cndmask_b32_e32 v5, v5, v28, vcc_lo
	v_lshlrev_b32_sdwa v28, v73, v24 dst_sel:DWORD dst_unused:UNUSED_PAD src0_sel:DWORD src1_sel:WORD_1
	v_and_b32_e32 v29, 7, v29
	v_lshl_add_u32 v5, v5, 23, 0x3b800000
	v_and_b32_e32 v28, 0x80000000, v28
	v_cndmask_b32_e32 v1, v1, v29, vcc_lo
	v_lshlrev_b32_e32 v1, 20, v1
	v_or3_b32 v1, v28, v5, v1
.LBB6_6223:                             ;   in Loop: Header=BB6_5548 Depth=3
	s_or_b32 exec_lo, exec_lo, s16
	v_max_f32_e32 v1, v1, v1
	v_max_f32_e32 v4, v4, v4
	v_min_f32_e32 v4, v4, v1
.LBB6_6224:                             ;   in Loop: Header=BB6_5548 Depth=3
	v_and_b32_e32 v1, 0x7f800000, v4
	v_mov_b32_e32 v54, 0x80
	s_mov_b32 s22, exec_lo
	v_cmpx_ne_u32_e32 0x7f800000, v1
	s_cbranch_execz .LBB6_6232
; %bb.6225:                             ;   in Loop: Header=BB6_5548 Depth=3
	v_mov_b32_e32 v54, 0
	s_mov_b32 s23, exec_lo
	v_cmpx_ne_u32_e32 0, v4
	s_cbranch_execz .LBB6_6231
; %bb.6226:                             ;   in Loop: Header=BB6_5548 Depth=3
	v_bfe_u32 v5, v4, 23, 8
	v_and_b32_e32 v1, 0x7fffff, v4
	v_cmp_gt_u32_e64 s16, 0x79, v5
	v_sub_nc_u32_e32 v28, 0x78, v5
	v_cmp_eq_u32_e32 vcc_lo, 0, v5
	v_or_b32_e32 v29, 0x800000, v1
	v_cndmask_b32_e64 v28, 0, v28, s16
	v_cndmask_b32_e32 v1, v29, v1, vcc_lo
	v_cndmask_b32_e64 v28, v28, 0x77, vcc_lo
	v_lshl_add_u32 v29, 0x100000, v28, -1
	v_lshlrev_b32_e64 v31, v28, 0x80000
	v_and_b32_e32 v29, v29, v1
	v_cmp_eq_u32_e64 s16, v29, v31
	v_lshrrev_b32_e32 v29, v28, v1
	v_add_nc_u32_e32 v1, 0xffffff89, v5
	v_lshrrev_b32_e32 v5, 23, v29
	v_cndmask_b32_e64 v1, v1, 0xffffff8a, vcc_lo
	v_xor_b32_e32 v5, 1, v5
	v_add_nc_u32_e32 v1, v28, v1
	v_bfe_u32 v28, v29, 20, 1
	v_add_nc_u32_e32 v28, -1, v28
	v_cndmask_b32_e64 v28, 0, v28, s16
	s_mov_b32 s16, exec_lo
	v_add_nc_u32_e32 v28, v28, v29
	v_and_b32_e32 v28, 0xfffff, v28
	v_add_nc_u32_e32 v28, v28, v29
                                        ; implicit-def: $vgpr29
	v_cmpx_ne_u32_e64 v1, v5
	s_xor_b32 s16, exec_lo, s16
; %bb.6227:                             ;   in Loop: Header=BB6_5548 Depth=3
	v_cmp_lt_u32_e32 vcc_lo, 0xffffff, v28
	v_sub_nc_u32_e32 v1, v1, v5
	v_cndmask_b32_e64 v5, 0, 1, vcc_lo
	v_add_co_ci_u32_e64 v29, null, 0, v1, vcc_lo
	v_lshrrev_b32_e32 v28, v5, v28
; %bb.6228:                             ;   in Loop: Header=BB6_5548 Depth=3
	s_andn2_saveexec_b32 s16, s16
; %bb.6229:                             ;   in Loop: Header=BB6_5548 Depth=3
	v_bfe_u32 v29, v28, 23, 1
; %bb.6230:                             ;   in Loop: Header=BB6_5548 Depth=3
	s_or_b32 exec_lo, exec_lo, s16
	v_and_b32_sdwa v1, v4, v62 dst_sel:DWORD dst_unused:UNUSED_PAD src0_sel:BYTE_3 src1_sel:DWORD
	v_lshrrev_b32_e32 v4, 20, v28
	v_min_i32_e32 v5, 15, v29
	v_cmp_gt_i32_e32 vcc_lo, 16, v29
	v_lshlrev_b32_e32 v5, 3, v5
	v_cndmask_b32_e32 v4, 7, v4, vcc_lo
	v_and_b32_e32 v5, 0xf8, v5
	v_or_b32_e32 v28, v29, v4
	v_and_b32_e32 v4, 7, v4
	v_cmp_ne_u32_e32 vcc_lo, 0, v28
	v_or3_b32 v1, v5, v1, v4
	v_cndmask_b32_e32 v54, 0, v1, vcc_lo
.LBB6_6231:                             ;   in Loop: Header=BB6_5548 Depth=3
	s_or_b32 exec_lo, exec_lo, s23
.LBB6_6232:                             ;   in Loop: Header=BB6_5548 Depth=3
	s_or_b32 exec_lo, exec_lo, s22
	v_cmp_gt_i16_sdwa s22, v32, v61 src0_sel:BYTE_3 src1_sel:DWORD
	s_andn2_b32 vcc_lo, exec_lo, s19
	s_mov_b32 s16, -1
                                        ; implicit-def: $vgpr1
	s_cbranch_vccnz .LBB6_6246
; %bb.6233:                             ;   in Loop: Header=BB6_5548 Depth=3
	s_mov_b32 s16, 0
	s_and_saveexec_b32 s23, s22
	s_xor_b32 s22, exec_lo, s23
	s_cbranch_execz .LBB6_8002
; %bb.6234:                             ;   in Loop: Header=BB6_5548 Depth=3
	v_cmp_eq_u16_sdwa s73, v32, v62 src0_sel:BYTE_3 src1_sel:DWORD
	s_mov_b32 s16, -1
	s_and_saveexec_b32 s23, s73
; %bb.6235:                             ;   in Loop: Header=BB6_5548 Depth=3
	s_xor_b32 s16, exec_lo, -1
; %bb.6236:                             ;   in Loop: Header=BB6_5548 Depth=3
	s_or_b32 exec_lo, exec_lo, s23
	s_and_b32 s16, s16, exec_lo
	s_or_saveexec_b32 s22, s22
	v_mov_b32_e32 v1, 0x7f800001
	s_xor_b32 exec_lo, exec_lo, s22
	s_cbranch_execnz .LBB6_8003
.LBB6_6237:                             ;   in Loop: Header=BB6_5548 Depth=3
	s_or_b32 exec_lo, exec_lo, s22
	s_and_saveexec_b32 s22, s16
	s_cbranch_execz .LBB6_6239
.LBB6_6238:                             ;   in Loop: Header=BB6_5548 Depth=3
	v_bfe_u32 v1, v32, 24, 3
	v_bfe_u32 v28, v32, 27, 4
	v_ffbh_u32_e32 v4, v1
	v_cmp_eq_u32_e32 vcc_lo, 0, v28
	v_min_u32_e32 v4, 32, v4
	v_subrev_nc_u32_e32 v5, 28, v4
	v_sub_nc_u32_e32 v4, 29, v4
	v_lshlrev_b32_sdwa v5, v5, v32 dst_sel:DWORD dst_unused:UNUSED_PAD src0_sel:DWORD src1_sel:BYTE_3
	v_cndmask_b32_e32 v4, v28, v4, vcc_lo
	v_and_b32_e32 v5, 7, v5
	v_lshl_add_u32 v4, v4, 23, 0x3b800000
	v_cndmask_b32_e32 v1, v1, v5, vcc_lo
	v_and_b32_e32 v5, 0x80000000, v32
	v_lshlrev_b32_e32 v1, 20, v1
	v_or3_b32 v1, v5, v4, v1
.LBB6_6239:                             ;   in Loop: Header=BB6_5548 Depth=3
	s_or_b32 exec_lo, exec_lo, s22
	s_waitcnt vmcnt(2)
	v_cmp_gt_i16_sdwa s22, v24, v61 src0_sel:BYTE_3 src1_sel:DWORD
	s_mov_b32 s16, 0
	s_and_saveexec_b32 s23, s22
	s_xor_b32 s22, exec_lo, s23
	s_cbranch_execz .LBB6_8004
; %bb.6240:                             ;   in Loop: Header=BB6_5548 Depth=3
	v_cmp_eq_u16_sdwa s73, v24, v62 src0_sel:BYTE_3 src1_sel:DWORD
	s_mov_b32 s16, -1
	s_and_saveexec_b32 s23, s73
; %bb.6241:                             ;   in Loop: Header=BB6_5548 Depth=3
	s_xor_b32 s16, exec_lo, -1
; %bb.6242:                             ;   in Loop: Header=BB6_5548 Depth=3
	s_or_b32 exec_lo, exec_lo, s23
	s_and_b32 s16, s16, exec_lo
	s_or_saveexec_b32 s22, s22
	v_mov_b32_e32 v4, 0x7f800001
	s_xor_b32 exec_lo, exec_lo, s22
	s_cbranch_execnz .LBB6_8005
.LBB6_6243:                             ;   in Loop: Header=BB6_5548 Depth=3
	s_or_b32 exec_lo, exec_lo, s22
	s_and_saveexec_b32 s22, s16
	s_cbranch_execz .LBB6_6245
.LBB6_6244:                             ;   in Loop: Header=BB6_5548 Depth=3
	v_bfe_u32 v4, v24, 24, 3
	v_bfe_u32 v29, v24, 27, 4
	v_ffbh_u32_e32 v5, v4
	v_cmp_eq_u32_e32 vcc_lo, 0, v29
	v_min_u32_e32 v5, 32, v5
	v_subrev_nc_u32_e32 v28, 28, v5
	v_sub_nc_u32_e32 v5, 29, v5
	v_lshlrev_b32_sdwa v28, v28, v24 dst_sel:DWORD dst_unused:UNUSED_PAD src0_sel:DWORD src1_sel:BYTE_3
	v_cndmask_b32_e32 v5, v29, v5, vcc_lo
	v_and_b32_e32 v28, 7, v28
	v_lshl_add_u32 v5, v5, 23, 0x3b800000
	v_cndmask_b32_e32 v4, v4, v28, vcc_lo
	v_and_b32_e32 v28, 0x80000000, v24
	v_lshlrev_b32_e32 v4, 20, v4
	v_or3_b32 v4, v28, v5, v4
.LBB6_6245:                             ;   in Loop: Header=BB6_5548 Depth=3
	s_or_b32 exec_lo, exec_lo, s22
	v_max_f32_e32 v4, v4, v4
	v_max_f32_e32 v1, v1, v1
	s_mov_b32 s16, 0
	v_max_f32_e32 v1, v1, v4
.LBB6_6246:                             ;   in Loop: Header=BB6_5548 Depth=3
	s_and_b32 vcc_lo, exec_lo, s16
	s_cbranch_vccz .LBB6_6260
; %bb.6247:                             ;   in Loop: Header=BB6_5548 Depth=3
	v_cmp_gt_i16_sdwa s22, v32, v61 src0_sel:BYTE_3 src1_sel:DWORD
	s_mov_b32 s16, 0
	s_and_saveexec_b32 s23, s22
	s_xor_b32 s22, exec_lo, s23
	s_cbranch_execz .LBB6_8006
; %bb.6248:                             ;   in Loop: Header=BB6_5548 Depth=3
	v_cmp_eq_u16_sdwa s73, v32, v62 src0_sel:BYTE_3 src1_sel:DWORD
	s_mov_b32 s16, -1
	s_and_saveexec_b32 s23, s73
; %bb.6249:                             ;   in Loop: Header=BB6_5548 Depth=3
	s_xor_b32 s16, exec_lo, -1
; %bb.6250:                             ;   in Loop: Header=BB6_5548 Depth=3
	s_or_b32 exec_lo, exec_lo, s23
	s_and_b32 s16, s16, exec_lo
	s_or_saveexec_b32 s22, s22
	v_mov_b32_e32 v1, 0x7f800001
	s_xor_b32 exec_lo, exec_lo, s22
	s_cbranch_execnz .LBB6_8007
.LBB6_6251:                             ;   in Loop: Header=BB6_5548 Depth=3
	s_or_b32 exec_lo, exec_lo, s22
	s_and_saveexec_b32 s22, s16
	s_cbranch_execz .LBB6_6253
.LBB6_6252:                             ;   in Loop: Header=BB6_5548 Depth=3
	v_bfe_u32 v1, v32, 24, 3
	v_bfe_u32 v28, v32, 27, 4
	v_ffbh_u32_e32 v4, v1
	v_cmp_eq_u32_e32 vcc_lo, 0, v28
	v_min_u32_e32 v4, 32, v4
	v_subrev_nc_u32_e32 v5, 28, v4
	v_sub_nc_u32_e32 v4, 29, v4
	v_lshlrev_b32_sdwa v5, v5, v32 dst_sel:DWORD dst_unused:UNUSED_PAD src0_sel:DWORD src1_sel:BYTE_3
	v_cndmask_b32_e32 v4, v28, v4, vcc_lo
	v_and_b32_e32 v5, 7, v5
	v_lshl_add_u32 v4, v4, 23, 0x3b800000
	v_cndmask_b32_e32 v1, v1, v5, vcc_lo
	v_and_b32_e32 v5, 0x80000000, v32
	v_lshlrev_b32_e32 v1, 20, v1
	v_or3_b32 v1, v5, v4, v1
.LBB6_6253:                             ;   in Loop: Header=BB6_5548 Depth=3
	s_or_b32 exec_lo, exec_lo, s22
	s_waitcnt vmcnt(2)
	v_cmp_gt_i16_sdwa s22, v24, v61 src0_sel:BYTE_3 src1_sel:DWORD
	s_mov_b32 s16, 0
	s_and_saveexec_b32 s23, s22
	s_xor_b32 s22, exec_lo, s23
	s_cbranch_execz .LBB6_8008
; %bb.6254:                             ;   in Loop: Header=BB6_5548 Depth=3
	v_cmp_eq_u16_sdwa s73, v24, v62 src0_sel:BYTE_3 src1_sel:DWORD
	s_mov_b32 s16, -1
	s_and_saveexec_b32 s23, s73
; %bb.6255:                             ;   in Loop: Header=BB6_5548 Depth=3
	s_xor_b32 s16, exec_lo, -1
; %bb.6256:                             ;   in Loop: Header=BB6_5548 Depth=3
	s_or_b32 exec_lo, exec_lo, s23
	s_and_b32 s16, s16, exec_lo
	s_or_saveexec_b32 s22, s22
	v_mov_b32_e32 v4, 0x7f800001
	s_xor_b32 exec_lo, exec_lo, s22
	s_cbranch_execnz .LBB6_8009
.LBB6_6257:                             ;   in Loop: Header=BB6_5548 Depth=3
	s_or_b32 exec_lo, exec_lo, s22
	s_and_saveexec_b32 s22, s16
	s_cbranch_execz .LBB6_6259
.LBB6_6258:                             ;   in Loop: Header=BB6_5548 Depth=3
	v_bfe_u32 v4, v24, 24, 3
	v_bfe_u32 v29, v24, 27, 4
	v_ffbh_u32_e32 v5, v4
	v_cmp_eq_u32_e32 vcc_lo, 0, v29
	v_min_u32_e32 v5, 32, v5
	v_subrev_nc_u32_e32 v28, 28, v5
	v_sub_nc_u32_e32 v5, 29, v5
	v_lshlrev_b32_sdwa v28, v28, v24 dst_sel:DWORD dst_unused:UNUSED_PAD src0_sel:DWORD src1_sel:BYTE_3
	v_cndmask_b32_e32 v5, v29, v5, vcc_lo
	v_and_b32_e32 v24, 0x80000000, v24
	v_and_b32_e32 v28, 7, v28
	v_lshl_add_u32 v5, v5, 23, 0x3b800000
	v_cndmask_b32_e32 v4, v4, v28, vcc_lo
	v_lshlrev_b32_e32 v4, 20, v4
	v_or3_b32 v4, v24, v5, v4
.LBB6_6259:                             ;   in Loop: Header=BB6_5548 Depth=3
	s_or_b32 exec_lo, exec_lo, s22
	v_max_f32_e32 v4, v4, v4
	v_max_f32_e32 v1, v1, v1
	v_min_f32_e32 v1, v1, v4
.LBB6_6260:                             ;   in Loop: Header=BB6_5548 Depth=3
	v_and_b32_e32 v4, 0x7f800000, v1
	s_waitcnt vmcnt(2)
	v_mov_b32_e32 v24, 0x8000
	s_mov_b32 s22, exec_lo
	v_cmpx_ne_u32_e32 0x7f800000, v4
	s_cbranch_execz .LBB6_6268
; %bb.6261:                             ;   in Loop: Header=BB6_5548 Depth=3
	v_mov_b32_e32 v24, 0
	s_mov_b32 s23, exec_lo
	v_cmpx_ne_u32_e32 0, v1
	s_cbranch_execz .LBB6_6267
; %bb.6262:                             ;   in Loop: Header=BB6_5548 Depth=3
	v_bfe_u32 v5, v1, 23, 8
	v_and_b32_e32 v4, 0x7fffff, v1
	v_cmp_gt_u32_e64 s16, 0x79, v5
	v_sub_nc_u32_e32 v24, 0x78, v5
	v_cmp_eq_u32_e32 vcc_lo, 0, v5
	v_or_b32_e32 v28, 0x800000, v4
	v_cndmask_b32_e64 v24, 0, v24, s16
	v_cndmask_b32_e32 v4, v28, v4, vcc_lo
	v_cndmask_b32_e64 v24, v24, 0x77, vcc_lo
	v_lshl_add_u32 v28, 0x100000, v24, -1
	v_lshlrev_b32_e64 v29, v24, 0x80000
	v_and_b32_e32 v28, v28, v4
	v_cmp_eq_u32_e64 s16, v28, v29
	v_lshrrev_b32_e32 v28, v24, v4
	v_add_nc_u32_e32 v4, 0xffffff89, v5
	v_lshrrev_b32_e32 v5, 23, v28
	v_cndmask_b32_e64 v4, v4, 0xffffff8a, vcc_lo
	v_xor_b32_e32 v5, 1, v5
	v_add_nc_u32_e32 v4, v24, v4
	v_bfe_u32 v24, v28, 20, 1
	v_add_nc_u32_e32 v24, -1, v24
	v_cndmask_b32_e64 v24, 0, v24, s16
	s_mov_b32 s16, exec_lo
	v_add_nc_u32_e32 v24, v24, v28
	v_and_b32_e32 v24, 0xfffff, v24
	v_add_nc_u32_e32 v24, v24, v28
                                        ; implicit-def: $vgpr28
	v_cmpx_ne_u32_e64 v4, v5
	s_xor_b32 s16, exec_lo, s16
; %bb.6263:                             ;   in Loop: Header=BB6_5548 Depth=3
	v_cmp_lt_u32_e32 vcc_lo, 0xffffff, v24
	v_sub_nc_u32_e32 v4, v4, v5
	v_cndmask_b32_e64 v5, 0, 1, vcc_lo
	v_add_co_ci_u32_e64 v28, null, 0, v4, vcc_lo
	v_lshrrev_b32_e32 v24, v5, v24
; %bb.6264:                             ;   in Loop: Header=BB6_5548 Depth=3
	s_andn2_saveexec_b32 s16, s16
; %bb.6265:                             ;   in Loop: Header=BB6_5548 Depth=3
	v_bfe_u32 v28, v24, 23, 1
; %bb.6266:                             ;   in Loop: Header=BB6_5548 Depth=3
	s_or_b32 exec_lo, exec_lo, s16
	v_lshrrev_b32_e32 v4, 20, v24
	v_min_i32_e32 v5, 15, v28
	v_cmp_gt_i32_e32 vcc_lo, 16, v28
	v_and_b32_sdwa v1, v1, v62 dst_sel:DWORD dst_unused:UNUSED_PAD src0_sel:BYTE_3 src1_sel:DWORD
	v_lshlrev_b32_e32 v5, 3, v5
	v_cndmask_b32_e32 v4, 7, v4, vcc_lo
	v_and_b32_e32 v5, 0xf8, v5
	v_or_b32_e32 v24, v28, v4
	v_and_b32_e32 v4, 7, v4
	v_cmp_ne_u32_e32 vcc_lo, 0, v24
	v_or3_b32 v1, v1, v5, v4
	v_lshlrev_b32_e32 v1, 8, v1
	v_cndmask_b32_e32 v24, 0, v1, vcc_lo
.LBB6_6267:                             ;   in Loop: Header=BB6_5548 Depth=3
	s_or_b32 exec_lo, exec_lo, s23
.LBB6_6268:                             ;   in Loop: Header=BB6_5548 Depth=3
	s_or_b32 exec_lo, exec_lo, s22
	v_cmp_gt_i16_sdwa s23, v33, v61 src0_sel:BYTE_0 src1_sel:DWORD
	s_andn2_b32 vcc_lo, exec_lo, s19
	s_mov_b32 s16, -1
                                        ; implicit-def: $vgpr1
	s_cbranch_vccnz .LBB6_6282
; %bb.6269:                             ;   in Loop: Header=BB6_5548 Depth=3
	s_mov_b32 s22, 0
	s_and_saveexec_b32 s16, s23
	s_xor_b32 s16, exec_lo, s16
	s_cbranch_execz .LBB6_8010
; %bb.6270:                             ;   in Loop: Header=BB6_5548 Depth=3
	v_cmp_eq_u16_sdwa s73, v33, v62 src0_sel:BYTE_0 src1_sel:DWORD
	s_mov_b32 s22, -1
	s_and_saveexec_b32 s23, s73
; %bb.6271:                             ;   in Loop: Header=BB6_5548 Depth=3
	s_xor_b32 s22, exec_lo, -1
; %bb.6272:                             ;   in Loop: Header=BB6_5548 Depth=3
	s_or_b32 exec_lo, exec_lo, s23
	s_and_b32 s22, s22, exec_lo
	s_or_saveexec_b32 s16, s16
	v_mov_b32_e32 v1, 0x7f800001
	s_xor_b32 exec_lo, exec_lo, s16
	s_cbranch_execnz .LBB6_8011
.LBB6_6273:                             ;   in Loop: Header=BB6_5548 Depth=3
	s_or_b32 exec_lo, exec_lo, s16
	s_and_saveexec_b32 s16, s22
	s_cbranch_execz .LBB6_6275
.LBB6_6274:                             ;   in Loop: Header=BB6_5548 Depth=3
	v_and_b32_e32 v1, 7, v33
	v_bfe_u32 v4, v33, 3, 4
	v_ffbh_u32_e32 v5, v1
	v_cmp_eq_u32_e32 vcc_lo, 0, v4
	v_min_u32_e32 v5, 32, v5
	v_subrev_nc_u32_e32 v28, 28, v5
	v_sub_nc_u32_e32 v5, 29, v5
	v_lshlrev_b32_e32 v28, v28, v33
	v_cndmask_b32_e32 v4, v4, v5, vcc_lo
	v_lshlrev_b32_e32 v5, 24, v33
	v_and_b32_e32 v28, 7, v28
	v_lshl_add_u32 v4, v4, 23, 0x3b800000
	v_and_b32_e32 v5, 0x80000000, v5
	v_cndmask_b32_e32 v1, v1, v28, vcc_lo
	v_lshlrev_b32_e32 v1, 20, v1
	v_or3_b32 v1, v5, v4, v1
.LBB6_6275:                             ;   in Loop: Header=BB6_5548 Depth=3
	s_or_b32 exec_lo, exec_lo, s16
	v_cmp_gt_i16_sdwa s16, v25, v61 src0_sel:BYTE_0 src1_sel:DWORD
	s_mov_b32 s22, 0
	s_and_saveexec_b32 s23, s16
	s_xor_b32 s16, exec_lo, s23
	s_cbranch_execz .LBB6_8012
; %bb.6276:                             ;   in Loop: Header=BB6_5548 Depth=3
	v_cmp_eq_u16_sdwa s73, v25, v62 src0_sel:BYTE_0 src1_sel:DWORD
	s_mov_b32 s22, -1
	s_and_saveexec_b32 s23, s73
; %bb.6277:                             ;   in Loop: Header=BB6_5548 Depth=3
	s_xor_b32 s22, exec_lo, -1
; %bb.6278:                             ;   in Loop: Header=BB6_5548 Depth=3
	s_or_b32 exec_lo, exec_lo, s23
	s_and_b32 s22, s22, exec_lo
	s_or_saveexec_b32 s16, s16
	v_mov_b32_e32 v4, 0x7f800001
	s_xor_b32 exec_lo, exec_lo, s16
	s_cbranch_execnz .LBB6_8013
.LBB6_6279:                             ;   in Loop: Header=BB6_5548 Depth=3
	s_or_b32 exec_lo, exec_lo, s16
	s_and_saveexec_b32 s16, s22
	s_cbranch_execz .LBB6_6281
.LBB6_6280:                             ;   in Loop: Header=BB6_5548 Depth=3
	v_and_b32_e32 v4, 7, v25
	v_bfe_u32 v5, v25, 3, 4
	v_ffbh_u32_e32 v28, v4
	v_cmp_eq_u32_e32 vcc_lo, 0, v5
	v_min_u32_e32 v28, 32, v28
	v_subrev_nc_u32_e32 v29, 28, v28
	v_sub_nc_u32_e32 v28, 29, v28
	v_lshlrev_b32_e32 v29, v29, v25
	v_cndmask_b32_e32 v5, v5, v28, vcc_lo
	v_lshlrev_b32_e32 v28, 24, v25
	v_and_b32_e32 v29, 7, v29
	v_lshl_add_u32 v5, v5, 23, 0x3b800000
	v_and_b32_e32 v28, 0x80000000, v28
	v_cndmask_b32_e32 v4, v4, v29, vcc_lo
	v_lshlrev_b32_e32 v4, 20, v4
	v_or3_b32 v4, v28, v5, v4
.LBB6_6281:                             ;   in Loop: Header=BB6_5548 Depth=3
	s_or_b32 exec_lo, exec_lo, s16
	v_max_f32_e32 v4, v4, v4
	v_max_f32_e32 v1, v1, v1
	s_mov_b32 s16, 0
	v_max_f32_e32 v1, v1, v4
.LBB6_6282:                             ;   in Loop: Header=BB6_5548 Depth=3
	s_and_b32 vcc_lo, exec_lo, s16
	s_cbranch_vccz .LBB6_6296
; %bb.6283:                             ;   in Loop: Header=BB6_5548 Depth=3
	v_cmp_gt_i16_sdwa s16, v33, v61 src0_sel:BYTE_0 src1_sel:DWORD
	s_mov_b32 s22, 0
	s_and_saveexec_b32 s23, s16
	s_xor_b32 s16, exec_lo, s23
	s_cbranch_execz .LBB6_8014
; %bb.6284:                             ;   in Loop: Header=BB6_5548 Depth=3
	v_cmp_eq_u16_sdwa s73, v33, v62 src0_sel:BYTE_0 src1_sel:DWORD
	s_mov_b32 s22, -1
	s_and_saveexec_b32 s23, s73
; %bb.6285:                             ;   in Loop: Header=BB6_5548 Depth=3
	s_xor_b32 s22, exec_lo, -1
; %bb.6286:                             ;   in Loop: Header=BB6_5548 Depth=3
	s_or_b32 exec_lo, exec_lo, s23
	s_and_b32 s22, s22, exec_lo
	s_or_saveexec_b32 s16, s16
	v_mov_b32_e32 v1, 0x7f800001
	s_xor_b32 exec_lo, exec_lo, s16
	s_cbranch_execnz .LBB6_8015
.LBB6_6287:                             ;   in Loop: Header=BB6_5548 Depth=3
	s_or_b32 exec_lo, exec_lo, s16
	s_and_saveexec_b32 s16, s22
	s_cbranch_execz .LBB6_6289
.LBB6_6288:                             ;   in Loop: Header=BB6_5548 Depth=3
	v_and_b32_e32 v1, 7, v33
	v_bfe_u32 v4, v33, 3, 4
	v_ffbh_u32_e32 v5, v1
	v_cmp_eq_u32_e32 vcc_lo, 0, v4
	v_min_u32_e32 v5, 32, v5
	v_subrev_nc_u32_e32 v28, 28, v5
	v_sub_nc_u32_e32 v5, 29, v5
	v_lshlrev_b32_e32 v28, v28, v33
	v_cndmask_b32_e32 v4, v4, v5, vcc_lo
	v_lshlrev_b32_e32 v5, 24, v33
	v_and_b32_e32 v28, 7, v28
	v_lshl_add_u32 v4, v4, 23, 0x3b800000
	v_and_b32_e32 v5, 0x80000000, v5
	v_cndmask_b32_e32 v1, v1, v28, vcc_lo
	v_lshlrev_b32_e32 v1, 20, v1
	v_or3_b32 v1, v5, v4, v1
.LBB6_6289:                             ;   in Loop: Header=BB6_5548 Depth=3
	s_or_b32 exec_lo, exec_lo, s16
	v_cmp_gt_i16_sdwa s16, v25, v61 src0_sel:BYTE_0 src1_sel:DWORD
	s_mov_b32 s22, 0
	s_and_saveexec_b32 s23, s16
	s_xor_b32 s16, exec_lo, s23
	s_cbranch_execz .LBB6_8016
; %bb.6290:                             ;   in Loop: Header=BB6_5548 Depth=3
	v_cmp_eq_u16_sdwa s73, v25, v62 src0_sel:BYTE_0 src1_sel:DWORD
	s_mov_b32 s22, -1
	s_and_saveexec_b32 s23, s73
; %bb.6291:                             ;   in Loop: Header=BB6_5548 Depth=3
	s_xor_b32 s22, exec_lo, -1
; %bb.6292:                             ;   in Loop: Header=BB6_5548 Depth=3
	s_or_b32 exec_lo, exec_lo, s23
	s_and_b32 s22, s22, exec_lo
	s_or_saveexec_b32 s16, s16
	v_mov_b32_e32 v4, 0x7f800001
	s_xor_b32 exec_lo, exec_lo, s16
	s_cbranch_execnz .LBB6_8017
.LBB6_6293:                             ;   in Loop: Header=BB6_5548 Depth=3
	s_or_b32 exec_lo, exec_lo, s16
	s_and_saveexec_b32 s16, s22
	s_cbranch_execz .LBB6_6295
.LBB6_6294:                             ;   in Loop: Header=BB6_5548 Depth=3
	v_and_b32_e32 v4, 7, v25
	v_bfe_u32 v5, v25, 3, 4
	v_ffbh_u32_e32 v28, v4
	v_cmp_eq_u32_e32 vcc_lo, 0, v5
	v_min_u32_e32 v28, 32, v28
	v_subrev_nc_u32_e32 v29, 28, v28
	v_sub_nc_u32_e32 v28, 29, v28
	v_lshlrev_b32_e32 v29, v29, v25
	v_cndmask_b32_e32 v5, v5, v28, vcc_lo
	v_lshlrev_b32_e32 v28, 24, v25
	v_and_b32_e32 v29, 7, v29
	v_lshl_add_u32 v5, v5, 23, 0x3b800000
	v_and_b32_e32 v28, 0x80000000, v28
	v_cndmask_b32_e32 v4, v4, v29, vcc_lo
	v_lshlrev_b32_e32 v4, 20, v4
	v_or3_b32 v4, v28, v5, v4
.LBB6_6295:                             ;   in Loop: Header=BB6_5548 Depth=3
	s_or_b32 exec_lo, exec_lo, s16
	v_max_f32_e32 v4, v4, v4
	v_max_f32_e32 v1, v1, v1
	v_min_f32_e32 v1, v1, v4
.LBB6_6296:                             ;   in Loop: Header=BB6_5548 Depth=3
	v_and_b32_e32 v4, 0x7f800000, v1
	v_mov_b32_e32 v32, 0x80
	s_mov_b32 s22, exec_lo
	v_cmpx_ne_u32_e32 0x7f800000, v4
	s_cbranch_execz .LBB6_6304
; %bb.6297:                             ;   in Loop: Header=BB6_5548 Depth=3
	v_mov_b32_e32 v32, 0
	s_mov_b32 s23, exec_lo
	v_cmpx_ne_u32_e32 0, v1
	s_cbranch_execz .LBB6_6303
; %bb.6298:                             ;   in Loop: Header=BB6_5548 Depth=3
	v_bfe_u32 v5, v1, 23, 8
	v_and_b32_e32 v4, 0x7fffff, v1
	v_cmp_gt_u32_e64 s16, 0x79, v5
	v_sub_nc_u32_e32 v28, 0x78, v5
	v_cmp_eq_u32_e32 vcc_lo, 0, v5
	v_or_b32_e32 v29, 0x800000, v4
	v_cndmask_b32_e64 v28, 0, v28, s16
	v_cndmask_b32_e32 v4, v29, v4, vcc_lo
	v_cndmask_b32_e64 v28, v28, 0x77, vcc_lo
	v_lshl_add_u32 v29, 0x100000, v28, -1
	v_lshlrev_b32_e64 v31, v28, 0x80000
	v_and_b32_e32 v29, v29, v4
	v_cmp_eq_u32_e64 s16, v29, v31
	v_lshrrev_b32_e32 v29, v28, v4
	v_add_nc_u32_e32 v4, 0xffffff89, v5
	v_lshrrev_b32_e32 v5, 23, v29
	v_cndmask_b32_e64 v4, v4, 0xffffff8a, vcc_lo
	v_xor_b32_e32 v5, 1, v5
	v_add_nc_u32_e32 v4, v28, v4
	v_bfe_u32 v28, v29, 20, 1
	v_add_nc_u32_e32 v28, -1, v28
	v_cndmask_b32_e64 v28, 0, v28, s16
	s_mov_b32 s16, exec_lo
	v_add_nc_u32_e32 v28, v28, v29
	v_and_b32_e32 v28, 0xfffff, v28
	v_add_nc_u32_e32 v28, v28, v29
                                        ; implicit-def: $vgpr29
	v_cmpx_ne_u32_e64 v4, v5
	s_xor_b32 s16, exec_lo, s16
; %bb.6299:                             ;   in Loop: Header=BB6_5548 Depth=3
	v_cmp_lt_u32_e32 vcc_lo, 0xffffff, v28
	v_sub_nc_u32_e32 v4, v4, v5
	v_cndmask_b32_e64 v5, 0, 1, vcc_lo
	v_add_co_ci_u32_e64 v29, null, 0, v4, vcc_lo
	v_lshrrev_b32_e32 v28, v5, v28
; %bb.6300:                             ;   in Loop: Header=BB6_5548 Depth=3
	s_andn2_saveexec_b32 s16, s16
; %bb.6301:                             ;   in Loop: Header=BB6_5548 Depth=3
	v_bfe_u32 v29, v28, 23, 1
; %bb.6302:                             ;   in Loop: Header=BB6_5548 Depth=3
	s_or_b32 exec_lo, exec_lo, s16
	v_lshrrev_b32_e32 v4, 20, v28
	v_min_i32_e32 v5, 15, v29
	v_cmp_gt_i32_e32 vcc_lo, 16, v29
	v_and_b32_sdwa v1, v1, v62 dst_sel:DWORD dst_unused:UNUSED_PAD src0_sel:BYTE_3 src1_sel:DWORD
	v_lshlrev_b32_e32 v5, 3, v5
	v_cndmask_b32_e32 v4, 7, v4, vcc_lo
	v_and_b32_e32 v5, 0xf8, v5
	v_or_b32_e32 v28, v29, v4
	v_and_b32_e32 v4, 7, v4
	v_cmp_ne_u32_e32 vcc_lo, 0, v28
	v_or3_b32 v1, v5, v1, v4
	v_cndmask_b32_e32 v32, 0, v1, vcc_lo
.LBB6_6303:                             ;   in Loop: Header=BB6_5548 Depth=3
	s_or_b32 exec_lo, exec_lo, s23
.LBB6_6304:                             ;   in Loop: Header=BB6_5548 Depth=3
	s_or_b32 exec_lo, exec_lo, s22
	v_cmp_gt_i16_sdwa s22, v33, v61 src0_sel:BYTE_1 src1_sel:DWORD
	s_andn2_b32 vcc_lo, exec_lo, s19
	s_mov_b32 s16, -1
                                        ; implicit-def: $vgpr1
	s_cbranch_vccnz .LBB6_6318
; %bb.6305:                             ;   in Loop: Header=BB6_5548 Depth=3
	s_mov_b32 s16, 0
	s_and_saveexec_b32 s23, s22
	s_xor_b32 s22, exec_lo, s23
	s_cbranch_execz .LBB6_8018
; %bb.6306:                             ;   in Loop: Header=BB6_5548 Depth=3
	v_cmp_eq_u16_sdwa s73, v33, v62 src0_sel:BYTE_1 src1_sel:DWORD
	s_mov_b32 s16, -1
	s_and_saveexec_b32 s23, s73
; %bb.6307:                             ;   in Loop: Header=BB6_5548 Depth=3
	s_xor_b32 s16, exec_lo, -1
; %bb.6308:                             ;   in Loop: Header=BB6_5548 Depth=3
	s_or_b32 exec_lo, exec_lo, s23
	s_and_b32 s16, s16, exec_lo
	s_or_saveexec_b32 s22, s22
	v_mov_b32_e32 v1, 0x7f800001
	s_xor_b32 exec_lo, exec_lo, s22
	s_cbranch_execnz .LBB6_8019
.LBB6_6309:                             ;   in Loop: Header=BB6_5548 Depth=3
	s_or_b32 exec_lo, exec_lo, s22
	s_and_saveexec_b32 s22, s16
	s_cbranch_execz .LBB6_6311
.LBB6_6310:                             ;   in Loop: Header=BB6_5548 Depth=3
	v_and_b32_sdwa v1, v63, v33 dst_sel:DWORD dst_unused:UNUSED_PAD src0_sel:DWORD src1_sel:BYTE_1
	v_and_b32_e32 v4, 7, v1
	v_bfe_u32 v29, v1, 3, 4
	v_ffbh_u32_e32 v5, v4
	v_cmp_eq_u32_e32 vcc_lo, 0, v29
	v_min_u32_e32 v5, 32, v5
	v_subrev_nc_u32_e32 v28, 28, v5
	v_sub_nc_u32_e32 v5, 29, v5
	v_lshlrev_b32_e32 v1, v28, v1
	v_lshlrev_b32_e32 v28, 16, v33
	v_cndmask_b32_e32 v5, v29, v5, vcc_lo
	v_and_b32_e32 v1, 7, v1
	v_lshl_add_u32 v5, v5, 23, 0x3b800000
	v_cndmask_b32_e32 v1, v4, v1, vcc_lo
	v_and_b32_e32 v4, 0x80000000, v28
	v_lshlrev_b32_e32 v1, 20, v1
	v_or3_b32 v1, v4, v5, v1
.LBB6_6311:                             ;   in Loop: Header=BB6_5548 Depth=3
	s_or_b32 exec_lo, exec_lo, s22
	v_cmp_gt_i16_sdwa s22, v25, v61 src0_sel:BYTE_1 src1_sel:DWORD
	s_mov_b32 s16, 0
	s_and_saveexec_b32 s23, s22
	s_xor_b32 s22, exec_lo, s23
	s_cbranch_execz .LBB6_8020
; %bb.6312:                             ;   in Loop: Header=BB6_5548 Depth=3
	v_cmp_eq_u16_sdwa s73, v25, v62 src0_sel:BYTE_1 src1_sel:DWORD
	s_mov_b32 s16, -1
	s_and_saveexec_b32 s23, s73
; %bb.6313:                             ;   in Loop: Header=BB6_5548 Depth=3
	s_xor_b32 s16, exec_lo, -1
; %bb.6314:                             ;   in Loop: Header=BB6_5548 Depth=3
	s_or_b32 exec_lo, exec_lo, s23
	s_and_b32 s16, s16, exec_lo
	s_or_saveexec_b32 s22, s22
	v_mov_b32_e32 v4, 0x7f800001
	s_xor_b32 exec_lo, exec_lo, s22
	s_cbranch_execnz .LBB6_8021
.LBB6_6315:                             ;   in Loop: Header=BB6_5548 Depth=3
	s_or_b32 exec_lo, exec_lo, s22
	s_and_saveexec_b32 s22, s16
	s_cbranch_execz .LBB6_6317
.LBB6_6316:                             ;   in Loop: Header=BB6_5548 Depth=3
	v_and_b32_sdwa v4, v63, v25 dst_sel:DWORD dst_unused:UNUSED_PAD src0_sel:DWORD src1_sel:BYTE_1
	v_and_b32_e32 v5, 7, v4
	v_bfe_u32 v31, v4, 3, 4
	v_ffbh_u32_e32 v28, v5
	v_cmp_eq_u32_e32 vcc_lo, 0, v31
	v_min_u32_e32 v28, 32, v28
	v_subrev_nc_u32_e32 v29, 28, v28
	v_sub_nc_u32_e32 v28, 29, v28
	v_lshlrev_b32_e32 v4, v29, v4
	v_lshlrev_b32_e32 v29, 16, v25
	v_cndmask_b32_e32 v28, v31, v28, vcc_lo
	v_and_b32_e32 v4, 7, v4
	v_lshl_add_u32 v28, v28, 23, 0x3b800000
	v_cndmask_b32_e32 v4, v5, v4, vcc_lo
	v_and_b32_e32 v5, 0x80000000, v29
	v_lshlrev_b32_e32 v4, 20, v4
	v_or3_b32 v4, v5, v28, v4
.LBB6_6317:                             ;   in Loop: Header=BB6_5548 Depth=3
	s_or_b32 exec_lo, exec_lo, s22
	v_max_f32_e32 v4, v4, v4
	v_max_f32_e32 v1, v1, v1
	s_mov_b32 s16, 0
	v_max_f32_e32 v1, v1, v4
.LBB6_6318:                             ;   in Loop: Header=BB6_5548 Depth=3
	s_and_b32 vcc_lo, exec_lo, s16
	s_cbranch_vccz .LBB6_6332
; %bb.6319:                             ;   in Loop: Header=BB6_5548 Depth=3
	v_cmp_gt_i16_sdwa s22, v33, v61 src0_sel:BYTE_1 src1_sel:DWORD
	s_mov_b32 s16, 0
	s_and_saveexec_b32 s23, s22
	s_xor_b32 s22, exec_lo, s23
	s_cbranch_execz .LBB6_8022
; %bb.6320:                             ;   in Loop: Header=BB6_5548 Depth=3
	v_cmp_eq_u16_sdwa s73, v33, v62 src0_sel:BYTE_1 src1_sel:DWORD
	s_mov_b32 s16, -1
	s_and_saveexec_b32 s23, s73
; %bb.6321:                             ;   in Loop: Header=BB6_5548 Depth=3
	s_xor_b32 s16, exec_lo, -1
; %bb.6322:                             ;   in Loop: Header=BB6_5548 Depth=3
	s_or_b32 exec_lo, exec_lo, s23
	s_and_b32 s16, s16, exec_lo
	s_or_saveexec_b32 s22, s22
	v_mov_b32_e32 v1, 0x7f800001
	s_xor_b32 exec_lo, exec_lo, s22
	s_cbranch_execnz .LBB6_8023
.LBB6_6323:                             ;   in Loop: Header=BB6_5548 Depth=3
	s_or_b32 exec_lo, exec_lo, s22
	s_and_saveexec_b32 s22, s16
	s_cbranch_execz .LBB6_6325
.LBB6_6324:                             ;   in Loop: Header=BB6_5548 Depth=3
	v_and_b32_sdwa v1, v63, v33 dst_sel:DWORD dst_unused:UNUSED_PAD src0_sel:DWORD src1_sel:BYTE_1
	v_and_b32_e32 v4, 7, v1
	v_bfe_u32 v29, v1, 3, 4
	v_ffbh_u32_e32 v5, v4
	v_cmp_eq_u32_e32 vcc_lo, 0, v29
	v_min_u32_e32 v5, 32, v5
	v_subrev_nc_u32_e32 v28, 28, v5
	v_sub_nc_u32_e32 v5, 29, v5
	v_lshlrev_b32_e32 v1, v28, v1
	v_lshlrev_b32_e32 v28, 16, v33
	v_cndmask_b32_e32 v5, v29, v5, vcc_lo
	v_and_b32_e32 v1, 7, v1
	v_lshl_add_u32 v5, v5, 23, 0x3b800000
	v_cndmask_b32_e32 v1, v4, v1, vcc_lo
	v_and_b32_e32 v4, 0x80000000, v28
	v_lshlrev_b32_e32 v1, 20, v1
	v_or3_b32 v1, v4, v5, v1
.LBB6_6325:                             ;   in Loop: Header=BB6_5548 Depth=3
	s_or_b32 exec_lo, exec_lo, s22
	v_cmp_gt_i16_sdwa s22, v25, v61 src0_sel:BYTE_1 src1_sel:DWORD
	s_mov_b32 s16, 0
	s_and_saveexec_b32 s23, s22
	s_xor_b32 s22, exec_lo, s23
	s_cbranch_execz .LBB6_8024
; %bb.6326:                             ;   in Loop: Header=BB6_5548 Depth=3
	v_cmp_eq_u16_sdwa s73, v25, v62 src0_sel:BYTE_1 src1_sel:DWORD
	s_mov_b32 s16, -1
	s_and_saveexec_b32 s23, s73
; %bb.6327:                             ;   in Loop: Header=BB6_5548 Depth=3
	s_xor_b32 s16, exec_lo, -1
; %bb.6328:                             ;   in Loop: Header=BB6_5548 Depth=3
	s_or_b32 exec_lo, exec_lo, s23
	s_and_b32 s16, s16, exec_lo
	s_or_saveexec_b32 s22, s22
	v_mov_b32_e32 v4, 0x7f800001
	s_xor_b32 exec_lo, exec_lo, s22
	s_cbranch_execnz .LBB6_8025
.LBB6_6329:                             ;   in Loop: Header=BB6_5548 Depth=3
	s_or_b32 exec_lo, exec_lo, s22
	s_and_saveexec_b32 s22, s16
	s_cbranch_execz .LBB6_6331
.LBB6_6330:                             ;   in Loop: Header=BB6_5548 Depth=3
	v_and_b32_sdwa v4, v63, v25 dst_sel:DWORD dst_unused:UNUSED_PAD src0_sel:DWORD src1_sel:BYTE_1
	v_and_b32_e32 v5, 7, v4
	v_bfe_u32 v31, v4, 3, 4
	v_ffbh_u32_e32 v28, v5
	v_cmp_eq_u32_e32 vcc_lo, 0, v31
	v_min_u32_e32 v28, 32, v28
	v_subrev_nc_u32_e32 v29, 28, v28
	v_sub_nc_u32_e32 v28, 29, v28
	v_lshlrev_b32_e32 v4, v29, v4
	v_lshlrev_b32_e32 v29, 16, v25
	v_cndmask_b32_e32 v28, v31, v28, vcc_lo
	v_and_b32_e32 v4, 7, v4
	v_lshl_add_u32 v28, v28, 23, 0x3b800000
	v_cndmask_b32_e32 v4, v5, v4, vcc_lo
	v_and_b32_e32 v5, 0x80000000, v29
	v_lshlrev_b32_e32 v4, 20, v4
	v_or3_b32 v4, v5, v28, v4
.LBB6_6331:                             ;   in Loop: Header=BB6_5548 Depth=3
	s_or_b32 exec_lo, exec_lo, s22
	v_max_f32_e32 v4, v4, v4
	v_max_f32_e32 v1, v1, v1
	v_min_f32_e32 v1, v1, v4
.LBB6_6332:                             ;   in Loop: Header=BB6_5548 Depth=3
	v_and_b32_e32 v4, 0x7f800000, v1
	v_mov_b32_e32 v55, 0x8000
	s_mov_b32 s22, exec_lo
	v_cmpx_ne_u32_e32 0x7f800000, v4
	s_cbranch_execz .LBB6_6340
; %bb.6333:                             ;   in Loop: Header=BB6_5548 Depth=3
	v_mov_b32_e32 v55, 0
	s_mov_b32 s23, exec_lo
	v_cmpx_ne_u32_e32 0, v1
	s_cbranch_execz .LBB6_6339
; %bb.6334:                             ;   in Loop: Header=BB6_5548 Depth=3
	v_bfe_u32 v5, v1, 23, 8
	v_and_b32_e32 v4, 0x7fffff, v1
	v_cmp_gt_u32_e64 s16, 0x79, v5
	v_sub_nc_u32_e32 v28, 0x78, v5
	v_cmp_eq_u32_e32 vcc_lo, 0, v5
	v_or_b32_e32 v29, 0x800000, v4
	v_cndmask_b32_e64 v28, 0, v28, s16
	v_cndmask_b32_e32 v4, v29, v4, vcc_lo
	v_cndmask_b32_e64 v28, v28, 0x77, vcc_lo
	v_lshl_add_u32 v29, 0x100000, v28, -1
	v_lshlrev_b32_e64 v31, v28, 0x80000
	v_and_b32_e32 v29, v29, v4
	v_cmp_eq_u32_e64 s16, v29, v31
	v_lshrrev_b32_e32 v29, v28, v4
	v_add_nc_u32_e32 v4, 0xffffff89, v5
	v_lshrrev_b32_e32 v5, 23, v29
	v_cndmask_b32_e64 v4, v4, 0xffffff8a, vcc_lo
	v_xor_b32_e32 v5, 1, v5
	v_add_nc_u32_e32 v4, v28, v4
	v_bfe_u32 v28, v29, 20, 1
	v_add_nc_u32_e32 v28, -1, v28
	v_cndmask_b32_e64 v28, 0, v28, s16
	s_mov_b32 s16, exec_lo
	v_add_nc_u32_e32 v28, v28, v29
	v_and_b32_e32 v28, 0xfffff, v28
	v_add_nc_u32_e32 v28, v28, v29
                                        ; implicit-def: $vgpr29
	v_cmpx_ne_u32_e64 v4, v5
	s_xor_b32 s16, exec_lo, s16
; %bb.6335:                             ;   in Loop: Header=BB6_5548 Depth=3
	v_cmp_lt_u32_e32 vcc_lo, 0xffffff, v28
	v_sub_nc_u32_e32 v4, v4, v5
	v_cndmask_b32_e64 v5, 0, 1, vcc_lo
	v_add_co_ci_u32_e64 v29, null, 0, v4, vcc_lo
	v_lshrrev_b32_e32 v28, v5, v28
; %bb.6336:                             ;   in Loop: Header=BB6_5548 Depth=3
	s_andn2_saveexec_b32 s16, s16
; %bb.6337:                             ;   in Loop: Header=BB6_5548 Depth=3
	v_bfe_u32 v29, v28, 23, 1
; %bb.6338:                             ;   in Loop: Header=BB6_5548 Depth=3
	s_or_b32 exec_lo, exec_lo, s16
	v_lshrrev_b32_e32 v4, 20, v28
	v_min_i32_e32 v5, 15, v29
	v_cmp_gt_i32_e32 vcc_lo, 16, v29
	v_and_b32_sdwa v1, v1, v62 dst_sel:DWORD dst_unused:UNUSED_PAD src0_sel:BYTE_3 src1_sel:DWORD
	v_lshlrev_b32_e32 v5, 3, v5
	v_cndmask_b32_e32 v4, 7, v4, vcc_lo
	v_and_b32_e32 v5, 0xf8, v5
	v_or_b32_e32 v28, v29, v4
	v_and_b32_e32 v4, 7, v4
	v_cmp_ne_u32_e32 vcc_lo, 0, v28
	v_or3_b32 v1, v1, v5, v4
	v_lshlrev_b32_e32 v1, 8, v1
	v_cndmask_b32_e32 v55, 0, v1, vcc_lo
.LBB6_6339:                             ;   in Loop: Header=BB6_5548 Depth=3
	s_or_b32 exec_lo, exec_lo, s23
.LBB6_6340:                             ;   in Loop: Header=BB6_5548 Depth=3
	s_or_b32 exec_lo, exec_lo, s22
	v_and_b32_sdwa v1, v33, v72 dst_sel:DWORD dst_unused:UNUSED_PAD src0_sel:WORD_1 src1_sel:DWORD
	s_andn2_b32 vcc_lo, exec_lo, s19
	s_mov_b32 s22, -1
                                        ; implicit-def: $vgpr4
	v_cmp_lt_i16_e64 s16, 0x7f, v1
	s_cbranch_vccnz .LBB6_6354
; %bb.6341:                             ;   in Loop: Header=BB6_5548 Depth=3
	s_mov_b32 s22, 0
	s_and_saveexec_b32 s23, s16
	s_xor_b32 s16, exec_lo, s23
	s_cbranch_execz .LBB6_8026
; %bb.6342:                             ;   in Loop: Header=BB6_5548 Depth=3
	s_mov_b32 s22, -1
	s_mov_b32 s23, exec_lo
	v_cmpx_eq_u16_e32 0x80, v1
; %bb.6343:                             ;   in Loop: Header=BB6_5548 Depth=3
	s_xor_b32 s22, exec_lo, -1
; %bb.6344:                             ;   in Loop: Header=BB6_5548 Depth=3
	s_or_b32 exec_lo, exec_lo, s23
	s_and_b32 s22, s22, exec_lo
	s_or_saveexec_b32 s16, s16
	v_mov_b32_e32 v4, 0x7f800001
	s_xor_b32 exec_lo, exec_lo, s16
	s_cbranch_execnz .LBB6_8027
.LBB6_6345:                             ;   in Loop: Header=BB6_5548 Depth=3
	s_or_b32 exec_lo, exec_lo, s16
	s_and_saveexec_b32 s16, s22
	s_cbranch_execz .LBB6_6347
.LBB6_6346:                             ;   in Loop: Header=BB6_5548 Depth=3
	v_bfe_u32 v4, v33, 16, 3
	v_bfe_u32 v5, v33, 19, 4
	v_ffbh_u32_e32 v28, v4
	v_cmp_eq_u32_e32 vcc_lo, 0, v5
	v_min_u32_e32 v28, 32, v28
	v_subrev_nc_u32_e32 v29, 28, v28
	v_sub_nc_u32_e32 v28, 29, v28
	v_lshlrev_b32_sdwa v29, v29, v33 dst_sel:DWORD dst_unused:UNUSED_PAD src0_sel:DWORD src1_sel:WORD_1
	v_cndmask_b32_e32 v5, v5, v28, vcc_lo
	v_lshlrev_b32_sdwa v28, v73, v33 dst_sel:DWORD dst_unused:UNUSED_PAD src0_sel:DWORD src1_sel:WORD_1
	v_and_b32_e32 v29, 7, v29
	v_lshl_add_u32 v5, v5, 23, 0x3b800000
	v_and_b32_e32 v28, 0x80000000, v28
	v_cndmask_b32_e32 v4, v4, v29, vcc_lo
	v_lshlrev_b32_e32 v4, 20, v4
	v_or3_b32 v4, v28, v5, v4
.LBB6_6347:                             ;   in Loop: Header=BB6_5548 Depth=3
	s_or_b32 exec_lo, exec_lo, s16
	v_and_b32_sdwa v28, v25, v72 dst_sel:DWORD dst_unused:UNUSED_PAD src0_sel:WORD_1 src1_sel:DWORD
	s_mov_b32 s22, 0
	s_mov_b32 s16, exec_lo
	v_cmpx_lt_i16_e32 0x7f, v28
	s_xor_b32 s16, exec_lo, s16
	s_cbranch_execz .LBB6_8028
; %bb.6348:                             ;   in Loop: Header=BB6_5548 Depth=3
	s_mov_b32 s22, -1
	s_mov_b32 s23, exec_lo
	v_cmpx_eq_u16_e32 0x80, v28
; %bb.6349:                             ;   in Loop: Header=BB6_5548 Depth=3
	s_xor_b32 s22, exec_lo, -1
; %bb.6350:                             ;   in Loop: Header=BB6_5548 Depth=3
	s_or_b32 exec_lo, exec_lo, s23
	s_and_b32 s22, s22, exec_lo
                                        ; implicit-def: $vgpr28
	s_or_saveexec_b32 s16, s16
	v_mov_b32_e32 v5, 0x7f800001
	s_xor_b32 exec_lo, exec_lo, s16
	s_cbranch_execnz .LBB6_8029
.LBB6_6351:                             ;   in Loop: Header=BB6_5548 Depth=3
	s_or_b32 exec_lo, exec_lo, s16
	s_and_saveexec_b32 s16, s22
	s_cbranch_execz .LBB6_6353
.LBB6_6352:                             ;   in Loop: Header=BB6_5548 Depth=3
	v_bfe_u32 v5, v25, 16, 3
	v_bfe_u32 v28, v25, 19, 4
	v_ffbh_u32_e32 v29, v5
	v_cmp_eq_u32_e32 vcc_lo, 0, v28
	v_min_u32_e32 v29, 32, v29
	v_subrev_nc_u32_e32 v31, 28, v29
	v_sub_nc_u32_e32 v29, 29, v29
	v_lshlrev_b32_sdwa v31, v31, v25 dst_sel:DWORD dst_unused:UNUSED_PAD src0_sel:DWORD src1_sel:WORD_1
	v_cndmask_b32_e32 v28, v28, v29, vcc_lo
	v_lshlrev_b32_sdwa v29, v73, v25 dst_sel:DWORD dst_unused:UNUSED_PAD src0_sel:DWORD src1_sel:WORD_1
	v_and_b32_e32 v31, 7, v31
	v_lshl_add_u32 v28, v28, 23, 0x3b800000
	v_and_b32_e32 v29, 0x80000000, v29
	v_cndmask_b32_e32 v5, v5, v31, vcc_lo
	v_lshlrev_b32_e32 v5, 20, v5
	v_or3_b32 v5, v29, v28, v5
.LBB6_6353:                             ;   in Loop: Header=BB6_5548 Depth=3
	s_or_b32 exec_lo, exec_lo, s16
	v_max_f32_e32 v5, v5, v5
	v_max_f32_e32 v4, v4, v4
	s_mov_b32 s22, 0
	v_max_f32_e32 v4, v4, v5
.LBB6_6354:                             ;   in Loop: Header=BB6_5548 Depth=3
	s_and_b32 vcc_lo, exec_lo, s22
	s_cbranch_vccz .LBB6_6368
; %bb.6355:                             ;   in Loop: Header=BB6_5548 Depth=3
	s_mov_b32 s22, 0
	s_mov_b32 s16, exec_lo
	v_cmpx_lt_i16_e32 0x7f, v1
	s_xor_b32 s16, exec_lo, s16
	s_cbranch_execz .LBB6_8030
; %bb.6356:                             ;   in Loop: Header=BB6_5548 Depth=3
	s_mov_b32 s22, -1
	s_mov_b32 s23, exec_lo
	v_cmpx_eq_u16_e32 0x80, v1
; %bb.6357:                             ;   in Loop: Header=BB6_5548 Depth=3
	s_xor_b32 s22, exec_lo, -1
; %bb.6358:                             ;   in Loop: Header=BB6_5548 Depth=3
	s_or_b32 exec_lo, exec_lo, s23
	s_and_b32 s22, s22, exec_lo
                                        ; implicit-def: $vgpr1
	s_or_saveexec_b32 s16, s16
	v_mov_b32_e32 v4, 0x7f800001
	s_xor_b32 exec_lo, exec_lo, s16
	s_cbranch_execnz .LBB6_8031
.LBB6_6359:                             ;   in Loop: Header=BB6_5548 Depth=3
	s_or_b32 exec_lo, exec_lo, s16
	s_and_saveexec_b32 s16, s22
	s_cbranch_execz .LBB6_6361
.LBB6_6360:                             ;   in Loop: Header=BB6_5548 Depth=3
	v_bfe_u32 v1, v33, 16, 3
	v_bfe_u32 v4, v33, 19, 4
	v_ffbh_u32_e32 v5, v1
	v_cmp_eq_u32_e32 vcc_lo, 0, v4
	v_min_u32_e32 v5, 32, v5
	v_subrev_nc_u32_e32 v28, 28, v5
	v_sub_nc_u32_e32 v5, 29, v5
	v_lshlrev_b32_sdwa v28, v28, v33 dst_sel:DWORD dst_unused:UNUSED_PAD src0_sel:DWORD src1_sel:WORD_1
	v_cndmask_b32_e32 v4, v4, v5, vcc_lo
	v_lshlrev_b32_sdwa v5, v73, v33 dst_sel:DWORD dst_unused:UNUSED_PAD src0_sel:DWORD src1_sel:WORD_1
	v_and_b32_e32 v28, 7, v28
	v_lshl_add_u32 v4, v4, 23, 0x3b800000
	v_and_b32_e32 v5, 0x80000000, v5
	v_cndmask_b32_e32 v1, v1, v28, vcc_lo
	v_lshlrev_b32_e32 v1, 20, v1
	v_or3_b32 v4, v5, v4, v1
.LBB6_6361:                             ;   in Loop: Header=BB6_5548 Depth=3
	s_or_b32 exec_lo, exec_lo, s16
	v_and_b32_sdwa v5, v25, v72 dst_sel:DWORD dst_unused:UNUSED_PAD src0_sel:WORD_1 src1_sel:DWORD
	s_mov_b32 s22, 0
	s_mov_b32 s16, exec_lo
	v_cmpx_lt_i16_e32 0x7f, v5
	s_xor_b32 s16, exec_lo, s16
	s_cbranch_execz .LBB6_8032
; %bb.6362:                             ;   in Loop: Header=BB6_5548 Depth=3
	s_mov_b32 s22, -1
	s_mov_b32 s23, exec_lo
	v_cmpx_eq_u16_e32 0x80, v5
; %bb.6363:                             ;   in Loop: Header=BB6_5548 Depth=3
	s_xor_b32 s22, exec_lo, -1
; %bb.6364:                             ;   in Loop: Header=BB6_5548 Depth=3
	s_or_b32 exec_lo, exec_lo, s23
	s_and_b32 s22, s22, exec_lo
                                        ; implicit-def: $vgpr5
	s_or_saveexec_b32 s16, s16
	v_mov_b32_e32 v1, 0x7f800001
	s_xor_b32 exec_lo, exec_lo, s16
	s_cbranch_execnz .LBB6_8033
.LBB6_6365:                             ;   in Loop: Header=BB6_5548 Depth=3
	s_or_b32 exec_lo, exec_lo, s16
	s_and_saveexec_b32 s16, s22
	s_cbranch_execz .LBB6_6367
.LBB6_6366:                             ;   in Loop: Header=BB6_5548 Depth=3
	v_bfe_u32 v1, v25, 16, 3
	v_bfe_u32 v5, v25, 19, 4
	v_ffbh_u32_e32 v28, v1
	v_cmp_eq_u32_e32 vcc_lo, 0, v5
	v_min_u32_e32 v28, 32, v28
	v_subrev_nc_u32_e32 v29, 28, v28
	v_sub_nc_u32_e32 v28, 29, v28
	v_lshlrev_b32_sdwa v29, v29, v25 dst_sel:DWORD dst_unused:UNUSED_PAD src0_sel:DWORD src1_sel:WORD_1
	v_cndmask_b32_e32 v5, v5, v28, vcc_lo
	v_lshlrev_b32_sdwa v28, v73, v25 dst_sel:DWORD dst_unused:UNUSED_PAD src0_sel:DWORD src1_sel:WORD_1
	v_and_b32_e32 v29, 7, v29
	v_lshl_add_u32 v5, v5, 23, 0x3b800000
	v_and_b32_e32 v28, 0x80000000, v28
	v_cndmask_b32_e32 v1, v1, v29, vcc_lo
	v_lshlrev_b32_e32 v1, 20, v1
	v_or3_b32 v1, v28, v5, v1
.LBB6_6367:                             ;   in Loop: Header=BB6_5548 Depth=3
	s_or_b32 exec_lo, exec_lo, s16
	v_max_f32_e32 v1, v1, v1
	v_max_f32_e32 v4, v4, v4
	v_min_f32_e32 v4, v4, v1
.LBB6_6368:                             ;   in Loop: Header=BB6_5548 Depth=3
	v_and_b32_e32 v1, 0x7f800000, v4
	v_mov_b32_e32 v28, 0x80
	s_mov_b32 s22, exec_lo
	v_cmpx_ne_u32_e32 0x7f800000, v1
	s_cbranch_execz .LBB6_6376
; %bb.6369:                             ;   in Loop: Header=BB6_5548 Depth=3
	v_mov_b32_e32 v28, 0
	s_mov_b32 s23, exec_lo
	v_cmpx_ne_u32_e32 0, v4
	s_cbranch_execz .LBB6_6375
; %bb.6370:                             ;   in Loop: Header=BB6_5548 Depth=3
	v_bfe_u32 v5, v4, 23, 8
	v_and_b32_e32 v1, 0x7fffff, v4
	v_cmp_gt_u32_e64 s16, 0x79, v5
	v_sub_nc_u32_e32 v28, 0x78, v5
	v_cmp_eq_u32_e32 vcc_lo, 0, v5
	v_or_b32_e32 v29, 0x800000, v1
	v_cndmask_b32_e64 v28, 0, v28, s16
	v_cndmask_b32_e32 v1, v29, v1, vcc_lo
	v_cndmask_b32_e64 v28, v28, 0x77, vcc_lo
	v_lshl_add_u32 v29, 0x100000, v28, -1
	v_lshlrev_b32_e64 v31, v28, 0x80000
	v_and_b32_e32 v29, v29, v1
	v_cmp_eq_u32_e64 s16, v29, v31
	v_lshrrev_b32_e32 v29, v28, v1
	v_add_nc_u32_e32 v1, 0xffffff89, v5
	v_lshrrev_b32_e32 v5, 23, v29
	v_cndmask_b32_e64 v1, v1, 0xffffff8a, vcc_lo
	v_xor_b32_e32 v5, 1, v5
	v_add_nc_u32_e32 v1, v28, v1
	v_bfe_u32 v28, v29, 20, 1
	v_add_nc_u32_e32 v28, -1, v28
	v_cndmask_b32_e64 v28, 0, v28, s16
	s_mov_b32 s16, exec_lo
	v_add_nc_u32_e32 v28, v28, v29
	v_and_b32_e32 v28, 0xfffff, v28
	v_add_nc_u32_e32 v28, v28, v29
                                        ; implicit-def: $vgpr29
	v_cmpx_ne_u32_e64 v1, v5
	s_xor_b32 s16, exec_lo, s16
; %bb.6371:                             ;   in Loop: Header=BB6_5548 Depth=3
	v_cmp_lt_u32_e32 vcc_lo, 0xffffff, v28
	v_sub_nc_u32_e32 v1, v1, v5
	v_cndmask_b32_e64 v5, 0, 1, vcc_lo
	v_add_co_ci_u32_e64 v29, null, 0, v1, vcc_lo
	v_lshrrev_b32_e32 v28, v5, v28
; %bb.6372:                             ;   in Loop: Header=BB6_5548 Depth=3
	s_andn2_saveexec_b32 s16, s16
; %bb.6373:                             ;   in Loop: Header=BB6_5548 Depth=3
	v_bfe_u32 v29, v28, 23, 1
; %bb.6374:                             ;   in Loop: Header=BB6_5548 Depth=3
	s_or_b32 exec_lo, exec_lo, s16
	v_and_b32_sdwa v1, v4, v62 dst_sel:DWORD dst_unused:UNUSED_PAD src0_sel:BYTE_3 src1_sel:DWORD
	v_lshrrev_b32_e32 v4, 20, v28
	v_min_i32_e32 v5, 15, v29
	v_cmp_gt_i32_e32 vcc_lo, 16, v29
	v_lshlrev_b32_e32 v5, 3, v5
	v_cndmask_b32_e32 v4, 7, v4, vcc_lo
	v_and_b32_e32 v5, 0xf8, v5
	v_or_b32_e32 v28, v29, v4
	v_and_b32_e32 v4, 7, v4
	v_cmp_ne_u32_e32 vcc_lo, 0, v28
	v_or3_b32 v1, v5, v1, v4
	v_cndmask_b32_e32 v28, 0, v1, vcc_lo
.LBB6_6375:                             ;   in Loop: Header=BB6_5548 Depth=3
	s_or_b32 exec_lo, exec_lo, s23
.LBB6_6376:                             ;   in Loop: Header=BB6_5548 Depth=3
	s_or_b32 exec_lo, exec_lo, s22
	v_cmp_gt_i16_sdwa s22, v33, v61 src0_sel:BYTE_3 src1_sel:DWORD
	s_andn2_b32 vcc_lo, exec_lo, s19
	s_mov_b32 s16, -1
                                        ; implicit-def: $vgpr1
	s_cbranch_vccnz .LBB6_6390
; %bb.6377:                             ;   in Loop: Header=BB6_5548 Depth=3
	s_mov_b32 s16, 0
	s_and_saveexec_b32 s23, s22
	s_xor_b32 s22, exec_lo, s23
	s_cbranch_execz .LBB6_8034
; %bb.6378:                             ;   in Loop: Header=BB6_5548 Depth=3
	v_cmp_eq_u16_sdwa s73, v33, v62 src0_sel:BYTE_3 src1_sel:DWORD
	s_mov_b32 s16, -1
	s_and_saveexec_b32 s23, s73
; %bb.6379:                             ;   in Loop: Header=BB6_5548 Depth=3
	s_xor_b32 s16, exec_lo, -1
; %bb.6380:                             ;   in Loop: Header=BB6_5548 Depth=3
	s_or_b32 exec_lo, exec_lo, s23
	s_and_b32 s16, s16, exec_lo
	s_or_saveexec_b32 s22, s22
	v_mov_b32_e32 v1, 0x7f800001
	s_xor_b32 exec_lo, exec_lo, s22
	s_cbranch_execnz .LBB6_8035
.LBB6_6381:                             ;   in Loop: Header=BB6_5548 Depth=3
	s_or_b32 exec_lo, exec_lo, s22
	s_and_saveexec_b32 s22, s16
	s_cbranch_execz .LBB6_6383
.LBB6_6382:                             ;   in Loop: Header=BB6_5548 Depth=3
	v_bfe_u32 v1, v33, 24, 3
	v_bfe_u32 v29, v33, 27, 4
	v_ffbh_u32_e32 v4, v1
	v_cmp_eq_u32_e32 vcc_lo, 0, v29
	v_min_u32_e32 v4, 32, v4
	v_subrev_nc_u32_e32 v5, 28, v4
	v_sub_nc_u32_e32 v4, 29, v4
	v_lshlrev_b32_sdwa v5, v5, v33 dst_sel:DWORD dst_unused:UNUSED_PAD src0_sel:DWORD src1_sel:BYTE_3
	v_cndmask_b32_e32 v4, v29, v4, vcc_lo
	v_and_b32_e32 v5, 7, v5
	v_lshl_add_u32 v4, v4, 23, 0x3b800000
	v_cndmask_b32_e32 v1, v1, v5, vcc_lo
	v_and_b32_e32 v5, 0x80000000, v33
	v_lshlrev_b32_e32 v1, 20, v1
	v_or3_b32 v1, v5, v4, v1
.LBB6_6383:                             ;   in Loop: Header=BB6_5548 Depth=3
	s_or_b32 exec_lo, exec_lo, s22
	v_cmp_gt_i16_sdwa s22, v25, v61 src0_sel:BYTE_3 src1_sel:DWORD
	s_mov_b32 s16, 0
	s_and_saveexec_b32 s23, s22
	s_xor_b32 s22, exec_lo, s23
	s_cbranch_execz .LBB6_8036
; %bb.6384:                             ;   in Loop: Header=BB6_5548 Depth=3
	v_cmp_eq_u16_sdwa s73, v25, v62 src0_sel:BYTE_3 src1_sel:DWORD
	s_mov_b32 s16, -1
	s_and_saveexec_b32 s23, s73
; %bb.6385:                             ;   in Loop: Header=BB6_5548 Depth=3
	s_xor_b32 s16, exec_lo, -1
; %bb.6386:                             ;   in Loop: Header=BB6_5548 Depth=3
	s_or_b32 exec_lo, exec_lo, s23
	s_and_b32 s16, s16, exec_lo
	s_or_saveexec_b32 s22, s22
	v_mov_b32_e32 v4, 0x7f800001
	s_xor_b32 exec_lo, exec_lo, s22
	s_cbranch_execnz .LBB6_8037
.LBB6_6387:                             ;   in Loop: Header=BB6_5548 Depth=3
	s_or_b32 exec_lo, exec_lo, s22
	s_and_saveexec_b32 s22, s16
	s_cbranch_execz .LBB6_6389
.LBB6_6388:                             ;   in Loop: Header=BB6_5548 Depth=3
	v_bfe_u32 v4, v25, 24, 3
	v_bfe_u32 v31, v25, 27, 4
	v_ffbh_u32_e32 v5, v4
	v_cmp_eq_u32_e32 vcc_lo, 0, v31
	v_min_u32_e32 v5, 32, v5
	v_subrev_nc_u32_e32 v29, 28, v5
	v_sub_nc_u32_e32 v5, 29, v5
	v_lshlrev_b32_sdwa v29, v29, v25 dst_sel:DWORD dst_unused:UNUSED_PAD src0_sel:DWORD src1_sel:BYTE_3
	v_cndmask_b32_e32 v5, v31, v5, vcc_lo
	v_and_b32_e32 v29, 7, v29
	v_lshl_add_u32 v5, v5, 23, 0x3b800000
	v_cndmask_b32_e32 v4, v4, v29, vcc_lo
	v_and_b32_e32 v29, 0x80000000, v25
	v_lshlrev_b32_e32 v4, 20, v4
	v_or3_b32 v4, v29, v5, v4
.LBB6_6389:                             ;   in Loop: Header=BB6_5548 Depth=3
	s_or_b32 exec_lo, exec_lo, s22
	v_max_f32_e32 v4, v4, v4
	v_max_f32_e32 v1, v1, v1
	s_mov_b32 s16, 0
	v_max_f32_e32 v1, v1, v4
.LBB6_6390:                             ;   in Loop: Header=BB6_5548 Depth=3
	s_and_b32 vcc_lo, exec_lo, s16
	s_cbranch_vccz .LBB6_6404
; %bb.6391:                             ;   in Loop: Header=BB6_5548 Depth=3
	v_cmp_gt_i16_sdwa s22, v33, v61 src0_sel:BYTE_3 src1_sel:DWORD
	s_mov_b32 s16, 0
	s_and_saveexec_b32 s23, s22
	s_xor_b32 s22, exec_lo, s23
	s_cbranch_execz .LBB6_8038
; %bb.6392:                             ;   in Loop: Header=BB6_5548 Depth=3
	v_cmp_eq_u16_sdwa s73, v33, v62 src0_sel:BYTE_3 src1_sel:DWORD
	s_mov_b32 s16, -1
	s_and_saveexec_b32 s23, s73
; %bb.6393:                             ;   in Loop: Header=BB6_5548 Depth=3
	s_xor_b32 s16, exec_lo, -1
; %bb.6394:                             ;   in Loop: Header=BB6_5548 Depth=3
	s_or_b32 exec_lo, exec_lo, s23
	s_and_b32 s16, s16, exec_lo
	s_or_saveexec_b32 s22, s22
	v_mov_b32_e32 v1, 0x7f800001
	s_xor_b32 exec_lo, exec_lo, s22
	s_cbranch_execnz .LBB6_8039
.LBB6_6395:                             ;   in Loop: Header=BB6_5548 Depth=3
	s_or_b32 exec_lo, exec_lo, s22
	s_and_saveexec_b32 s22, s16
	s_cbranch_execz .LBB6_6397
.LBB6_6396:                             ;   in Loop: Header=BB6_5548 Depth=3
	v_bfe_u32 v1, v33, 24, 3
	v_bfe_u32 v29, v33, 27, 4
	v_ffbh_u32_e32 v4, v1
	v_cmp_eq_u32_e32 vcc_lo, 0, v29
	v_min_u32_e32 v4, 32, v4
	v_subrev_nc_u32_e32 v5, 28, v4
	v_sub_nc_u32_e32 v4, 29, v4
	v_lshlrev_b32_sdwa v5, v5, v33 dst_sel:DWORD dst_unused:UNUSED_PAD src0_sel:DWORD src1_sel:BYTE_3
	v_cndmask_b32_e32 v4, v29, v4, vcc_lo
	v_and_b32_e32 v5, 7, v5
	v_lshl_add_u32 v4, v4, 23, 0x3b800000
	v_cndmask_b32_e32 v1, v1, v5, vcc_lo
	v_and_b32_e32 v5, 0x80000000, v33
	v_lshlrev_b32_e32 v1, 20, v1
	v_or3_b32 v1, v5, v4, v1
.LBB6_6397:                             ;   in Loop: Header=BB6_5548 Depth=3
	s_or_b32 exec_lo, exec_lo, s22
	v_cmp_gt_i16_sdwa s22, v25, v61 src0_sel:BYTE_3 src1_sel:DWORD
	s_mov_b32 s16, 0
	s_and_saveexec_b32 s23, s22
	s_xor_b32 s22, exec_lo, s23
	s_cbranch_execz .LBB6_8040
; %bb.6398:                             ;   in Loop: Header=BB6_5548 Depth=3
	v_cmp_eq_u16_sdwa s73, v25, v62 src0_sel:BYTE_3 src1_sel:DWORD
	s_mov_b32 s16, -1
	s_and_saveexec_b32 s23, s73
; %bb.6399:                             ;   in Loop: Header=BB6_5548 Depth=3
	s_xor_b32 s16, exec_lo, -1
; %bb.6400:                             ;   in Loop: Header=BB6_5548 Depth=3
	s_or_b32 exec_lo, exec_lo, s23
	s_and_b32 s16, s16, exec_lo
	s_or_saveexec_b32 s22, s22
	v_mov_b32_e32 v4, 0x7f800001
	s_xor_b32 exec_lo, exec_lo, s22
	s_cbranch_execnz .LBB6_8041
.LBB6_6401:                             ;   in Loop: Header=BB6_5548 Depth=3
	s_or_b32 exec_lo, exec_lo, s22
	s_and_saveexec_b32 s22, s16
	s_cbranch_execz .LBB6_6403
.LBB6_6402:                             ;   in Loop: Header=BB6_5548 Depth=3
	v_bfe_u32 v4, v25, 24, 3
	v_bfe_u32 v31, v25, 27, 4
	v_ffbh_u32_e32 v5, v4
	v_cmp_eq_u32_e32 vcc_lo, 0, v31
	v_min_u32_e32 v5, 32, v5
	v_subrev_nc_u32_e32 v29, 28, v5
	v_sub_nc_u32_e32 v5, 29, v5
	v_lshlrev_b32_sdwa v29, v29, v25 dst_sel:DWORD dst_unused:UNUSED_PAD src0_sel:DWORD src1_sel:BYTE_3
	v_cndmask_b32_e32 v5, v31, v5, vcc_lo
	v_and_b32_e32 v25, 0x80000000, v25
	v_and_b32_e32 v29, 7, v29
	v_lshl_add_u32 v5, v5, 23, 0x3b800000
	v_cndmask_b32_e32 v4, v4, v29, vcc_lo
	v_lshlrev_b32_e32 v4, 20, v4
	v_or3_b32 v4, v25, v5, v4
.LBB6_6403:                             ;   in Loop: Header=BB6_5548 Depth=3
	s_or_b32 exec_lo, exec_lo, s22
	v_max_f32_e32 v4, v4, v4
	v_max_f32_e32 v1, v1, v1
	v_min_f32_e32 v1, v1, v4
.LBB6_6404:                             ;   in Loop: Header=BB6_5548 Depth=3
	v_and_b32_e32 v4, 0x7f800000, v1
	v_mov_b32_e32 v25, 0x8000
	s_mov_b32 s22, exec_lo
	v_cmpx_ne_u32_e32 0x7f800000, v4
	s_cbranch_execz .LBB6_6412
; %bb.6405:                             ;   in Loop: Header=BB6_5548 Depth=3
	v_mov_b32_e32 v25, 0
	s_mov_b32 s23, exec_lo
	v_cmpx_ne_u32_e32 0, v1
	s_cbranch_execz .LBB6_6411
; %bb.6406:                             ;   in Loop: Header=BB6_5548 Depth=3
	v_bfe_u32 v5, v1, 23, 8
	v_and_b32_e32 v4, 0x7fffff, v1
	v_cmp_gt_u32_e64 s16, 0x79, v5
	v_sub_nc_u32_e32 v25, 0x78, v5
	v_cmp_eq_u32_e32 vcc_lo, 0, v5
	v_or_b32_e32 v29, 0x800000, v4
	v_cndmask_b32_e64 v25, 0, v25, s16
	v_cndmask_b32_e32 v4, v29, v4, vcc_lo
	v_cndmask_b32_e64 v25, v25, 0x77, vcc_lo
	v_lshl_add_u32 v29, 0x100000, v25, -1
	v_lshlrev_b32_e64 v31, v25, 0x80000
	v_and_b32_e32 v29, v29, v4
	v_cmp_eq_u32_e64 s16, v29, v31
	v_lshrrev_b32_e32 v29, v25, v4
	v_add_nc_u32_e32 v4, 0xffffff89, v5
	v_lshrrev_b32_e32 v5, 23, v29
	v_cndmask_b32_e64 v4, v4, 0xffffff8a, vcc_lo
	v_xor_b32_e32 v5, 1, v5
	v_add_nc_u32_e32 v4, v25, v4
	v_bfe_u32 v25, v29, 20, 1
	v_add_nc_u32_e32 v25, -1, v25
	v_cndmask_b32_e64 v25, 0, v25, s16
	s_mov_b32 s16, exec_lo
	v_add_nc_u32_e32 v25, v25, v29
	v_and_b32_e32 v25, 0xfffff, v25
	v_add_nc_u32_e32 v25, v25, v29
                                        ; implicit-def: $vgpr29
	v_cmpx_ne_u32_e64 v4, v5
	s_xor_b32 s16, exec_lo, s16
; %bb.6407:                             ;   in Loop: Header=BB6_5548 Depth=3
	v_cmp_lt_u32_e32 vcc_lo, 0xffffff, v25
	v_sub_nc_u32_e32 v4, v4, v5
	v_cndmask_b32_e64 v5, 0, 1, vcc_lo
	v_add_co_ci_u32_e64 v29, null, 0, v4, vcc_lo
	v_lshrrev_b32_e32 v25, v5, v25
; %bb.6408:                             ;   in Loop: Header=BB6_5548 Depth=3
	s_andn2_saveexec_b32 s16, s16
; %bb.6409:                             ;   in Loop: Header=BB6_5548 Depth=3
	v_bfe_u32 v29, v25, 23, 1
; %bb.6410:                             ;   in Loop: Header=BB6_5548 Depth=3
	s_or_b32 exec_lo, exec_lo, s16
	v_lshrrev_b32_e32 v4, 20, v25
	v_min_i32_e32 v5, 15, v29
	v_cmp_gt_i32_e32 vcc_lo, 16, v29
	v_and_b32_sdwa v1, v1, v62 dst_sel:DWORD dst_unused:UNUSED_PAD src0_sel:BYTE_3 src1_sel:DWORD
	v_lshlrev_b32_e32 v5, 3, v5
	v_cndmask_b32_e32 v4, 7, v4, vcc_lo
	v_and_b32_e32 v5, 0xf8, v5
	v_or_b32_e32 v25, v29, v4
	v_and_b32_e32 v4, 7, v4
	v_cmp_ne_u32_e32 vcc_lo, 0, v25
	v_or3_b32 v1, v1, v5, v4
	v_lshlrev_b32_e32 v1, 8, v1
	v_cndmask_b32_e32 v25, 0, v1, vcc_lo
.LBB6_6411:                             ;   in Loop: Header=BB6_5548 Depth=3
	s_or_b32 exec_lo, exec_lo, s23
.LBB6_6412:                             ;   in Loop: Header=BB6_5548 Depth=3
	s_or_b32 exec_lo, exec_lo, s22
	v_cmp_gt_i16_sdwa s23, v34, v61 src0_sel:BYTE_0 src1_sel:DWORD
	s_andn2_b32 vcc_lo, exec_lo, s19
	s_mov_b32 s16, -1
                                        ; implicit-def: $vgpr1
	s_cbranch_vccnz .LBB6_6426
; %bb.6413:                             ;   in Loop: Header=BB6_5548 Depth=3
	s_mov_b32 s22, 0
	s_and_saveexec_b32 s16, s23
	s_xor_b32 s16, exec_lo, s16
	s_cbranch_execz .LBB6_8042
; %bb.6414:                             ;   in Loop: Header=BB6_5548 Depth=3
	v_cmp_eq_u16_sdwa s73, v34, v62 src0_sel:BYTE_0 src1_sel:DWORD
	s_mov_b32 s22, -1
	s_and_saveexec_b32 s23, s73
; %bb.6415:                             ;   in Loop: Header=BB6_5548 Depth=3
	s_xor_b32 s22, exec_lo, -1
; %bb.6416:                             ;   in Loop: Header=BB6_5548 Depth=3
	s_or_b32 exec_lo, exec_lo, s23
	s_and_b32 s22, s22, exec_lo
	s_or_saveexec_b32 s16, s16
	v_mov_b32_e32 v1, 0x7f800001
	s_xor_b32 exec_lo, exec_lo, s16
	s_cbranch_execnz .LBB6_8043
.LBB6_6417:                             ;   in Loop: Header=BB6_5548 Depth=3
	s_or_b32 exec_lo, exec_lo, s16
	s_and_saveexec_b32 s16, s22
	s_cbranch_execz .LBB6_6419
.LBB6_6418:                             ;   in Loop: Header=BB6_5548 Depth=3
	v_and_b32_e32 v1, 7, v34
	v_bfe_u32 v4, v34, 3, 4
	v_ffbh_u32_e32 v5, v1
	v_cmp_eq_u32_e32 vcc_lo, 0, v4
	v_min_u32_e32 v5, 32, v5
	v_subrev_nc_u32_e32 v29, 28, v5
	v_sub_nc_u32_e32 v5, 29, v5
	v_lshlrev_b32_e32 v29, v29, v34
	v_cndmask_b32_e32 v4, v4, v5, vcc_lo
	v_lshlrev_b32_e32 v5, 24, v34
	v_and_b32_e32 v29, 7, v29
	v_lshl_add_u32 v4, v4, 23, 0x3b800000
	v_and_b32_e32 v5, 0x80000000, v5
	v_cndmask_b32_e32 v1, v1, v29, vcc_lo
	v_lshlrev_b32_e32 v1, 20, v1
	v_or3_b32 v1, v5, v4, v1
.LBB6_6419:                             ;   in Loop: Header=BB6_5548 Depth=3
	s_or_b32 exec_lo, exec_lo, s16
	v_cmp_gt_i16_sdwa s16, v26, v61 src0_sel:BYTE_0 src1_sel:DWORD
	s_mov_b32 s22, 0
	s_and_saveexec_b32 s23, s16
	s_xor_b32 s16, exec_lo, s23
	s_cbranch_execz .LBB6_8044
; %bb.6420:                             ;   in Loop: Header=BB6_5548 Depth=3
	v_cmp_eq_u16_sdwa s73, v26, v62 src0_sel:BYTE_0 src1_sel:DWORD
	s_mov_b32 s22, -1
	s_and_saveexec_b32 s23, s73
; %bb.6421:                             ;   in Loop: Header=BB6_5548 Depth=3
	s_xor_b32 s22, exec_lo, -1
; %bb.6422:                             ;   in Loop: Header=BB6_5548 Depth=3
	s_or_b32 exec_lo, exec_lo, s23
	s_and_b32 s22, s22, exec_lo
	s_or_saveexec_b32 s16, s16
	v_mov_b32_e32 v4, 0x7f800001
	s_xor_b32 exec_lo, exec_lo, s16
	s_cbranch_execnz .LBB6_8045
.LBB6_6423:                             ;   in Loop: Header=BB6_5548 Depth=3
	s_or_b32 exec_lo, exec_lo, s16
	s_and_saveexec_b32 s16, s22
	s_cbranch_execz .LBB6_6425
.LBB6_6424:                             ;   in Loop: Header=BB6_5548 Depth=3
	v_and_b32_e32 v4, 7, v26
	v_bfe_u32 v5, v26, 3, 4
	v_ffbh_u32_e32 v29, v4
	v_cmp_eq_u32_e32 vcc_lo, 0, v5
	v_min_u32_e32 v29, 32, v29
	v_subrev_nc_u32_e32 v31, 28, v29
	v_sub_nc_u32_e32 v29, 29, v29
	v_lshlrev_b32_e32 v31, v31, v26
	v_cndmask_b32_e32 v5, v5, v29, vcc_lo
	v_lshlrev_b32_e32 v29, 24, v26
	v_and_b32_e32 v31, 7, v31
	v_lshl_add_u32 v5, v5, 23, 0x3b800000
	v_and_b32_e32 v29, 0x80000000, v29
	v_cndmask_b32_e32 v4, v4, v31, vcc_lo
	v_lshlrev_b32_e32 v4, 20, v4
	v_or3_b32 v4, v29, v5, v4
.LBB6_6425:                             ;   in Loop: Header=BB6_5548 Depth=3
	s_or_b32 exec_lo, exec_lo, s16
	v_max_f32_e32 v4, v4, v4
	v_max_f32_e32 v1, v1, v1
	s_mov_b32 s16, 0
	v_max_f32_e32 v1, v1, v4
.LBB6_6426:                             ;   in Loop: Header=BB6_5548 Depth=3
	s_and_b32 vcc_lo, exec_lo, s16
	s_cbranch_vccz .LBB6_6440
; %bb.6427:                             ;   in Loop: Header=BB6_5548 Depth=3
	v_cmp_gt_i16_sdwa s16, v34, v61 src0_sel:BYTE_0 src1_sel:DWORD
	s_mov_b32 s22, 0
	s_and_saveexec_b32 s23, s16
	s_xor_b32 s16, exec_lo, s23
	s_cbranch_execz .LBB6_8046
; %bb.6428:                             ;   in Loop: Header=BB6_5548 Depth=3
	v_cmp_eq_u16_sdwa s73, v34, v62 src0_sel:BYTE_0 src1_sel:DWORD
	s_mov_b32 s22, -1
	s_and_saveexec_b32 s23, s73
; %bb.6429:                             ;   in Loop: Header=BB6_5548 Depth=3
	s_xor_b32 s22, exec_lo, -1
; %bb.6430:                             ;   in Loop: Header=BB6_5548 Depth=3
	s_or_b32 exec_lo, exec_lo, s23
	s_and_b32 s22, s22, exec_lo
	s_or_saveexec_b32 s16, s16
	v_mov_b32_e32 v1, 0x7f800001
	s_xor_b32 exec_lo, exec_lo, s16
	s_cbranch_execnz .LBB6_8047
.LBB6_6431:                             ;   in Loop: Header=BB6_5548 Depth=3
	s_or_b32 exec_lo, exec_lo, s16
	s_and_saveexec_b32 s16, s22
	s_cbranch_execz .LBB6_6433
.LBB6_6432:                             ;   in Loop: Header=BB6_5548 Depth=3
	v_and_b32_e32 v1, 7, v34
	v_bfe_u32 v4, v34, 3, 4
	v_ffbh_u32_e32 v5, v1
	v_cmp_eq_u32_e32 vcc_lo, 0, v4
	v_min_u32_e32 v5, 32, v5
	v_subrev_nc_u32_e32 v29, 28, v5
	v_sub_nc_u32_e32 v5, 29, v5
	v_lshlrev_b32_e32 v29, v29, v34
	v_cndmask_b32_e32 v4, v4, v5, vcc_lo
	v_lshlrev_b32_e32 v5, 24, v34
	v_and_b32_e32 v29, 7, v29
	v_lshl_add_u32 v4, v4, 23, 0x3b800000
	v_and_b32_e32 v5, 0x80000000, v5
	v_cndmask_b32_e32 v1, v1, v29, vcc_lo
	v_lshlrev_b32_e32 v1, 20, v1
	v_or3_b32 v1, v5, v4, v1
.LBB6_6433:                             ;   in Loop: Header=BB6_5548 Depth=3
	s_or_b32 exec_lo, exec_lo, s16
	v_cmp_gt_i16_sdwa s16, v26, v61 src0_sel:BYTE_0 src1_sel:DWORD
	s_mov_b32 s22, 0
	s_and_saveexec_b32 s23, s16
	s_xor_b32 s16, exec_lo, s23
	s_cbranch_execz .LBB6_8048
; %bb.6434:                             ;   in Loop: Header=BB6_5548 Depth=3
	v_cmp_eq_u16_sdwa s73, v26, v62 src0_sel:BYTE_0 src1_sel:DWORD
	s_mov_b32 s22, -1
	s_and_saveexec_b32 s23, s73
; %bb.6435:                             ;   in Loop: Header=BB6_5548 Depth=3
	s_xor_b32 s22, exec_lo, -1
; %bb.6436:                             ;   in Loop: Header=BB6_5548 Depth=3
	s_or_b32 exec_lo, exec_lo, s23
	s_and_b32 s22, s22, exec_lo
	s_or_saveexec_b32 s16, s16
	v_mov_b32_e32 v4, 0x7f800001
	s_xor_b32 exec_lo, exec_lo, s16
	s_cbranch_execnz .LBB6_8049
.LBB6_6437:                             ;   in Loop: Header=BB6_5548 Depth=3
	s_or_b32 exec_lo, exec_lo, s16
	s_and_saveexec_b32 s16, s22
	s_cbranch_execz .LBB6_6439
.LBB6_6438:                             ;   in Loop: Header=BB6_5548 Depth=3
	v_and_b32_e32 v4, 7, v26
	v_bfe_u32 v5, v26, 3, 4
	v_ffbh_u32_e32 v29, v4
	v_cmp_eq_u32_e32 vcc_lo, 0, v5
	v_min_u32_e32 v29, 32, v29
	v_subrev_nc_u32_e32 v31, 28, v29
	v_sub_nc_u32_e32 v29, 29, v29
	v_lshlrev_b32_e32 v31, v31, v26
	v_cndmask_b32_e32 v5, v5, v29, vcc_lo
	v_lshlrev_b32_e32 v29, 24, v26
	v_and_b32_e32 v31, 7, v31
	v_lshl_add_u32 v5, v5, 23, 0x3b800000
	v_and_b32_e32 v29, 0x80000000, v29
	v_cndmask_b32_e32 v4, v4, v31, vcc_lo
	v_lshlrev_b32_e32 v4, 20, v4
	v_or3_b32 v4, v29, v5, v4
.LBB6_6439:                             ;   in Loop: Header=BB6_5548 Depth=3
	s_or_b32 exec_lo, exec_lo, s16
	v_max_f32_e32 v4, v4, v4
	v_max_f32_e32 v1, v1, v1
	v_min_f32_e32 v1, v1, v4
.LBB6_6440:                             ;   in Loop: Header=BB6_5548 Depth=3
	v_and_b32_e32 v4, 0x7f800000, v1
	v_mov_b32_e32 v29, 0x80
	s_mov_b32 s22, exec_lo
	v_cmpx_ne_u32_e32 0x7f800000, v4
	s_cbranch_execz .LBB6_6448
; %bb.6441:                             ;   in Loop: Header=BB6_5548 Depth=3
	v_mov_b32_e32 v29, 0
	s_mov_b32 s23, exec_lo
	v_cmpx_ne_u32_e32 0, v1
	s_cbranch_execz .LBB6_6447
; %bb.6442:                             ;   in Loop: Header=BB6_5548 Depth=3
	v_bfe_u32 v5, v1, 23, 8
	v_and_b32_e32 v4, 0x7fffff, v1
	v_cmp_gt_u32_e64 s16, 0x79, v5
	v_sub_nc_u32_e32 v29, 0x78, v5
	v_cmp_eq_u32_e32 vcc_lo, 0, v5
	v_or_b32_e32 v31, 0x800000, v4
	v_cndmask_b32_e64 v29, 0, v29, s16
	v_cndmask_b32_e32 v4, v31, v4, vcc_lo
	v_cndmask_b32_e64 v29, v29, 0x77, vcc_lo
	v_lshl_add_u32 v31, 0x100000, v29, -1
	v_lshlrev_b32_e64 v33, v29, 0x80000
	v_and_b32_e32 v31, v31, v4
	v_cmp_eq_u32_e64 s16, v31, v33
	v_lshrrev_b32_e32 v31, v29, v4
	v_add_nc_u32_e32 v4, 0xffffff89, v5
	v_lshrrev_b32_e32 v5, 23, v31
	v_cndmask_b32_e64 v4, v4, 0xffffff8a, vcc_lo
	v_xor_b32_e32 v5, 1, v5
	v_add_nc_u32_e32 v4, v29, v4
	v_bfe_u32 v29, v31, 20, 1
	v_add_nc_u32_e32 v29, -1, v29
	v_cndmask_b32_e64 v29, 0, v29, s16
	s_mov_b32 s16, exec_lo
	v_add_nc_u32_e32 v29, v29, v31
	v_and_b32_e32 v29, 0xfffff, v29
	v_add_nc_u32_e32 v29, v29, v31
                                        ; implicit-def: $vgpr31
	v_cmpx_ne_u32_e64 v4, v5
	s_xor_b32 s16, exec_lo, s16
; %bb.6443:                             ;   in Loop: Header=BB6_5548 Depth=3
	v_cmp_lt_u32_e32 vcc_lo, 0xffffff, v29
	v_sub_nc_u32_e32 v4, v4, v5
	v_cndmask_b32_e64 v5, 0, 1, vcc_lo
	v_add_co_ci_u32_e64 v31, null, 0, v4, vcc_lo
	v_lshrrev_b32_e32 v29, v5, v29
; %bb.6444:                             ;   in Loop: Header=BB6_5548 Depth=3
	s_andn2_saveexec_b32 s16, s16
; %bb.6445:                             ;   in Loop: Header=BB6_5548 Depth=3
	v_bfe_u32 v31, v29, 23, 1
; %bb.6446:                             ;   in Loop: Header=BB6_5548 Depth=3
	s_or_b32 exec_lo, exec_lo, s16
	v_lshrrev_b32_e32 v4, 20, v29
	v_min_i32_e32 v5, 15, v31
	v_cmp_gt_i32_e32 vcc_lo, 16, v31
	v_and_b32_sdwa v1, v1, v62 dst_sel:DWORD dst_unused:UNUSED_PAD src0_sel:BYTE_3 src1_sel:DWORD
	v_lshlrev_b32_e32 v5, 3, v5
	v_cndmask_b32_e32 v4, 7, v4, vcc_lo
	v_and_b32_e32 v5, 0xf8, v5
	v_or_b32_e32 v29, v31, v4
	v_and_b32_e32 v4, 7, v4
	v_cmp_ne_u32_e32 vcc_lo, 0, v29
	v_or3_b32 v1, v5, v1, v4
	v_cndmask_b32_e32 v29, 0, v1, vcc_lo
.LBB6_6447:                             ;   in Loop: Header=BB6_5548 Depth=3
	s_or_b32 exec_lo, exec_lo, s23
.LBB6_6448:                             ;   in Loop: Header=BB6_5548 Depth=3
	s_or_b32 exec_lo, exec_lo, s22
	v_cmp_gt_i16_sdwa s22, v34, v61 src0_sel:BYTE_1 src1_sel:DWORD
	s_andn2_b32 vcc_lo, exec_lo, s19
	s_mov_b32 s16, -1
                                        ; implicit-def: $vgpr1
	s_cbranch_vccnz .LBB6_6462
; %bb.6449:                             ;   in Loop: Header=BB6_5548 Depth=3
	s_mov_b32 s16, 0
	s_and_saveexec_b32 s23, s22
	s_xor_b32 s22, exec_lo, s23
	s_cbranch_execz .LBB6_8050
; %bb.6450:                             ;   in Loop: Header=BB6_5548 Depth=3
	v_cmp_eq_u16_sdwa s73, v34, v62 src0_sel:BYTE_1 src1_sel:DWORD
	s_mov_b32 s16, -1
	s_and_saveexec_b32 s23, s73
; %bb.6451:                             ;   in Loop: Header=BB6_5548 Depth=3
	s_xor_b32 s16, exec_lo, -1
; %bb.6452:                             ;   in Loop: Header=BB6_5548 Depth=3
	s_or_b32 exec_lo, exec_lo, s23
	s_and_b32 s16, s16, exec_lo
	s_or_saveexec_b32 s22, s22
	v_mov_b32_e32 v1, 0x7f800001
	s_xor_b32 exec_lo, exec_lo, s22
	s_cbranch_execnz .LBB6_8051
.LBB6_6453:                             ;   in Loop: Header=BB6_5548 Depth=3
	s_or_b32 exec_lo, exec_lo, s22
	s_and_saveexec_b32 s22, s16
	s_cbranch_execz .LBB6_6455
.LBB6_6454:                             ;   in Loop: Header=BB6_5548 Depth=3
	v_and_b32_sdwa v1, v63, v34 dst_sel:DWORD dst_unused:UNUSED_PAD src0_sel:DWORD src1_sel:BYTE_1
	v_and_b32_e32 v4, 7, v1
	v_bfe_u32 v33, v1, 3, 4
	v_ffbh_u32_e32 v5, v4
	v_cmp_eq_u32_e32 vcc_lo, 0, v33
	v_min_u32_e32 v5, 32, v5
	v_subrev_nc_u32_e32 v31, 28, v5
	v_sub_nc_u32_e32 v5, 29, v5
	v_lshlrev_b32_e32 v1, v31, v1
	v_lshlrev_b32_e32 v31, 16, v34
	v_cndmask_b32_e32 v5, v33, v5, vcc_lo
	v_and_b32_e32 v1, 7, v1
	v_lshl_add_u32 v5, v5, 23, 0x3b800000
	v_cndmask_b32_e32 v1, v4, v1, vcc_lo
	v_and_b32_e32 v4, 0x80000000, v31
	v_lshlrev_b32_e32 v1, 20, v1
	v_or3_b32 v1, v4, v5, v1
.LBB6_6455:                             ;   in Loop: Header=BB6_5548 Depth=3
	s_or_b32 exec_lo, exec_lo, s22
	v_cmp_gt_i16_sdwa s22, v26, v61 src0_sel:BYTE_1 src1_sel:DWORD
	s_mov_b32 s16, 0
	s_and_saveexec_b32 s23, s22
	s_xor_b32 s22, exec_lo, s23
	s_cbranch_execz .LBB6_8052
; %bb.6456:                             ;   in Loop: Header=BB6_5548 Depth=3
	v_cmp_eq_u16_sdwa s73, v26, v62 src0_sel:BYTE_1 src1_sel:DWORD
	s_mov_b32 s16, -1
	s_and_saveexec_b32 s23, s73
; %bb.6457:                             ;   in Loop: Header=BB6_5548 Depth=3
	s_xor_b32 s16, exec_lo, -1
; %bb.6458:                             ;   in Loop: Header=BB6_5548 Depth=3
	s_or_b32 exec_lo, exec_lo, s23
	s_and_b32 s16, s16, exec_lo
	s_or_saveexec_b32 s22, s22
	v_mov_b32_e32 v4, 0x7f800001
	s_xor_b32 exec_lo, exec_lo, s22
	s_cbranch_execnz .LBB6_8053
.LBB6_6459:                             ;   in Loop: Header=BB6_5548 Depth=3
	s_or_b32 exec_lo, exec_lo, s22
	s_and_saveexec_b32 s22, s16
	s_cbranch_execz .LBB6_6461
.LBB6_6460:                             ;   in Loop: Header=BB6_5548 Depth=3
	v_and_b32_sdwa v4, v63, v26 dst_sel:DWORD dst_unused:UNUSED_PAD src0_sel:DWORD src1_sel:BYTE_1
	v_and_b32_e32 v5, 7, v4
	v_bfe_u32 v82, v4, 3, 4
	v_ffbh_u32_e32 v31, v5
	v_cmp_eq_u32_e32 vcc_lo, 0, v82
	v_min_u32_e32 v31, 32, v31
	v_subrev_nc_u32_e32 v33, 28, v31
	v_sub_nc_u32_e32 v31, 29, v31
	v_lshlrev_b32_e32 v4, v33, v4
	v_lshlrev_b32_e32 v33, 16, v26
	v_cndmask_b32_e32 v31, v82, v31, vcc_lo
	v_and_b32_e32 v4, 7, v4
	v_lshl_add_u32 v31, v31, 23, 0x3b800000
	v_cndmask_b32_e32 v4, v5, v4, vcc_lo
	v_and_b32_e32 v5, 0x80000000, v33
	v_lshlrev_b32_e32 v4, 20, v4
	v_or3_b32 v4, v5, v31, v4
.LBB6_6461:                             ;   in Loop: Header=BB6_5548 Depth=3
	s_or_b32 exec_lo, exec_lo, s22
	v_max_f32_e32 v4, v4, v4
	v_max_f32_e32 v1, v1, v1
	s_mov_b32 s16, 0
	v_max_f32_e32 v1, v1, v4
.LBB6_6462:                             ;   in Loop: Header=BB6_5548 Depth=3
	s_and_b32 vcc_lo, exec_lo, s16
	s_cbranch_vccz .LBB6_6476
; %bb.6463:                             ;   in Loop: Header=BB6_5548 Depth=3
	v_cmp_gt_i16_sdwa s22, v34, v61 src0_sel:BYTE_1 src1_sel:DWORD
	s_mov_b32 s16, 0
	s_and_saveexec_b32 s23, s22
	s_xor_b32 s22, exec_lo, s23
	s_cbranch_execz .LBB6_8054
; %bb.6464:                             ;   in Loop: Header=BB6_5548 Depth=3
	v_cmp_eq_u16_sdwa s73, v34, v62 src0_sel:BYTE_1 src1_sel:DWORD
	s_mov_b32 s16, -1
	s_and_saveexec_b32 s23, s73
; %bb.6465:                             ;   in Loop: Header=BB6_5548 Depth=3
	s_xor_b32 s16, exec_lo, -1
; %bb.6466:                             ;   in Loop: Header=BB6_5548 Depth=3
	s_or_b32 exec_lo, exec_lo, s23
	s_and_b32 s16, s16, exec_lo
	s_or_saveexec_b32 s22, s22
	v_mov_b32_e32 v1, 0x7f800001
	s_xor_b32 exec_lo, exec_lo, s22
	s_cbranch_execnz .LBB6_8055
.LBB6_6467:                             ;   in Loop: Header=BB6_5548 Depth=3
	s_or_b32 exec_lo, exec_lo, s22
	s_and_saveexec_b32 s22, s16
	s_cbranch_execz .LBB6_6469
.LBB6_6468:                             ;   in Loop: Header=BB6_5548 Depth=3
	v_and_b32_sdwa v1, v63, v34 dst_sel:DWORD dst_unused:UNUSED_PAD src0_sel:DWORD src1_sel:BYTE_1
	v_and_b32_e32 v4, 7, v1
	v_bfe_u32 v33, v1, 3, 4
	v_ffbh_u32_e32 v5, v4
	v_cmp_eq_u32_e32 vcc_lo, 0, v33
	v_min_u32_e32 v5, 32, v5
	v_subrev_nc_u32_e32 v31, 28, v5
	v_sub_nc_u32_e32 v5, 29, v5
	v_lshlrev_b32_e32 v1, v31, v1
	v_lshlrev_b32_e32 v31, 16, v34
	v_cndmask_b32_e32 v5, v33, v5, vcc_lo
	v_and_b32_e32 v1, 7, v1
	v_lshl_add_u32 v5, v5, 23, 0x3b800000
	v_cndmask_b32_e32 v1, v4, v1, vcc_lo
	v_and_b32_e32 v4, 0x80000000, v31
	v_lshlrev_b32_e32 v1, 20, v1
	v_or3_b32 v1, v4, v5, v1
.LBB6_6469:                             ;   in Loop: Header=BB6_5548 Depth=3
	s_or_b32 exec_lo, exec_lo, s22
	v_cmp_gt_i16_sdwa s22, v26, v61 src0_sel:BYTE_1 src1_sel:DWORD
	s_mov_b32 s16, 0
	s_and_saveexec_b32 s23, s22
	s_xor_b32 s22, exec_lo, s23
	s_cbranch_execz .LBB6_8056
; %bb.6470:                             ;   in Loop: Header=BB6_5548 Depth=3
	v_cmp_eq_u16_sdwa s73, v26, v62 src0_sel:BYTE_1 src1_sel:DWORD
	s_mov_b32 s16, -1
	s_and_saveexec_b32 s23, s73
; %bb.6471:                             ;   in Loop: Header=BB6_5548 Depth=3
	s_xor_b32 s16, exec_lo, -1
; %bb.6472:                             ;   in Loop: Header=BB6_5548 Depth=3
	s_or_b32 exec_lo, exec_lo, s23
	s_and_b32 s16, s16, exec_lo
	s_or_saveexec_b32 s22, s22
	v_mov_b32_e32 v4, 0x7f800001
	s_xor_b32 exec_lo, exec_lo, s22
	s_cbranch_execnz .LBB6_8057
.LBB6_6473:                             ;   in Loop: Header=BB6_5548 Depth=3
	s_or_b32 exec_lo, exec_lo, s22
	s_and_saveexec_b32 s22, s16
	s_cbranch_execz .LBB6_6475
.LBB6_6474:                             ;   in Loop: Header=BB6_5548 Depth=3
	v_and_b32_sdwa v4, v63, v26 dst_sel:DWORD dst_unused:UNUSED_PAD src0_sel:DWORD src1_sel:BYTE_1
	v_and_b32_e32 v5, 7, v4
	v_bfe_u32 v82, v4, 3, 4
	v_ffbh_u32_e32 v31, v5
	v_cmp_eq_u32_e32 vcc_lo, 0, v82
	v_min_u32_e32 v31, 32, v31
	v_subrev_nc_u32_e32 v33, 28, v31
	v_sub_nc_u32_e32 v31, 29, v31
	v_lshlrev_b32_e32 v4, v33, v4
	v_lshlrev_b32_e32 v33, 16, v26
	v_cndmask_b32_e32 v31, v82, v31, vcc_lo
	v_and_b32_e32 v4, 7, v4
	v_lshl_add_u32 v31, v31, 23, 0x3b800000
	v_cndmask_b32_e32 v4, v5, v4, vcc_lo
	v_and_b32_e32 v5, 0x80000000, v33
	v_lshlrev_b32_e32 v4, 20, v4
	v_or3_b32 v4, v5, v31, v4
.LBB6_6475:                             ;   in Loop: Header=BB6_5548 Depth=3
	s_or_b32 exec_lo, exec_lo, s22
	v_max_f32_e32 v4, v4, v4
	v_max_f32_e32 v1, v1, v1
	v_min_f32_e32 v1, v1, v4
.LBB6_6476:                             ;   in Loop: Header=BB6_5548 Depth=3
	v_and_b32_e32 v4, 0x7f800000, v1
	v_mov_b32_e32 v33, 0x8000
	s_mov_b32 s22, exec_lo
	v_cmpx_ne_u32_e32 0x7f800000, v4
	s_cbranch_execz .LBB6_6484
; %bb.6477:                             ;   in Loop: Header=BB6_5548 Depth=3
	v_mov_b32_e32 v33, 0
	s_mov_b32 s23, exec_lo
	v_cmpx_ne_u32_e32 0, v1
	s_cbranch_execz .LBB6_6483
; %bb.6478:                             ;   in Loop: Header=BB6_5548 Depth=3
	v_bfe_u32 v5, v1, 23, 8
	v_and_b32_e32 v4, 0x7fffff, v1
	v_cmp_gt_u32_e64 s16, 0x79, v5
	v_sub_nc_u32_e32 v31, 0x78, v5
	v_cmp_eq_u32_e32 vcc_lo, 0, v5
	v_or_b32_e32 v33, 0x800000, v4
	v_cndmask_b32_e64 v31, 0, v31, s16
	v_cndmask_b32_e32 v4, v33, v4, vcc_lo
	v_cndmask_b32_e64 v31, v31, 0x77, vcc_lo
	v_lshl_add_u32 v33, 0x100000, v31, -1
	v_lshlrev_b32_e64 v82, v31, 0x80000
	v_and_b32_e32 v33, v33, v4
	v_cmp_eq_u32_e64 s16, v33, v82
	v_lshrrev_b32_e32 v33, v31, v4
	v_add_nc_u32_e32 v4, 0xffffff89, v5
	v_lshrrev_b32_e32 v5, 23, v33
	v_cndmask_b32_e64 v4, v4, 0xffffff8a, vcc_lo
	v_xor_b32_e32 v5, 1, v5
	v_add_nc_u32_e32 v4, v31, v4
	v_bfe_u32 v31, v33, 20, 1
	v_add_nc_u32_e32 v31, -1, v31
	v_cndmask_b32_e64 v31, 0, v31, s16
	s_mov_b32 s16, exec_lo
	v_add_nc_u32_e32 v31, v31, v33
	v_and_b32_e32 v31, 0xfffff, v31
	v_add_nc_u32_e32 v31, v31, v33
                                        ; implicit-def: $vgpr33
	v_cmpx_ne_u32_e64 v4, v5
	s_xor_b32 s16, exec_lo, s16
; %bb.6479:                             ;   in Loop: Header=BB6_5548 Depth=3
	v_cmp_lt_u32_e32 vcc_lo, 0xffffff, v31
	v_sub_nc_u32_e32 v4, v4, v5
	v_cndmask_b32_e64 v5, 0, 1, vcc_lo
	v_add_co_ci_u32_e64 v33, null, 0, v4, vcc_lo
	v_lshrrev_b32_e32 v31, v5, v31
; %bb.6480:                             ;   in Loop: Header=BB6_5548 Depth=3
	s_andn2_saveexec_b32 s16, s16
; %bb.6481:                             ;   in Loop: Header=BB6_5548 Depth=3
	v_bfe_u32 v33, v31, 23, 1
; %bb.6482:                             ;   in Loop: Header=BB6_5548 Depth=3
	s_or_b32 exec_lo, exec_lo, s16
	v_lshrrev_b32_e32 v4, 20, v31
	v_min_i32_e32 v5, 15, v33
	v_cmp_gt_i32_e32 vcc_lo, 16, v33
	v_and_b32_sdwa v1, v1, v62 dst_sel:DWORD dst_unused:UNUSED_PAD src0_sel:BYTE_3 src1_sel:DWORD
	v_lshlrev_b32_e32 v5, 3, v5
	v_cndmask_b32_e32 v4, 7, v4, vcc_lo
	v_and_b32_e32 v5, 0xf8, v5
	v_or_b32_e32 v31, v33, v4
	v_and_b32_e32 v4, 7, v4
	v_cmp_ne_u32_e32 vcc_lo, 0, v31
	v_or3_b32 v1, v1, v5, v4
	v_lshlrev_b32_e32 v1, 8, v1
	v_cndmask_b32_e32 v33, 0, v1, vcc_lo
.LBB6_6483:                             ;   in Loop: Header=BB6_5548 Depth=3
	s_or_b32 exec_lo, exec_lo, s23
.LBB6_6484:                             ;   in Loop: Header=BB6_5548 Depth=3
	s_or_b32 exec_lo, exec_lo, s22
	v_and_b32_sdwa v1, v34, v72 dst_sel:DWORD dst_unused:UNUSED_PAD src0_sel:WORD_1 src1_sel:DWORD
	s_andn2_b32 vcc_lo, exec_lo, s19
	s_mov_b32 s22, -1
                                        ; implicit-def: $vgpr4
	v_cmp_lt_i16_e64 s16, 0x7f, v1
	s_cbranch_vccnz .LBB6_6498
; %bb.6485:                             ;   in Loop: Header=BB6_5548 Depth=3
	s_mov_b32 s22, 0
	s_and_saveexec_b32 s23, s16
	s_xor_b32 s16, exec_lo, s23
	s_cbranch_execz .LBB6_8058
; %bb.6486:                             ;   in Loop: Header=BB6_5548 Depth=3
	s_mov_b32 s22, -1
	s_mov_b32 s23, exec_lo
	v_cmpx_eq_u16_e32 0x80, v1
; %bb.6487:                             ;   in Loop: Header=BB6_5548 Depth=3
	s_xor_b32 s22, exec_lo, -1
; %bb.6488:                             ;   in Loop: Header=BB6_5548 Depth=3
	s_or_b32 exec_lo, exec_lo, s23
	s_and_b32 s22, s22, exec_lo
	s_or_saveexec_b32 s16, s16
	v_mov_b32_e32 v4, 0x7f800001
	s_xor_b32 exec_lo, exec_lo, s16
	s_cbranch_execnz .LBB6_8059
.LBB6_6489:                             ;   in Loop: Header=BB6_5548 Depth=3
	s_or_b32 exec_lo, exec_lo, s16
	s_and_saveexec_b32 s16, s22
	s_cbranch_execz .LBB6_6491
.LBB6_6490:                             ;   in Loop: Header=BB6_5548 Depth=3
	v_bfe_u32 v4, v34, 16, 3
	v_bfe_u32 v5, v34, 19, 4
	v_ffbh_u32_e32 v31, v4
	v_cmp_eq_u32_e32 vcc_lo, 0, v5
	v_min_u32_e32 v31, 32, v31
	v_subrev_nc_u32_e32 v82, 28, v31
	v_sub_nc_u32_e32 v31, 29, v31
	v_lshlrev_b32_sdwa v82, v82, v34 dst_sel:DWORD dst_unused:UNUSED_PAD src0_sel:DWORD src1_sel:WORD_1
	v_cndmask_b32_e32 v5, v5, v31, vcc_lo
	v_lshlrev_b32_sdwa v31, v73, v34 dst_sel:DWORD dst_unused:UNUSED_PAD src0_sel:DWORD src1_sel:WORD_1
	v_and_b32_e32 v82, 7, v82
	v_lshl_add_u32 v5, v5, 23, 0x3b800000
	v_and_b32_e32 v31, 0x80000000, v31
	v_cndmask_b32_e32 v4, v4, v82, vcc_lo
	v_lshlrev_b32_e32 v4, 20, v4
	v_or3_b32 v4, v31, v5, v4
.LBB6_6491:                             ;   in Loop: Header=BB6_5548 Depth=3
	s_or_b32 exec_lo, exec_lo, s16
	v_and_b32_sdwa v31, v26, v72 dst_sel:DWORD dst_unused:UNUSED_PAD src0_sel:WORD_1 src1_sel:DWORD
	s_mov_b32 s22, 0
	s_mov_b32 s16, exec_lo
	v_cmpx_lt_i16_e32 0x7f, v31
	s_xor_b32 s16, exec_lo, s16
	s_cbranch_execz .LBB6_8060
; %bb.6492:                             ;   in Loop: Header=BB6_5548 Depth=3
	s_mov_b32 s22, -1
	s_mov_b32 s23, exec_lo
	v_cmpx_eq_u16_e32 0x80, v31
; %bb.6493:                             ;   in Loop: Header=BB6_5548 Depth=3
	s_xor_b32 s22, exec_lo, -1
; %bb.6494:                             ;   in Loop: Header=BB6_5548 Depth=3
	s_or_b32 exec_lo, exec_lo, s23
	s_and_b32 s22, s22, exec_lo
                                        ; implicit-def: $vgpr31
	s_or_saveexec_b32 s16, s16
	v_mov_b32_e32 v5, 0x7f800001
	s_xor_b32 exec_lo, exec_lo, s16
	s_cbranch_execnz .LBB6_8061
.LBB6_6495:                             ;   in Loop: Header=BB6_5548 Depth=3
	s_or_b32 exec_lo, exec_lo, s16
	s_and_saveexec_b32 s16, s22
	s_cbranch_execz .LBB6_6497
.LBB6_6496:                             ;   in Loop: Header=BB6_5548 Depth=3
	v_bfe_u32 v5, v26, 16, 3
	v_bfe_u32 v31, v26, 19, 4
	v_ffbh_u32_e32 v82, v5
	v_cmp_eq_u32_e32 vcc_lo, 0, v31
	v_min_u32_e32 v82, 32, v82
	v_subrev_nc_u32_e32 v83, 28, v82
	v_sub_nc_u32_e32 v82, 29, v82
	v_lshlrev_b32_sdwa v83, v83, v26 dst_sel:DWORD dst_unused:UNUSED_PAD src0_sel:DWORD src1_sel:WORD_1
	v_cndmask_b32_e32 v31, v31, v82, vcc_lo
	v_lshlrev_b32_sdwa v82, v73, v26 dst_sel:DWORD dst_unused:UNUSED_PAD src0_sel:DWORD src1_sel:WORD_1
	v_and_b32_e32 v83, 7, v83
	v_lshl_add_u32 v31, v31, 23, 0x3b800000
	v_and_b32_e32 v82, 0x80000000, v82
	v_cndmask_b32_e32 v5, v5, v83, vcc_lo
	v_lshlrev_b32_e32 v5, 20, v5
	v_or3_b32 v5, v82, v31, v5
.LBB6_6497:                             ;   in Loop: Header=BB6_5548 Depth=3
	s_or_b32 exec_lo, exec_lo, s16
	v_max_f32_e32 v5, v5, v5
	v_max_f32_e32 v4, v4, v4
	s_mov_b32 s22, 0
	v_max_f32_e32 v4, v4, v5
.LBB6_6498:                             ;   in Loop: Header=BB6_5548 Depth=3
	s_and_b32 vcc_lo, exec_lo, s22
	s_cbranch_vccz .LBB6_6512
; %bb.6499:                             ;   in Loop: Header=BB6_5548 Depth=3
	s_mov_b32 s22, 0
	s_mov_b32 s16, exec_lo
	v_cmpx_lt_i16_e32 0x7f, v1
	s_xor_b32 s16, exec_lo, s16
	s_cbranch_execz .LBB6_8062
; %bb.6500:                             ;   in Loop: Header=BB6_5548 Depth=3
	s_mov_b32 s22, -1
	s_mov_b32 s23, exec_lo
	v_cmpx_eq_u16_e32 0x80, v1
; %bb.6501:                             ;   in Loop: Header=BB6_5548 Depth=3
	s_xor_b32 s22, exec_lo, -1
; %bb.6502:                             ;   in Loop: Header=BB6_5548 Depth=3
	s_or_b32 exec_lo, exec_lo, s23
	s_and_b32 s22, s22, exec_lo
                                        ; implicit-def: $vgpr1
	s_or_saveexec_b32 s16, s16
	v_mov_b32_e32 v4, 0x7f800001
	s_xor_b32 exec_lo, exec_lo, s16
	s_cbranch_execnz .LBB6_8063
.LBB6_6503:                             ;   in Loop: Header=BB6_5548 Depth=3
	s_or_b32 exec_lo, exec_lo, s16
	s_and_saveexec_b32 s16, s22
	s_cbranch_execz .LBB6_6505
.LBB6_6504:                             ;   in Loop: Header=BB6_5548 Depth=3
	v_bfe_u32 v1, v34, 16, 3
	v_bfe_u32 v4, v34, 19, 4
	v_ffbh_u32_e32 v5, v1
	v_cmp_eq_u32_e32 vcc_lo, 0, v4
	v_min_u32_e32 v5, 32, v5
	v_subrev_nc_u32_e32 v31, 28, v5
	v_sub_nc_u32_e32 v5, 29, v5
	v_lshlrev_b32_sdwa v31, v31, v34 dst_sel:DWORD dst_unused:UNUSED_PAD src0_sel:DWORD src1_sel:WORD_1
	v_cndmask_b32_e32 v4, v4, v5, vcc_lo
	v_lshlrev_b32_sdwa v5, v73, v34 dst_sel:DWORD dst_unused:UNUSED_PAD src0_sel:DWORD src1_sel:WORD_1
	v_and_b32_e32 v31, 7, v31
	v_lshl_add_u32 v4, v4, 23, 0x3b800000
	v_and_b32_e32 v5, 0x80000000, v5
	v_cndmask_b32_e32 v1, v1, v31, vcc_lo
	v_lshlrev_b32_e32 v1, 20, v1
	v_or3_b32 v4, v5, v4, v1
.LBB6_6505:                             ;   in Loop: Header=BB6_5548 Depth=3
	s_or_b32 exec_lo, exec_lo, s16
	v_and_b32_sdwa v5, v26, v72 dst_sel:DWORD dst_unused:UNUSED_PAD src0_sel:WORD_1 src1_sel:DWORD
	s_mov_b32 s22, 0
	s_mov_b32 s16, exec_lo
	v_cmpx_lt_i16_e32 0x7f, v5
	s_xor_b32 s16, exec_lo, s16
	s_cbranch_execz .LBB6_8064
; %bb.6506:                             ;   in Loop: Header=BB6_5548 Depth=3
	s_mov_b32 s22, -1
	s_mov_b32 s23, exec_lo
	v_cmpx_eq_u16_e32 0x80, v5
; %bb.6507:                             ;   in Loop: Header=BB6_5548 Depth=3
	s_xor_b32 s22, exec_lo, -1
; %bb.6508:                             ;   in Loop: Header=BB6_5548 Depth=3
	s_or_b32 exec_lo, exec_lo, s23
	s_and_b32 s22, s22, exec_lo
                                        ; implicit-def: $vgpr5
	s_or_saveexec_b32 s16, s16
	v_mov_b32_e32 v1, 0x7f800001
	s_xor_b32 exec_lo, exec_lo, s16
	s_cbranch_execnz .LBB6_8065
.LBB6_6509:                             ;   in Loop: Header=BB6_5548 Depth=3
	s_or_b32 exec_lo, exec_lo, s16
	s_and_saveexec_b32 s16, s22
	s_cbranch_execz .LBB6_6511
.LBB6_6510:                             ;   in Loop: Header=BB6_5548 Depth=3
	v_bfe_u32 v1, v26, 16, 3
	v_bfe_u32 v5, v26, 19, 4
	v_ffbh_u32_e32 v31, v1
	v_cmp_eq_u32_e32 vcc_lo, 0, v5
	v_min_u32_e32 v31, 32, v31
	v_subrev_nc_u32_e32 v82, 28, v31
	v_sub_nc_u32_e32 v31, 29, v31
	v_lshlrev_b32_sdwa v82, v82, v26 dst_sel:DWORD dst_unused:UNUSED_PAD src0_sel:DWORD src1_sel:WORD_1
	v_cndmask_b32_e32 v5, v5, v31, vcc_lo
	v_lshlrev_b32_sdwa v31, v73, v26 dst_sel:DWORD dst_unused:UNUSED_PAD src0_sel:DWORD src1_sel:WORD_1
	v_and_b32_e32 v82, 7, v82
	v_lshl_add_u32 v5, v5, 23, 0x3b800000
	v_and_b32_e32 v31, 0x80000000, v31
	v_cndmask_b32_e32 v1, v1, v82, vcc_lo
	v_lshlrev_b32_e32 v1, 20, v1
	v_or3_b32 v1, v31, v5, v1
.LBB6_6511:                             ;   in Loop: Header=BB6_5548 Depth=3
	s_or_b32 exec_lo, exec_lo, s16
	v_max_f32_e32 v1, v1, v1
	v_max_f32_e32 v4, v4, v4
	v_min_f32_e32 v4, v4, v1
.LBB6_6512:                             ;   in Loop: Header=BB6_5548 Depth=3
	v_and_b32_e32 v1, 0x7f800000, v4
	v_mov_b32_e32 v84, 0x80
	s_mov_b32 s22, exec_lo
	v_cmpx_ne_u32_e32 0x7f800000, v1
	s_cbranch_execz .LBB6_6520
; %bb.6513:                             ;   in Loop: Header=BB6_5548 Depth=3
	v_mov_b32_e32 v84, 0
	s_mov_b32 s23, exec_lo
	v_cmpx_ne_u32_e32 0, v4
	s_cbranch_execz .LBB6_6519
; %bb.6514:                             ;   in Loop: Header=BB6_5548 Depth=3
	v_bfe_u32 v5, v4, 23, 8
	v_and_b32_e32 v1, 0x7fffff, v4
	v_cmp_gt_u32_e64 s16, 0x79, v5
	v_sub_nc_u32_e32 v31, 0x78, v5
	v_cmp_eq_u32_e32 vcc_lo, 0, v5
	v_or_b32_e32 v82, 0x800000, v1
	v_cndmask_b32_e64 v31, 0, v31, s16
	v_cndmask_b32_e32 v1, v82, v1, vcc_lo
	v_cndmask_b32_e64 v31, v31, 0x77, vcc_lo
	v_lshl_add_u32 v82, 0x100000, v31, -1
	v_lshlrev_b32_e64 v83, v31, 0x80000
	v_and_b32_e32 v82, v82, v1
	v_cmp_eq_u32_e64 s16, v82, v83
	v_lshrrev_b32_e32 v82, v31, v1
	v_add_nc_u32_e32 v1, 0xffffff89, v5
	v_lshrrev_b32_e32 v5, 23, v82
	v_cndmask_b32_e64 v1, v1, 0xffffff8a, vcc_lo
	v_xor_b32_e32 v5, 1, v5
	v_add_nc_u32_e32 v1, v31, v1
	v_bfe_u32 v31, v82, 20, 1
	v_add_nc_u32_e32 v31, -1, v31
	v_cndmask_b32_e64 v31, 0, v31, s16
	s_mov_b32 s16, exec_lo
	v_add_nc_u32_e32 v31, v31, v82
	v_and_b32_e32 v31, 0xfffff, v31
	v_add_nc_u32_e32 v31, v31, v82
                                        ; implicit-def: $vgpr82
	v_cmpx_ne_u32_e64 v1, v5
	s_xor_b32 s16, exec_lo, s16
; %bb.6515:                             ;   in Loop: Header=BB6_5548 Depth=3
	v_cmp_lt_u32_e32 vcc_lo, 0xffffff, v31
	v_sub_nc_u32_e32 v1, v1, v5
	v_cndmask_b32_e64 v5, 0, 1, vcc_lo
	v_add_co_ci_u32_e64 v82, null, 0, v1, vcc_lo
	v_lshrrev_b32_e32 v31, v5, v31
; %bb.6516:                             ;   in Loop: Header=BB6_5548 Depth=3
	s_andn2_saveexec_b32 s16, s16
; %bb.6517:                             ;   in Loop: Header=BB6_5548 Depth=3
	v_bfe_u32 v82, v31, 23, 1
; %bb.6518:                             ;   in Loop: Header=BB6_5548 Depth=3
	s_or_b32 exec_lo, exec_lo, s16
	v_and_b32_sdwa v1, v4, v62 dst_sel:DWORD dst_unused:UNUSED_PAD src0_sel:BYTE_3 src1_sel:DWORD
	v_lshrrev_b32_e32 v4, 20, v31
	v_min_i32_e32 v5, 15, v82
	v_cmp_gt_i32_e32 vcc_lo, 16, v82
	v_lshlrev_b32_e32 v5, 3, v5
	v_cndmask_b32_e32 v4, 7, v4, vcc_lo
	v_and_b32_e32 v5, 0xf8, v5
	v_or_b32_e32 v31, v82, v4
	v_and_b32_e32 v4, 7, v4
	v_cmp_ne_u32_e32 vcc_lo, 0, v31
	v_or3_b32 v1, v5, v1, v4
	v_cndmask_b32_e32 v84, 0, v1, vcc_lo
.LBB6_6519:                             ;   in Loop: Header=BB6_5548 Depth=3
	s_or_b32 exec_lo, exec_lo, s23
.LBB6_6520:                             ;   in Loop: Header=BB6_5548 Depth=3
	s_or_b32 exec_lo, exec_lo, s22
	v_cmp_gt_i16_sdwa s22, v34, v61 src0_sel:BYTE_3 src1_sel:DWORD
	s_andn2_b32 vcc_lo, exec_lo, s19
	s_mov_b32 s16, -1
                                        ; implicit-def: $vgpr1
	s_cbranch_vccnz .LBB6_6534
; %bb.6521:                             ;   in Loop: Header=BB6_5548 Depth=3
	s_mov_b32 s16, 0
	s_and_saveexec_b32 s23, s22
	s_xor_b32 s22, exec_lo, s23
	s_cbranch_execz .LBB6_8066
; %bb.6522:                             ;   in Loop: Header=BB6_5548 Depth=3
	v_cmp_eq_u16_sdwa s73, v34, v62 src0_sel:BYTE_3 src1_sel:DWORD
	s_mov_b32 s16, -1
	s_and_saveexec_b32 s23, s73
; %bb.6523:                             ;   in Loop: Header=BB6_5548 Depth=3
	s_xor_b32 s16, exec_lo, -1
; %bb.6524:                             ;   in Loop: Header=BB6_5548 Depth=3
	s_or_b32 exec_lo, exec_lo, s23
	s_and_b32 s16, s16, exec_lo
	s_or_saveexec_b32 s22, s22
	v_mov_b32_e32 v1, 0x7f800001
	s_xor_b32 exec_lo, exec_lo, s22
	s_cbranch_execnz .LBB6_8067
.LBB6_6525:                             ;   in Loop: Header=BB6_5548 Depth=3
	s_or_b32 exec_lo, exec_lo, s22
	s_and_saveexec_b32 s22, s16
	s_cbranch_execz .LBB6_6527
.LBB6_6526:                             ;   in Loop: Header=BB6_5548 Depth=3
	v_bfe_u32 v1, v34, 24, 3
	v_bfe_u32 v31, v34, 27, 4
	v_ffbh_u32_e32 v4, v1
	v_cmp_eq_u32_e32 vcc_lo, 0, v31
	v_min_u32_e32 v4, 32, v4
	v_subrev_nc_u32_e32 v5, 28, v4
	v_sub_nc_u32_e32 v4, 29, v4
	v_lshlrev_b32_sdwa v5, v5, v34 dst_sel:DWORD dst_unused:UNUSED_PAD src0_sel:DWORD src1_sel:BYTE_3
	v_cndmask_b32_e32 v4, v31, v4, vcc_lo
	v_and_b32_e32 v5, 7, v5
	v_lshl_add_u32 v4, v4, 23, 0x3b800000
	v_cndmask_b32_e32 v1, v1, v5, vcc_lo
	v_and_b32_e32 v5, 0x80000000, v34
	v_lshlrev_b32_e32 v1, 20, v1
	v_or3_b32 v1, v5, v4, v1
.LBB6_6527:                             ;   in Loop: Header=BB6_5548 Depth=3
	s_or_b32 exec_lo, exec_lo, s22
	v_cmp_gt_i16_sdwa s22, v26, v61 src0_sel:BYTE_3 src1_sel:DWORD
	s_mov_b32 s16, 0
	s_and_saveexec_b32 s23, s22
	s_xor_b32 s22, exec_lo, s23
	s_cbranch_execz .LBB6_8068
; %bb.6528:                             ;   in Loop: Header=BB6_5548 Depth=3
	v_cmp_eq_u16_sdwa s73, v26, v62 src0_sel:BYTE_3 src1_sel:DWORD
	s_mov_b32 s16, -1
	s_and_saveexec_b32 s23, s73
; %bb.6529:                             ;   in Loop: Header=BB6_5548 Depth=3
	s_xor_b32 s16, exec_lo, -1
; %bb.6530:                             ;   in Loop: Header=BB6_5548 Depth=3
	s_or_b32 exec_lo, exec_lo, s23
	s_and_b32 s16, s16, exec_lo
	s_or_saveexec_b32 s22, s22
	v_mov_b32_e32 v4, 0x7f800001
	s_xor_b32 exec_lo, exec_lo, s22
	s_cbranch_execnz .LBB6_8069
.LBB6_6531:                             ;   in Loop: Header=BB6_5548 Depth=3
	s_or_b32 exec_lo, exec_lo, s22
	s_and_saveexec_b32 s22, s16
	s_cbranch_execz .LBB6_6533
.LBB6_6532:                             ;   in Loop: Header=BB6_5548 Depth=3
	v_bfe_u32 v4, v26, 24, 3
	v_bfe_u32 v82, v26, 27, 4
	v_ffbh_u32_e32 v5, v4
	v_cmp_eq_u32_e32 vcc_lo, 0, v82
	v_min_u32_e32 v5, 32, v5
	v_subrev_nc_u32_e32 v31, 28, v5
	v_sub_nc_u32_e32 v5, 29, v5
	v_lshlrev_b32_sdwa v31, v31, v26 dst_sel:DWORD dst_unused:UNUSED_PAD src0_sel:DWORD src1_sel:BYTE_3
	v_cndmask_b32_e32 v5, v82, v5, vcc_lo
	v_and_b32_e32 v31, 7, v31
	v_lshl_add_u32 v5, v5, 23, 0x3b800000
	v_cndmask_b32_e32 v4, v4, v31, vcc_lo
	v_and_b32_e32 v31, 0x80000000, v26
	v_lshlrev_b32_e32 v4, 20, v4
	v_or3_b32 v4, v31, v5, v4
.LBB6_6533:                             ;   in Loop: Header=BB6_5548 Depth=3
	s_or_b32 exec_lo, exec_lo, s22
	v_max_f32_e32 v4, v4, v4
	v_max_f32_e32 v1, v1, v1
	s_mov_b32 s16, 0
	v_max_f32_e32 v1, v1, v4
.LBB6_6534:                             ;   in Loop: Header=BB6_5548 Depth=3
	s_and_b32 vcc_lo, exec_lo, s16
	s_cbranch_vccz .LBB6_6548
; %bb.6535:                             ;   in Loop: Header=BB6_5548 Depth=3
	v_cmp_gt_i16_sdwa s22, v34, v61 src0_sel:BYTE_3 src1_sel:DWORD
	s_mov_b32 s16, 0
	s_and_saveexec_b32 s23, s22
	s_xor_b32 s22, exec_lo, s23
	s_cbranch_execz .LBB6_8070
; %bb.6536:                             ;   in Loop: Header=BB6_5548 Depth=3
	v_cmp_eq_u16_sdwa s73, v34, v62 src0_sel:BYTE_3 src1_sel:DWORD
	s_mov_b32 s16, -1
	s_and_saveexec_b32 s23, s73
; %bb.6537:                             ;   in Loop: Header=BB6_5548 Depth=3
	s_xor_b32 s16, exec_lo, -1
; %bb.6538:                             ;   in Loop: Header=BB6_5548 Depth=3
	s_or_b32 exec_lo, exec_lo, s23
	s_and_b32 s16, s16, exec_lo
	s_or_saveexec_b32 s22, s22
	v_mov_b32_e32 v1, 0x7f800001
	s_xor_b32 exec_lo, exec_lo, s22
	s_cbranch_execnz .LBB6_8071
.LBB6_6539:                             ;   in Loop: Header=BB6_5548 Depth=3
	s_or_b32 exec_lo, exec_lo, s22
	s_and_saveexec_b32 s22, s16
	s_cbranch_execz .LBB6_6541
.LBB6_6540:                             ;   in Loop: Header=BB6_5548 Depth=3
	v_bfe_u32 v1, v34, 24, 3
	v_bfe_u32 v31, v34, 27, 4
	v_ffbh_u32_e32 v4, v1
	v_cmp_eq_u32_e32 vcc_lo, 0, v31
	v_min_u32_e32 v4, 32, v4
	v_subrev_nc_u32_e32 v5, 28, v4
	v_sub_nc_u32_e32 v4, 29, v4
	v_lshlrev_b32_sdwa v5, v5, v34 dst_sel:DWORD dst_unused:UNUSED_PAD src0_sel:DWORD src1_sel:BYTE_3
	v_cndmask_b32_e32 v4, v31, v4, vcc_lo
	v_and_b32_e32 v5, 7, v5
	v_lshl_add_u32 v4, v4, 23, 0x3b800000
	v_cndmask_b32_e32 v1, v1, v5, vcc_lo
	v_and_b32_e32 v5, 0x80000000, v34
	v_lshlrev_b32_e32 v1, 20, v1
	v_or3_b32 v1, v5, v4, v1
.LBB6_6541:                             ;   in Loop: Header=BB6_5548 Depth=3
	s_or_b32 exec_lo, exec_lo, s22
	v_cmp_gt_i16_sdwa s22, v26, v61 src0_sel:BYTE_3 src1_sel:DWORD
	s_mov_b32 s16, 0
	s_and_saveexec_b32 s23, s22
	s_xor_b32 s22, exec_lo, s23
	s_cbranch_execz .LBB6_8072
; %bb.6542:                             ;   in Loop: Header=BB6_5548 Depth=3
	v_cmp_eq_u16_sdwa s73, v26, v62 src0_sel:BYTE_3 src1_sel:DWORD
	s_mov_b32 s16, -1
	s_and_saveexec_b32 s23, s73
; %bb.6543:                             ;   in Loop: Header=BB6_5548 Depth=3
	s_xor_b32 s16, exec_lo, -1
; %bb.6544:                             ;   in Loop: Header=BB6_5548 Depth=3
	s_or_b32 exec_lo, exec_lo, s23
	s_and_b32 s16, s16, exec_lo
	s_or_saveexec_b32 s22, s22
	v_mov_b32_e32 v4, 0x7f800001
	s_xor_b32 exec_lo, exec_lo, s22
	s_cbranch_execnz .LBB6_8073
.LBB6_6545:                             ;   in Loop: Header=BB6_5548 Depth=3
	s_or_b32 exec_lo, exec_lo, s22
	s_and_saveexec_b32 s22, s16
	s_cbranch_execz .LBB6_6547
.LBB6_6546:                             ;   in Loop: Header=BB6_5548 Depth=3
	v_bfe_u32 v4, v26, 24, 3
	v_bfe_u32 v34, v26, 27, 4
	v_ffbh_u32_e32 v5, v4
	v_cmp_eq_u32_e32 vcc_lo, 0, v34
	v_min_u32_e32 v5, 32, v5
	v_subrev_nc_u32_e32 v31, 28, v5
	v_sub_nc_u32_e32 v5, 29, v5
	v_lshlrev_b32_sdwa v31, v31, v26 dst_sel:DWORD dst_unused:UNUSED_PAD src0_sel:DWORD src1_sel:BYTE_3
	v_cndmask_b32_e32 v5, v34, v5, vcc_lo
	v_and_b32_e32 v26, 0x80000000, v26
	v_and_b32_e32 v31, 7, v31
	v_lshl_add_u32 v5, v5, 23, 0x3b800000
	v_cndmask_b32_e32 v4, v4, v31, vcc_lo
	v_lshlrev_b32_e32 v4, 20, v4
	v_or3_b32 v4, v26, v5, v4
.LBB6_6547:                             ;   in Loop: Header=BB6_5548 Depth=3
	s_or_b32 exec_lo, exec_lo, s22
	v_max_f32_e32 v4, v4, v4
	v_max_f32_e32 v1, v1, v1
	v_min_f32_e32 v1, v1, v4
.LBB6_6548:                             ;   in Loop: Header=BB6_5548 Depth=3
	v_and_b32_e32 v4, 0x7f800000, v1
	v_mov_b32_e32 v26, 0x8000
	s_mov_b32 s22, exec_lo
	v_cmpx_ne_u32_e32 0x7f800000, v4
	s_cbranch_execz .LBB6_6556
; %bb.6549:                             ;   in Loop: Header=BB6_5548 Depth=3
	v_mov_b32_e32 v26, 0
	s_mov_b32 s23, exec_lo
	v_cmpx_ne_u32_e32 0, v1
	s_cbranch_execz .LBB6_6555
; %bb.6550:                             ;   in Loop: Header=BB6_5548 Depth=3
	v_bfe_u32 v5, v1, 23, 8
	v_and_b32_e32 v4, 0x7fffff, v1
	v_cmp_gt_u32_e64 s16, 0x79, v5
	v_sub_nc_u32_e32 v26, 0x78, v5
	v_cmp_eq_u32_e32 vcc_lo, 0, v5
	v_or_b32_e32 v31, 0x800000, v4
	v_cndmask_b32_e64 v26, 0, v26, s16
	v_cndmask_b32_e32 v4, v31, v4, vcc_lo
	v_cndmask_b32_e64 v26, v26, 0x77, vcc_lo
	v_lshl_add_u32 v31, 0x100000, v26, -1
	v_lshlrev_b32_e64 v34, v26, 0x80000
	v_and_b32_e32 v31, v31, v4
	v_cmp_eq_u32_e64 s16, v31, v34
	v_lshrrev_b32_e32 v31, v26, v4
	v_add_nc_u32_e32 v4, 0xffffff89, v5
	v_lshrrev_b32_e32 v5, 23, v31
	v_cndmask_b32_e64 v4, v4, 0xffffff8a, vcc_lo
	v_xor_b32_e32 v5, 1, v5
	v_add_nc_u32_e32 v4, v26, v4
	v_bfe_u32 v26, v31, 20, 1
	v_add_nc_u32_e32 v26, -1, v26
	v_cndmask_b32_e64 v26, 0, v26, s16
	s_mov_b32 s16, exec_lo
	v_add_nc_u32_e32 v26, v26, v31
	v_and_b32_e32 v26, 0xfffff, v26
	v_add_nc_u32_e32 v26, v26, v31
                                        ; implicit-def: $vgpr31
	v_cmpx_ne_u32_e64 v4, v5
	s_xor_b32 s16, exec_lo, s16
; %bb.6551:                             ;   in Loop: Header=BB6_5548 Depth=3
	v_cmp_lt_u32_e32 vcc_lo, 0xffffff, v26
	v_sub_nc_u32_e32 v4, v4, v5
	v_cndmask_b32_e64 v5, 0, 1, vcc_lo
	v_add_co_ci_u32_e64 v31, null, 0, v4, vcc_lo
	v_lshrrev_b32_e32 v26, v5, v26
; %bb.6552:                             ;   in Loop: Header=BB6_5548 Depth=3
	s_andn2_saveexec_b32 s16, s16
; %bb.6553:                             ;   in Loop: Header=BB6_5548 Depth=3
	v_bfe_u32 v31, v26, 23, 1
; %bb.6554:                             ;   in Loop: Header=BB6_5548 Depth=3
	s_or_b32 exec_lo, exec_lo, s16
	v_lshrrev_b32_e32 v4, 20, v26
	v_min_i32_e32 v5, 15, v31
	v_cmp_gt_i32_e32 vcc_lo, 16, v31
	v_and_b32_sdwa v1, v1, v62 dst_sel:DWORD dst_unused:UNUSED_PAD src0_sel:BYTE_3 src1_sel:DWORD
	v_lshlrev_b32_e32 v5, 3, v5
	v_cndmask_b32_e32 v4, 7, v4, vcc_lo
	v_and_b32_e32 v5, 0xf8, v5
	v_or_b32_e32 v26, v31, v4
	v_and_b32_e32 v4, 7, v4
	v_cmp_ne_u32_e32 vcc_lo, 0, v26
	v_or3_b32 v1, v1, v5, v4
	v_lshlrev_b32_e32 v1, 8, v1
	v_cndmask_b32_e32 v26, 0, v1, vcc_lo
.LBB6_6555:                             ;   in Loop: Header=BB6_5548 Depth=3
	s_or_b32 exec_lo, exec_lo, s23
.LBB6_6556:                             ;   in Loop: Header=BB6_5548 Depth=3
	s_or_b32 exec_lo, exec_lo, s22
	v_cmp_gt_i16_sdwa s23, v35, v61 src0_sel:BYTE_0 src1_sel:DWORD
	s_andn2_b32 vcc_lo, exec_lo, s19
	s_mov_b32 s16, -1
                                        ; implicit-def: $vgpr1
	s_cbranch_vccnz .LBB6_6570
; %bb.6557:                             ;   in Loop: Header=BB6_5548 Depth=3
	s_mov_b32 s22, 0
	s_and_saveexec_b32 s16, s23
	s_xor_b32 s16, exec_lo, s16
	s_cbranch_execz .LBB6_8074
; %bb.6558:                             ;   in Loop: Header=BB6_5548 Depth=3
	v_cmp_eq_u16_sdwa s73, v35, v62 src0_sel:BYTE_0 src1_sel:DWORD
	s_mov_b32 s22, -1
	s_and_saveexec_b32 s23, s73
; %bb.6559:                             ;   in Loop: Header=BB6_5548 Depth=3
	s_xor_b32 s22, exec_lo, -1
; %bb.6560:                             ;   in Loop: Header=BB6_5548 Depth=3
	s_or_b32 exec_lo, exec_lo, s23
	s_and_b32 s22, s22, exec_lo
	s_or_saveexec_b32 s16, s16
	v_mov_b32_e32 v1, 0x7f800001
	s_xor_b32 exec_lo, exec_lo, s16
	s_cbranch_execnz .LBB6_8075
.LBB6_6561:                             ;   in Loop: Header=BB6_5548 Depth=3
	s_or_b32 exec_lo, exec_lo, s16
	s_and_saveexec_b32 s16, s22
	s_cbranch_execz .LBB6_6563
.LBB6_6562:                             ;   in Loop: Header=BB6_5548 Depth=3
	v_and_b32_e32 v1, 7, v35
	v_bfe_u32 v4, v35, 3, 4
	v_ffbh_u32_e32 v5, v1
	v_cmp_eq_u32_e32 vcc_lo, 0, v4
	v_min_u32_e32 v5, 32, v5
	v_subrev_nc_u32_e32 v31, 28, v5
	v_sub_nc_u32_e32 v5, 29, v5
	v_lshlrev_b32_e32 v31, v31, v35
	v_cndmask_b32_e32 v4, v4, v5, vcc_lo
	v_lshlrev_b32_e32 v5, 24, v35
	v_and_b32_e32 v31, 7, v31
	v_lshl_add_u32 v4, v4, 23, 0x3b800000
	v_and_b32_e32 v5, 0x80000000, v5
	v_cndmask_b32_e32 v1, v1, v31, vcc_lo
	v_lshlrev_b32_e32 v1, 20, v1
	v_or3_b32 v1, v5, v4, v1
.LBB6_6563:                             ;   in Loop: Header=BB6_5548 Depth=3
	s_or_b32 exec_lo, exec_lo, s16
	v_cmp_gt_i16_sdwa s16, v27, v61 src0_sel:BYTE_0 src1_sel:DWORD
	s_mov_b32 s22, 0
	s_and_saveexec_b32 s23, s16
	s_xor_b32 s16, exec_lo, s23
	s_cbranch_execz .LBB6_8076
; %bb.6564:                             ;   in Loop: Header=BB6_5548 Depth=3
	v_cmp_eq_u16_sdwa s73, v27, v62 src0_sel:BYTE_0 src1_sel:DWORD
	s_mov_b32 s22, -1
	s_and_saveexec_b32 s23, s73
; %bb.6565:                             ;   in Loop: Header=BB6_5548 Depth=3
	s_xor_b32 s22, exec_lo, -1
; %bb.6566:                             ;   in Loop: Header=BB6_5548 Depth=3
	s_or_b32 exec_lo, exec_lo, s23
	s_and_b32 s22, s22, exec_lo
	s_or_saveexec_b32 s16, s16
	v_mov_b32_e32 v4, 0x7f800001
	s_xor_b32 exec_lo, exec_lo, s16
	s_cbranch_execnz .LBB6_8077
.LBB6_6567:                             ;   in Loop: Header=BB6_5548 Depth=3
	s_or_b32 exec_lo, exec_lo, s16
	s_and_saveexec_b32 s16, s22
	s_cbranch_execz .LBB6_6569
.LBB6_6568:                             ;   in Loop: Header=BB6_5548 Depth=3
	v_and_b32_e32 v4, 7, v27
	v_bfe_u32 v5, v27, 3, 4
	v_ffbh_u32_e32 v31, v4
	v_cmp_eq_u32_e32 vcc_lo, 0, v5
	v_min_u32_e32 v31, 32, v31
	v_subrev_nc_u32_e32 v34, 28, v31
	v_sub_nc_u32_e32 v31, 29, v31
	v_lshlrev_b32_e32 v34, v34, v27
	v_cndmask_b32_e32 v5, v5, v31, vcc_lo
	v_lshlrev_b32_e32 v31, 24, v27
	v_and_b32_e32 v34, 7, v34
	v_lshl_add_u32 v5, v5, 23, 0x3b800000
	v_and_b32_e32 v31, 0x80000000, v31
	v_cndmask_b32_e32 v4, v4, v34, vcc_lo
	v_lshlrev_b32_e32 v4, 20, v4
	v_or3_b32 v4, v31, v5, v4
.LBB6_6569:                             ;   in Loop: Header=BB6_5548 Depth=3
	s_or_b32 exec_lo, exec_lo, s16
	v_max_f32_e32 v4, v4, v4
	v_max_f32_e32 v1, v1, v1
	s_mov_b32 s16, 0
	v_max_f32_e32 v1, v1, v4
.LBB6_6570:                             ;   in Loop: Header=BB6_5548 Depth=3
	s_and_b32 vcc_lo, exec_lo, s16
	s_cbranch_vccz .LBB6_6584
; %bb.6571:                             ;   in Loop: Header=BB6_5548 Depth=3
	v_cmp_gt_i16_sdwa s16, v35, v61 src0_sel:BYTE_0 src1_sel:DWORD
	s_mov_b32 s22, 0
	s_and_saveexec_b32 s23, s16
	s_xor_b32 s16, exec_lo, s23
	s_cbranch_execz .LBB6_8078
; %bb.6572:                             ;   in Loop: Header=BB6_5548 Depth=3
	v_cmp_eq_u16_sdwa s73, v35, v62 src0_sel:BYTE_0 src1_sel:DWORD
	s_mov_b32 s22, -1
	s_and_saveexec_b32 s23, s73
; %bb.6573:                             ;   in Loop: Header=BB6_5548 Depth=3
	s_xor_b32 s22, exec_lo, -1
; %bb.6574:                             ;   in Loop: Header=BB6_5548 Depth=3
	s_or_b32 exec_lo, exec_lo, s23
	s_and_b32 s22, s22, exec_lo
	s_or_saveexec_b32 s16, s16
	v_mov_b32_e32 v1, 0x7f800001
	s_xor_b32 exec_lo, exec_lo, s16
	s_cbranch_execnz .LBB6_8079
.LBB6_6575:                             ;   in Loop: Header=BB6_5548 Depth=3
	s_or_b32 exec_lo, exec_lo, s16
	s_and_saveexec_b32 s16, s22
	s_cbranch_execz .LBB6_6577
.LBB6_6576:                             ;   in Loop: Header=BB6_5548 Depth=3
	v_and_b32_e32 v1, 7, v35
	v_bfe_u32 v4, v35, 3, 4
	v_ffbh_u32_e32 v5, v1
	v_cmp_eq_u32_e32 vcc_lo, 0, v4
	v_min_u32_e32 v5, 32, v5
	v_subrev_nc_u32_e32 v31, 28, v5
	v_sub_nc_u32_e32 v5, 29, v5
	v_lshlrev_b32_e32 v31, v31, v35
	v_cndmask_b32_e32 v4, v4, v5, vcc_lo
	v_lshlrev_b32_e32 v5, 24, v35
	v_and_b32_e32 v31, 7, v31
	v_lshl_add_u32 v4, v4, 23, 0x3b800000
	v_and_b32_e32 v5, 0x80000000, v5
	v_cndmask_b32_e32 v1, v1, v31, vcc_lo
	v_lshlrev_b32_e32 v1, 20, v1
	v_or3_b32 v1, v5, v4, v1
.LBB6_6577:                             ;   in Loop: Header=BB6_5548 Depth=3
	s_or_b32 exec_lo, exec_lo, s16
	v_cmp_gt_i16_sdwa s16, v27, v61 src0_sel:BYTE_0 src1_sel:DWORD
	s_mov_b32 s22, 0
	s_and_saveexec_b32 s23, s16
	s_xor_b32 s16, exec_lo, s23
	s_cbranch_execz .LBB6_8080
; %bb.6578:                             ;   in Loop: Header=BB6_5548 Depth=3
	v_cmp_eq_u16_sdwa s73, v27, v62 src0_sel:BYTE_0 src1_sel:DWORD
	s_mov_b32 s22, -1
	s_and_saveexec_b32 s23, s73
; %bb.6579:                             ;   in Loop: Header=BB6_5548 Depth=3
	s_xor_b32 s22, exec_lo, -1
; %bb.6580:                             ;   in Loop: Header=BB6_5548 Depth=3
	s_or_b32 exec_lo, exec_lo, s23
	s_and_b32 s22, s22, exec_lo
	s_or_saveexec_b32 s16, s16
	v_mov_b32_e32 v4, 0x7f800001
	s_xor_b32 exec_lo, exec_lo, s16
	s_cbranch_execnz .LBB6_8081
.LBB6_6581:                             ;   in Loop: Header=BB6_5548 Depth=3
	s_or_b32 exec_lo, exec_lo, s16
	s_and_saveexec_b32 s16, s22
	s_cbranch_execz .LBB6_6583
.LBB6_6582:                             ;   in Loop: Header=BB6_5548 Depth=3
	v_and_b32_e32 v4, 7, v27
	v_bfe_u32 v5, v27, 3, 4
	v_ffbh_u32_e32 v31, v4
	v_cmp_eq_u32_e32 vcc_lo, 0, v5
	v_min_u32_e32 v31, 32, v31
	v_subrev_nc_u32_e32 v34, 28, v31
	v_sub_nc_u32_e32 v31, 29, v31
	v_lshlrev_b32_e32 v34, v34, v27
	v_cndmask_b32_e32 v5, v5, v31, vcc_lo
	v_lshlrev_b32_e32 v31, 24, v27
	v_and_b32_e32 v34, 7, v34
	v_lshl_add_u32 v5, v5, 23, 0x3b800000
	v_and_b32_e32 v31, 0x80000000, v31
	v_cndmask_b32_e32 v4, v4, v34, vcc_lo
	v_lshlrev_b32_e32 v4, 20, v4
	v_or3_b32 v4, v31, v5, v4
.LBB6_6583:                             ;   in Loop: Header=BB6_5548 Depth=3
	s_or_b32 exec_lo, exec_lo, s16
	v_max_f32_e32 v4, v4, v4
	v_max_f32_e32 v1, v1, v1
	v_min_f32_e32 v1, v1, v4
.LBB6_6584:                             ;   in Loop: Header=BB6_5548 Depth=3
	v_and_b32_e32 v4, 0x7f800000, v1
	v_mov_b32_e32 v34, 0x80
	s_mov_b32 s22, exec_lo
	v_cmpx_ne_u32_e32 0x7f800000, v4
	s_cbranch_execz .LBB6_6592
; %bb.6585:                             ;   in Loop: Header=BB6_5548 Depth=3
	v_mov_b32_e32 v34, 0
	s_mov_b32 s23, exec_lo
	v_cmpx_ne_u32_e32 0, v1
	s_cbranch_execz .LBB6_6591
; %bb.6586:                             ;   in Loop: Header=BB6_5548 Depth=3
	v_bfe_u32 v5, v1, 23, 8
	v_and_b32_e32 v4, 0x7fffff, v1
	v_cmp_gt_u32_e64 s16, 0x79, v5
	v_sub_nc_u32_e32 v31, 0x78, v5
	v_cmp_eq_u32_e32 vcc_lo, 0, v5
	v_or_b32_e32 v34, 0x800000, v4
	v_cndmask_b32_e64 v31, 0, v31, s16
	v_cndmask_b32_e32 v4, v34, v4, vcc_lo
	v_cndmask_b32_e64 v31, v31, 0x77, vcc_lo
	v_lshl_add_u32 v34, 0x100000, v31, -1
	v_lshlrev_b32_e64 v82, v31, 0x80000
	v_and_b32_e32 v34, v34, v4
	v_cmp_eq_u32_e64 s16, v34, v82
	v_lshrrev_b32_e32 v34, v31, v4
	v_add_nc_u32_e32 v4, 0xffffff89, v5
	v_lshrrev_b32_e32 v5, 23, v34
	v_cndmask_b32_e64 v4, v4, 0xffffff8a, vcc_lo
	v_xor_b32_e32 v5, 1, v5
	v_add_nc_u32_e32 v4, v31, v4
	v_bfe_u32 v31, v34, 20, 1
	v_add_nc_u32_e32 v31, -1, v31
	v_cndmask_b32_e64 v31, 0, v31, s16
	s_mov_b32 s16, exec_lo
	v_add_nc_u32_e32 v31, v31, v34
	v_and_b32_e32 v31, 0xfffff, v31
	v_add_nc_u32_e32 v31, v31, v34
                                        ; implicit-def: $vgpr34
	v_cmpx_ne_u32_e64 v4, v5
	s_xor_b32 s16, exec_lo, s16
; %bb.6587:                             ;   in Loop: Header=BB6_5548 Depth=3
	v_cmp_lt_u32_e32 vcc_lo, 0xffffff, v31
	v_sub_nc_u32_e32 v4, v4, v5
	v_cndmask_b32_e64 v5, 0, 1, vcc_lo
	v_add_co_ci_u32_e64 v34, null, 0, v4, vcc_lo
	v_lshrrev_b32_e32 v31, v5, v31
; %bb.6588:                             ;   in Loop: Header=BB6_5548 Depth=3
	s_andn2_saveexec_b32 s16, s16
; %bb.6589:                             ;   in Loop: Header=BB6_5548 Depth=3
	v_bfe_u32 v34, v31, 23, 1
; %bb.6590:                             ;   in Loop: Header=BB6_5548 Depth=3
	s_or_b32 exec_lo, exec_lo, s16
	v_lshrrev_b32_e32 v4, 20, v31
	v_min_i32_e32 v5, 15, v34
	v_cmp_gt_i32_e32 vcc_lo, 16, v34
	v_and_b32_sdwa v1, v1, v62 dst_sel:DWORD dst_unused:UNUSED_PAD src0_sel:BYTE_3 src1_sel:DWORD
	v_lshlrev_b32_e32 v5, 3, v5
	v_cndmask_b32_e32 v4, 7, v4, vcc_lo
	v_and_b32_e32 v5, 0xf8, v5
	v_or_b32_e32 v31, v34, v4
	v_and_b32_e32 v4, 7, v4
	v_cmp_ne_u32_e32 vcc_lo, 0, v31
	v_or3_b32 v1, v5, v1, v4
	v_cndmask_b32_e32 v34, 0, v1, vcc_lo
.LBB6_6591:                             ;   in Loop: Header=BB6_5548 Depth=3
	s_or_b32 exec_lo, exec_lo, s23
.LBB6_6592:                             ;   in Loop: Header=BB6_5548 Depth=3
	s_or_b32 exec_lo, exec_lo, s22
	v_cmp_gt_i16_sdwa s22, v35, v61 src0_sel:BYTE_1 src1_sel:DWORD
	s_andn2_b32 vcc_lo, exec_lo, s19
	s_mov_b32 s16, -1
                                        ; implicit-def: $vgpr1
	s_cbranch_vccnz .LBB6_6606
; %bb.6593:                             ;   in Loop: Header=BB6_5548 Depth=3
	s_mov_b32 s16, 0
	s_and_saveexec_b32 s23, s22
	s_xor_b32 s22, exec_lo, s23
	s_cbranch_execz .LBB6_8082
; %bb.6594:                             ;   in Loop: Header=BB6_5548 Depth=3
	v_cmp_eq_u16_sdwa s73, v35, v62 src0_sel:BYTE_1 src1_sel:DWORD
	s_mov_b32 s16, -1
	s_and_saveexec_b32 s23, s73
; %bb.6595:                             ;   in Loop: Header=BB6_5548 Depth=3
	s_xor_b32 s16, exec_lo, -1
; %bb.6596:                             ;   in Loop: Header=BB6_5548 Depth=3
	s_or_b32 exec_lo, exec_lo, s23
	s_and_b32 s16, s16, exec_lo
	s_or_saveexec_b32 s22, s22
	v_mov_b32_e32 v1, 0x7f800001
	s_xor_b32 exec_lo, exec_lo, s22
	s_cbranch_execnz .LBB6_8083
.LBB6_6597:                             ;   in Loop: Header=BB6_5548 Depth=3
	s_or_b32 exec_lo, exec_lo, s22
	s_and_saveexec_b32 s22, s16
	s_cbranch_execz .LBB6_6599
.LBB6_6598:                             ;   in Loop: Header=BB6_5548 Depth=3
	v_and_b32_sdwa v1, v63, v35 dst_sel:DWORD dst_unused:UNUSED_PAD src0_sel:DWORD src1_sel:BYTE_1
	v_and_b32_e32 v4, 7, v1
	v_bfe_u32 v82, v1, 3, 4
	v_ffbh_u32_e32 v5, v4
	v_cmp_eq_u32_e32 vcc_lo, 0, v82
	v_min_u32_e32 v5, 32, v5
	v_subrev_nc_u32_e32 v31, 28, v5
	v_sub_nc_u32_e32 v5, 29, v5
	v_lshlrev_b32_e32 v1, v31, v1
	v_lshlrev_b32_e32 v31, 16, v35
	v_cndmask_b32_e32 v5, v82, v5, vcc_lo
	v_and_b32_e32 v1, 7, v1
	v_lshl_add_u32 v5, v5, 23, 0x3b800000
	v_cndmask_b32_e32 v1, v4, v1, vcc_lo
	v_and_b32_e32 v4, 0x80000000, v31
	v_lshlrev_b32_e32 v1, 20, v1
	v_or3_b32 v1, v4, v5, v1
.LBB6_6599:                             ;   in Loop: Header=BB6_5548 Depth=3
	s_or_b32 exec_lo, exec_lo, s22
	v_cmp_gt_i16_sdwa s22, v27, v61 src0_sel:BYTE_1 src1_sel:DWORD
	s_mov_b32 s16, 0
	s_and_saveexec_b32 s23, s22
	s_xor_b32 s22, exec_lo, s23
	s_cbranch_execz .LBB6_8084
; %bb.6600:                             ;   in Loop: Header=BB6_5548 Depth=3
	v_cmp_eq_u16_sdwa s73, v27, v62 src0_sel:BYTE_1 src1_sel:DWORD
	s_mov_b32 s16, -1
	s_and_saveexec_b32 s23, s73
; %bb.6601:                             ;   in Loop: Header=BB6_5548 Depth=3
	s_xor_b32 s16, exec_lo, -1
; %bb.6602:                             ;   in Loop: Header=BB6_5548 Depth=3
	s_or_b32 exec_lo, exec_lo, s23
	s_and_b32 s16, s16, exec_lo
	s_or_saveexec_b32 s22, s22
	v_mov_b32_e32 v4, 0x7f800001
	s_xor_b32 exec_lo, exec_lo, s22
	s_cbranch_execnz .LBB6_8085
.LBB6_6603:                             ;   in Loop: Header=BB6_5548 Depth=3
	s_or_b32 exec_lo, exec_lo, s22
	s_and_saveexec_b32 s22, s16
	s_cbranch_execz .LBB6_6605
.LBB6_6604:                             ;   in Loop: Header=BB6_5548 Depth=3
	v_and_b32_sdwa v4, v63, v27 dst_sel:DWORD dst_unused:UNUSED_PAD src0_sel:DWORD src1_sel:BYTE_1
	v_and_b32_e32 v5, 7, v4
	v_bfe_u32 v83, v4, 3, 4
	v_ffbh_u32_e32 v31, v5
	v_cmp_eq_u32_e32 vcc_lo, 0, v83
	v_min_u32_e32 v31, 32, v31
	v_subrev_nc_u32_e32 v82, 28, v31
	v_sub_nc_u32_e32 v31, 29, v31
	v_lshlrev_b32_e32 v4, v82, v4
	v_lshlrev_b32_e32 v82, 16, v27
	v_cndmask_b32_e32 v31, v83, v31, vcc_lo
	v_and_b32_e32 v4, 7, v4
	v_lshl_add_u32 v31, v31, 23, 0x3b800000
	v_cndmask_b32_e32 v4, v5, v4, vcc_lo
	v_and_b32_e32 v5, 0x80000000, v82
	v_lshlrev_b32_e32 v4, 20, v4
	v_or3_b32 v4, v5, v31, v4
.LBB6_6605:                             ;   in Loop: Header=BB6_5548 Depth=3
	s_or_b32 exec_lo, exec_lo, s22
	v_max_f32_e32 v4, v4, v4
	v_max_f32_e32 v1, v1, v1
	s_mov_b32 s16, 0
	v_max_f32_e32 v1, v1, v4
.LBB6_6606:                             ;   in Loop: Header=BB6_5548 Depth=3
	s_and_b32 vcc_lo, exec_lo, s16
	s_cbranch_vccz .LBB6_6620
; %bb.6607:                             ;   in Loop: Header=BB6_5548 Depth=3
	v_cmp_gt_i16_sdwa s22, v35, v61 src0_sel:BYTE_1 src1_sel:DWORD
	s_mov_b32 s16, 0
	s_and_saveexec_b32 s23, s22
	s_xor_b32 s22, exec_lo, s23
	s_cbranch_execz .LBB6_8086
; %bb.6608:                             ;   in Loop: Header=BB6_5548 Depth=3
	v_cmp_eq_u16_sdwa s73, v35, v62 src0_sel:BYTE_1 src1_sel:DWORD
	s_mov_b32 s16, -1
	s_and_saveexec_b32 s23, s73
; %bb.6609:                             ;   in Loop: Header=BB6_5548 Depth=3
	s_xor_b32 s16, exec_lo, -1
; %bb.6610:                             ;   in Loop: Header=BB6_5548 Depth=3
	s_or_b32 exec_lo, exec_lo, s23
	s_and_b32 s16, s16, exec_lo
	s_or_saveexec_b32 s22, s22
	v_mov_b32_e32 v1, 0x7f800001
	s_xor_b32 exec_lo, exec_lo, s22
	s_cbranch_execnz .LBB6_8087
.LBB6_6611:                             ;   in Loop: Header=BB6_5548 Depth=3
	s_or_b32 exec_lo, exec_lo, s22
	s_and_saveexec_b32 s22, s16
	s_cbranch_execz .LBB6_6613
.LBB6_6612:                             ;   in Loop: Header=BB6_5548 Depth=3
	v_and_b32_sdwa v1, v63, v35 dst_sel:DWORD dst_unused:UNUSED_PAD src0_sel:DWORD src1_sel:BYTE_1
	v_and_b32_e32 v4, 7, v1
	v_bfe_u32 v82, v1, 3, 4
	v_ffbh_u32_e32 v5, v4
	v_cmp_eq_u32_e32 vcc_lo, 0, v82
	v_min_u32_e32 v5, 32, v5
	v_subrev_nc_u32_e32 v31, 28, v5
	v_sub_nc_u32_e32 v5, 29, v5
	v_lshlrev_b32_e32 v1, v31, v1
	v_lshlrev_b32_e32 v31, 16, v35
	v_cndmask_b32_e32 v5, v82, v5, vcc_lo
	v_and_b32_e32 v1, 7, v1
	v_lshl_add_u32 v5, v5, 23, 0x3b800000
	v_cndmask_b32_e32 v1, v4, v1, vcc_lo
	v_and_b32_e32 v4, 0x80000000, v31
	v_lshlrev_b32_e32 v1, 20, v1
	v_or3_b32 v1, v4, v5, v1
.LBB6_6613:                             ;   in Loop: Header=BB6_5548 Depth=3
	s_or_b32 exec_lo, exec_lo, s22
	v_cmp_gt_i16_sdwa s22, v27, v61 src0_sel:BYTE_1 src1_sel:DWORD
	s_mov_b32 s16, 0
	s_and_saveexec_b32 s23, s22
	s_xor_b32 s22, exec_lo, s23
	s_cbranch_execz .LBB6_8088
; %bb.6614:                             ;   in Loop: Header=BB6_5548 Depth=3
	v_cmp_eq_u16_sdwa s73, v27, v62 src0_sel:BYTE_1 src1_sel:DWORD
	s_mov_b32 s16, -1
	s_and_saveexec_b32 s23, s73
; %bb.6615:                             ;   in Loop: Header=BB6_5548 Depth=3
	s_xor_b32 s16, exec_lo, -1
; %bb.6616:                             ;   in Loop: Header=BB6_5548 Depth=3
	s_or_b32 exec_lo, exec_lo, s23
	s_and_b32 s16, s16, exec_lo
	s_or_saveexec_b32 s22, s22
	v_mov_b32_e32 v4, 0x7f800001
	s_xor_b32 exec_lo, exec_lo, s22
	s_cbranch_execnz .LBB6_8089
.LBB6_6617:                             ;   in Loop: Header=BB6_5548 Depth=3
	s_or_b32 exec_lo, exec_lo, s22
	s_and_saveexec_b32 s22, s16
	s_cbranch_execz .LBB6_6619
.LBB6_6618:                             ;   in Loop: Header=BB6_5548 Depth=3
	v_and_b32_sdwa v4, v63, v27 dst_sel:DWORD dst_unused:UNUSED_PAD src0_sel:DWORD src1_sel:BYTE_1
	v_and_b32_e32 v5, 7, v4
	v_bfe_u32 v83, v4, 3, 4
	v_ffbh_u32_e32 v31, v5
	v_cmp_eq_u32_e32 vcc_lo, 0, v83
	v_min_u32_e32 v31, 32, v31
	v_subrev_nc_u32_e32 v82, 28, v31
	v_sub_nc_u32_e32 v31, 29, v31
	v_lshlrev_b32_e32 v4, v82, v4
	v_lshlrev_b32_e32 v82, 16, v27
	v_cndmask_b32_e32 v31, v83, v31, vcc_lo
	v_and_b32_e32 v4, 7, v4
	v_lshl_add_u32 v31, v31, 23, 0x3b800000
	v_cndmask_b32_e32 v4, v5, v4, vcc_lo
	v_and_b32_e32 v5, 0x80000000, v82
	v_lshlrev_b32_e32 v4, 20, v4
	v_or3_b32 v4, v5, v31, v4
.LBB6_6619:                             ;   in Loop: Header=BB6_5548 Depth=3
	s_or_b32 exec_lo, exec_lo, s22
	v_max_f32_e32 v4, v4, v4
	v_max_f32_e32 v1, v1, v1
	v_min_f32_e32 v1, v1, v4
.LBB6_6620:                             ;   in Loop: Header=BB6_5548 Depth=3
	v_and_b32_e32 v4, 0x7f800000, v1
	v_mov_b32_e32 v85, 0x8000
	s_mov_b32 s22, exec_lo
	v_cmpx_ne_u32_e32 0x7f800000, v4
	s_cbranch_execz .LBB6_6628
; %bb.6621:                             ;   in Loop: Header=BB6_5548 Depth=3
	v_mov_b32_e32 v85, 0
	s_mov_b32 s23, exec_lo
	v_cmpx_ne_u32_e32 0, v1
	s_cbranch_execz .LBB6_6627
; %bb.6622:                             ;   in Loop: Header=BB6_5548 Depth=3
	v_bfe_u32 v5, v1, 23, 8
	v_and_b32_e32 v4, 0x7fffff, v1
	v_cmp_gt_u32_e64 s16, 0x79, v5
	v_sub_nc_u32_e32 v31, 0x78, v5
	v_cmp_eq_u32_e32 vcc_lo, 0, v5
	v_or_b32_e32 v82, 0x800000, v4
	v_cndmask_b32_e64 v31, 0, v31, s16
	v_cndmask_b32_e32 v4, v82, v4, vcc_lo
	v_cndmask_b32_e64 v31, v31, 0x77, vcc_lo
	v_lshl_add_u32 v82, 0x100000, v31, -1
	v_lshlrev_b32_e64 v83, v31, 0x80000
	v_and_b32_e32 v82, v82, v4
	v_cmp_eq_u32_e64 s16, v82, v83
	v_lshrrev_b32_e32 v82, v31, v4
	v_add_nc_u32_e32 v4, 0xffffff89, v5
	v_lshrrev_b32_e32 v5, 23, v82
	v_cndmask_b32_e64 v4, v4, 0xffffff8a, vcc_lo
	v_xor_b32_e32 v5, 1, v5
	v_add_nc_u32_e32 v4, v31, v4
	v_bfe_u32 v31, v82, 20, 1
	v_add_nc_u32_e32 v31, -1, v31
	v_cndmask_b32_e64 v31, 0, v31, s16
	s_mov_b32 s16, exec_lo
	v_add_nc_u32_e32 v31, v31, v82
	v_and_b32_e32 v31, 0xfffff, v31
	v_add_nc_u32_e32 v31, v31, v82
                                        ; implicit-def: $vgpr82
	v_cmpx_ne_u32_e64 v4, v5
	s_xor_b32 s16, exec_lo, s16
; %bb.6623:                             ;   in Loop: Header=BB6_5548 Depth=3
	v_cmp_lt_u32_e32 vcc_lo, 0xffffff, v31
	v_sub_nc_u32_e32 v4, v4, v5
	v_cndmask_b32_e64 v5, 0, 1, vcc_lo
	v_add_co_ci_u32_e64 v82, null, 0, v4, vcc_lo
	v_lshrrev_b32_e32 v31, v5, v31
; %bb.6624:                             ;   in Loop: Header=BB6_5548 Depth=3
	s_andn2_saveexec_b32 s16, s16
; %bb.6625:                             ;   in Loop: Header=BB6_5548 Depth=3
	v_bfe_u32 v82, v31, 23, 1
; %bb.6626:                             ;   in Loop: Header=BB6_5548 Depth=3
	s_or_b32 exec_lo, exec_lo, s16
	v_lshrrev_b32_e32 v4, 20, v31
	v_min_i32_e32 v5, 15, v82
	v_cmp_gt_i32_e32 vcc_lo, 16, v82
	v_and_b32_sdwa v1, v1, v62 dst_sel:DWORD dst_unused:UNUSED_PAD src0_sel:BYTE_3 src1_sel:DWORD
	v_lshlrev_b32_e32 v5, 3, v5
	v_cndmask_b32_e32 v4, 7, v4, vcc_lo
	v_and_b32_e32 v5, 0xf8, v5
	v_or_b32_e32 v31, v82, v4
	v_and_b32_e32 v4, 7, v4
	v_cmp_ne_u32_e32 vcc_lo, 0, v31
	v_or3_b32 v1, v1, v5, v4
	v_lshlrev_b32_e32 v1, 8, v1
	v_cndmask_b32_e32 v85, 0, v1, vcc_lo
.LBB6_6627:                             ;   in Loop: Header=BB6_5548 Depth=3
	s_or_b32 exec_lo, exec_lo, s23
.LBB6_6628:                             ;   in Loop: Header=BB6_5548 Depth=3
	s_or_b32 exec_lo, exec_lo, s22
	v_and_b32_sdwa v1, v35, v72 dst_sel:DWORD dst_unused:UNUSED_PAD src0_sel:WORD_1 src1_sel:DWORD
	s_andn2_b32 vcc_lo, exec_lo, s19
	s_mov_b32 s22, -1
                                        ; implicit-def: $vgpr5
	v_cmp_lt_i16_e64 s16, 0x7f, v1
	s_cbranch_vccnz .LBB6_6642
; %bb.6629:                             ;   in Loop: Header=BB6_5548 Depth=3
	s_mov_b32 s22, 0
	s_and_saveexec_b32 s23, s16
	s_xor_b32 s16, exec_lo, s23
	s_cbranch_execz .LBB6_8090
; %bb.6630:                             ;   in Loop: Header=BB6_5548 Depth=3
	s_mov_b32 s22, -1
	s_mov_b32 s23, exec_lo
	v_cmpx_eq_u16_e32 0x80, v1
; %bb.6631:                             ;   in Loop: Header=BB6_5548 Depth=3
	s_xor_b32 s22, exec_lo, -1
; %bb.6632:                             ;   in Loop: Header=BB6_5548 Depth=3
	s_or_b32 exec_lo, exec_lo, s23
	s_and_b32 s22, s22, exec_lo
	s_or_saveexec_b32 s16, s16
	v_mov_b32_e32 v4, 0x7f800001
	s_xor_b32 exec_lo, exec_lo, s16
	s_cbranch_execnz .LBB6_8091
.LBB6_6633:                             ;   in Loop: Header=BB6_5548 Depth=3
	s_or_b32 exec_lo, exec_lo, s16
	s_and_saveexec_b32 s16, s22
	s_cbranch_execz .LBB6_6635
.LBB6_6634:                             ;   in Loop: Header=BB6_5548 Depth=3
	v_bfe_u32 v4, v35, 16, 3
	v_bfe_u32 v5, v35, 19, 4
	v_ffbh_u32_e32 v31, v4
	v_cmp_eq_u32_e32 vcc_lo, 0, v5
	v_min_u32_e32 v31, 32, v31
	v_subrev_nc_u32_e32 v82, 28, v31
	v_sub_nc_u32_e32 v31, 29, v31
	v_lshlrev_b32_sdwa v82, v82, v35 dst_sel:DWORD dst_unused:UNUSED_PAD src0_sel:DWORD src1_sel:WORD_1
	v_cndmask_b32_e32 v5, v5, v31, vcc_lo
	v_lshlrev_b32_sdwa v31, v73, v35 dst_sel:DWORD dst_unused:UNUSED_PAD src0_sel:DWORD src1_sel:WORD_1
	v_and_b32_e32 v82, 7, v82
	v_lshl_add_u32 v5, v5, 23, 0x3b800000
	v_and_b32_e32 v31, 0x80000000, v31
	v_cndmask_b32_e32 v4, v4, v82, vcc_lo
	v_lshlrev_b32_e32 v4, 20, v4
	v_or3_b32 v4, v31, v5, v4
.LBB6_6635:                             ;   in Loop: Header=BB6_5548 Depth=3
	s_or_b32 exec_lo, exec_lo, s16
	v_and_b32_sdwa v31, v27, v72 dst_sel:DWORD dst_unused:UNUSED_PAD src0_sel:WORD_1 src1_sel:DWORD
	s_mov_b32 s22, 0
	s_mov_b32 s16, exec_lo
	v_cmpx_lt_i16_e32 0x7f, v31
	s_xor_b32 s16, exec_lo, s16
	s_cbranch_execz .LBB6_8092
; %bb.6636:                             ;   in Loop: Header=BB6_5548 Depth=3
	s_mov_b32 s22, -1
	s_mov_b32 s23, exec_lo
	v_cmpx_eq_u16_e32 0x80, v31
; %bb.6637:                             ;   in Loop: Header=BB6_5548 Depth=3
	s_xor_b32 s22, exec_lo, -1
; %bb.6638:                             ;   in Loop: Header=BB6_5548 Depth=3
	s_or_b32 exec_lo, exec_lo, s23
	s_and_b32 s22, s22, exec_lo
                                        ; implicit-def: $vgpr31
	s_or_saveexec_b32 s16, s16
	v_mov_b32_e32 v5, 0x7f800001
	s_xor_b32 exec_lo, exec_lo, s16
	s_cbranch_execnz .LBB6_8093
.LBB6_6639:                             ;   in Loop: Header=BB6_5548 Depth=3
	s_or_b32 exec_lo, exec_lo, s16
	s_and_saveexec_b32 s16, s22
	s_cbranch_execz .LBB6_6641
.LBB6_6640:                             ;   in Loop: Header=BB6_5548 Depth=3
	v_bfe_u32 v5, v27, 16, 3
	v_bfe_u32 v31, v27, 19, 4
	v_ffbh_u32_e32 v82, v5
	v_cmp_eq_u32_e32 vcc_lo, 0, v31
	v_min_u32_e32 v82, 32, v82
	v_subrev_nc_u32_e32 v83, 28, v82
	v_sub_nc_u32_e32 v82, 29, v82
	v_lshlrev_b32_sdwa v83, v83, v27 dst_sel:DWORD dst_unused:UNUSED_PAD src0_sel:DWORD src1_sel:WORD_1
	v_cndmask_b32_e32 v31, v31, v82, vcc_lo
	v_lshlrev_b32_sdwa v82, v73, v27 dst_sel:DWORD dst_unused:UNUSED_PAD src0_sel:DWORD src1_sel:WORD_1
	v_and_b32_e32 v83, 7, v83
	v_lshl_add_u32 v31, v31, 23, 0x3b800000
	v_and_b32_e32 v82, 0x80000000, v82
	v_cndmask_b32_e32 v5, v5, v83, vcc_lo
	v_lshlrev_b32_e32 v5, 20, v5
	v_or3_b32 v5, v82, v31, v5
.LBB6_6641:                             ;   in Loop: Header=BB6_5548 Depth=3
	s_or_b32 exec_lo, exec_lo, s16
	v_max_f32_e32 v5, v5, v5
	v_max_f32_e32 v4, v4, v4
	s_mov_b32 s22, 0
	v_max_f32_e32 v5, v4, v5
.LBB6_6642:                             ;   in Loop: Header=BB6_5548 Depth=3
	s_and_b32 vcc_lo, exec_lo, s22
	s_cbranch_vccz .LBB6_6656
; %bb.6643:                             ;   in Loop: Header=BB6_5548 Depth=3
	s_mov_b32 s22, 0
	s_mov_b32 s16, exec_lo
	v_cmpx_lt_i16_e32 0x7f, v1
	s_xor_b32 s16, exec_lo, s16
	s_cbranch_execz .LBB6_8094
; %bb.6644:                             ;   in Loop: Header=BB6_5548 Depth=3
	s_mov_b32 s22, -1
	s_mov_b32 s23, exec_lo
	v_cmpx_eq_u16_e32 0x80, v1
; %bb.6645:                             ;   in Loop: Header=BB6_5548 Depth=3
	s_xor_b32 s22, exec_lo, -1
; %bb.6646:                             ;   in Loop: Header=BB6_5548 Depth=3
	s_or_b32 exec_lo, exec_lo, s23
	s_and_b32 s22, s22, exec_lo
                                        ; implicit-def: $vgpr1
	s_or_saveexec_b32 s16, s16
	v_mov_b32_e32 v4, 0x7f800001
	s_xor_b32 exec_lo, exec_lo, s16
	s_cbranch_execnz .LBB6_8095
.LBB6_6647:                             ;   in Loop: Header=BB6_5548 Depth=3
	s_or_b32 exec_lo, exec_lo, s16
	s_and_saveexec_b32 s16, s22
	s_cbranch_execz .LBB6_6649
.LBB6_6648:                             ;   in Loop: Header=BB6_5548 Depth=3
	v_bfe_u32 v1, v35, 16, 3
	v_bfe_u32 v4, v35, 19, 4
	v_ffbh_u32_e32 v5, v1
	v_cmp_eq_u32_e32 vcc_lo, 0, v4
	v_min_u32_e32 v5, 32, v5
	v_subrev_nc_u32_e32 v31, 28, v5
	v_sub_nc_u32_e32 v5, 29, v5
	v_lshlrev_b32_sdwa v31, v31, v35 dst_sel:DWORD dst_unused:UNUSED_PAD src0_sel:DWORD src1_sel:WORD_1
	v_cndmask_b32_e32 v4, v4, v5, vcc_lo
	v_lshlrev_b32_sdwa v5, v73, v35 dst_sel:DWORD dst_unused:UNUSED_PAD src0_sel:DWORD src1_sel:WORD_1
	v_and_b32_e32 v31, 7, v31
	v_lshl_add_u32 v4, v4, 23, 0x3b800000
	v_and_b32_e32 v5, 0x80000000, v5
	v_cndmask_b32_e32 v1, v1, v31, vcc_lo
	v_lshlrev_b32_e32 v1, 20, v1
	v_or3_b32 v4, v5, v4, v1
.LBB6_6649:                             ;   in Loop: Header=BB6_5548 Depth=3
	s_or_b32 exec_lo, exec_lo, s16
	v_and_b32_sdwa v5, v27, v72 dst_sel:DWORD dst_unused:UNUSED_PAD src0_sel:WORD_1 src1_sel:DWORD
	s_mov_b32 s22, 0
	s_mov_b32 s16, exec_lo
	v_cmpx_lt_i16_e32 0x7f, v5
	s_xor_b32 s16, exec_lo, s16
	s_cbranch_execz .LBB6_8096
; %bb.6650:                             ;   in Loop: Header=BB6_5548 Depth=3
	s_mov_b32 s22, -1
	s_mov_b32 s23, exec_lo
	v_cmpx_eq_u16_e32 0x80, v5
; %bb.6651:                             ;   in Loop: Header=BB6_5548 Depth=3
	s_xor_b32 s22, exec_lo, -1
; %bb.6652:                             ;   in Loop: Header=BB6_5548 Depth=3
	s_or_b32 exec_lo, exec_lo, s23
	s_and_b32 s22, s22, exec_lo
                                        ; implicit-def: $vgpr5
	s_or_saveexec_b32 s16, s16
	v_mov_b32_e32 v1, 0x7f800001
	s_xor_b32 exec_lo, exec_lo, s16
	s_cbranch_execnz .LBB6_8097
.LBB6_6653:                             ;   in Loop: Header=BB6_5548 Depth=3
	s_or_b32 exec_lo, exec_lo, s16
	s_and_saveexec_b32 s16, s22
	s_cbranch_execz .LBB6_6655
.LBB6_6654:                             ;   in Loop: Header=BB6_5548 Depth=3
	v_bfe_u32 v1, v27, 16, 3
	v_bfe_u32 v5, v27, 19, 4
	v_ffbh_u32_e32 v31, v1
	v_cmp_eq_u32_e32 vcc_lo, 0, v5
	v_min_u32_e32 v31, 32, v31
	v_subrev_nc_u32_e32 v82, 28, v31
	v_sub_nc_u32_e32 v31, 29, v31
	v_lshlrev_b32_sdwa v82, v82, v27 dst_sel:DWORD dst_unused:UNUSED_PAD src0_sel:DWORD src1_sel:WORD_1
	v_cndmask_b32_e32 v5, v5, v31, vcc_lo
	v_lshlrev_b32_sdwa v31, v73, v27 dst_sel:DWORD dst_unused:UNUSED_PAD src0_sel:DWORD src1_sel:WORD_1
	v_and_b32_e32 v82, 7, v82
	v_lshl_add_u32 v5, v5, 23, 0x3b800000
	v_and_b32_e32 v31, 0x80000000, v31
	v_cndmask_b32_e32 v1, v1, v82, vcc_lo
	v_lshlrev_b32_e32 v1, 20, v1
	v_or3_b32 v1, v31, v5, v1
.LBB6_6655:                             ;   in Loop: Header=BB6_5548 Depth=3
	s_or_b32 exec_lo, exec_lo, s16
	v_max_f32_e32 v1, v1, v1
	v_max_f32_e32 v4, v4, v4
	v_min_f32_e32 v5, v4, v1
.LBB6_6656:                             ;   in Loop: Header=BB6_5548 Depth=3
	v_and_b32_e32 v1, 0x7f800000, v5
	v_mov_b32_e32 v4, 0x80
	s_mov_b32 s22, exec_lo
	v_cmpx_ne_u32_e32 0x7f800000, v1
	s_cbranch_execz .LBB6_6664
; %bb.6657:                             ;   in Loop: Header=BB6_5548 Depth=3
	v_mov_b32_e32 v4, 0
	s_mov_b32 s23, exec_lo
	v_cmpx_ne_u32_e32 0, v5
	s_cbranch_execz .LBB6_6663
; %bb.6658:                             ;   in Loop: Header=BB6_5548 Depth=3
	v_bfe_u32 v4, v5, 23, 8
	v_and_b32_e32 v1, 0x7fffff, v5
	v_cmp_gt_u32_e64 s16, 0x79, v4
	v_sub_nc_u32_e32 v31, 0x78, v4
	v_cmp_eq_u32_e32 vcc_lo, 0, v4
	v_or_b32_e32 v82, 0x800000, v1
	v_cndmask_b32_e64 v31, 0, v31, s16
	v_cndmask_b32_e32 v1, v82, v1, vcc_lo
	v_cndmask_b32_e64 v31, v31, 0x77, vcc_lo
	v_lshl_add_u32 v82, 0x100000, v31, -1
	v_lshlrev_b32_e64 v83, v31, 0x80000
	v_and_b32_e32 v82, v82, v1
	v_cmp_eq_u32_e64 s16, v82, v83
	v_lshrrev_b32_e32 v82, v31, v1
	v_add_nc_u32_e32 v1, 0xffffff89, v4
	v_lshrrev_b32_e32 v4, 23, v82
	v_cndmask_b32_e64 v1, v1, 0xffffff8a, vcc_lo
	v_xor_b32_e32 v4, 1, v4
	v_add_nc_u32_e32 v1, v31, v1
	v_bfe_u32 v31, v82, 20, 1
	v_add_nc_u32_e32 v31, -1, v31
	v_cndmask_b32_e64 v31, 0, v31, s16
	s_mov_b32 s16, exec_lo
	v_add_nc_u32_e32 v31, v31, v82
	v_and_b32_e32 v31, 0xfffff, v31
	v_add_nc_u32_e32 v31, v31, v82
                                        ; implicit-def: $vgpr82
	v_cmpx_ne_u32_e64 v1, v4
	s_xor_b32 s16, exec_lo, s16
; %bb.6659:                             ;   in Loop: Header=BB6_5548 Depth=3
	v_cmp_lt_u32_e32 vcc_lo, 0xffffff, v31
	v_sub_nc_u32_e32 v1, v1, v4
	v_cndmask_b32_e64 v4, 0, 1, vcc_lo
	v_add_co_ci_u32_e64 v82, null, 0, v1, vcc_lo
	v_lshrrev_b32_e32 v31, v4, v31
; %bb.6660:                             ;   in Loop: Header=BB6_5548 Depth=3
	s_andn2_saveexec_b32 s16, s16
; %bb.6661:                             ;   in Loop: Header=BB6_5548 Depth=3
	v_bfe_u32 v82, v31, 23, 1
; %bb.6662:                             ;   in Loop: Header=BB6_5548 Depth=3
	s_or_b32 exec_lo, exec_lo, s16
	v_and_b32_sdwa v1, v5, v62 dst_sel:DWORD dst_unused:UNUSED_PAD src0_sel:BYTE_3 src1_sel:DWORD
	v_lshrrev_b32_e32 v4, 20, v31
	v_min_i32_e32 v5, 15, v82
	v_cmp_gt_i32_e32 vcc_lo, 16, v82
	v_lshlrev_b32_e32 v5, 3, v5
	v_cndmask_b32_e32 v4, 7, v4, vcc_lo
	v_and_b32_e32 v5, 0xf8, v5
	v_or_b32_e32 v31, v82, v4
	v_and_b32_e32 v4, 7, v4
	v_cmp_ne_u32_e32 vcc_lo, 0, v31
	v_or3_b32 v1, v5, v1, v4
	v_cndmask_b32_e32 v4, 0, v1, vcc_lo
.LBB6_6663:                             ;   in Loop: Header=BB6_5548 Depth=3
	s_or_b32 exec_lo, exec_lo, s23
.LBB6_6664:                             ;   in Loop: Header=BB6_5548 Depth=3
	s_or_b32 exec_lo, exec_lo, s22
	v_cmp_gt_i16_sdwa s22, v35, v61 src0_sel:BYTE_3 src1_sel:DWORD
	s_andn2_b32 vcc_lo, exec_lo, s19
	s_mov_b32 s16, -1
                                        ; implicit-def: $vgpr1
	s_cbranch_vccnz .LBB6_6678
; %bb.6665:                             ;   in Loop: Header=BB6_5548 Depth=3
	s_mov_b32 s16, 0
	s_and_saveexec_b32 s23, s22
	s_xor_b32 s22, exec_lo, s23
	s_cbranch_execz .LBB6_8098
; %bb.6666:                             ;   in Loop: Header=BB6_5548 Depth=3
	v_cmp_eq_u16_sdwa s73, v35, v62 src0_sel:BYTE_3 src1_sel:DWORD
	s_mov_b32 s16, -1
	s_and_saveexec_b32 s23, s73
; %bb.6667:                             ;   in Loop: Header=BB6_5548 Depth=3
	s_xor_b32 s16, exec_lo, -1
; %bb.6668:                             ;   in Loop: Header=BB6_5548 Depth=3
	s_or_b32 exec_lo, exec_lo, s23
	s_and_b32 s16, s16, exec_lo
	s_or_saveexec_b32 s22, s22
	v_mov_b32_e32 v1, 0x7f800001
	s_xor_b32 exec_lo, exec_lo, s22
	s_cbranch_execnz .LBB6_8099
.LBB6_6669:                             ;   in Loop: Header=BB6_5548 Depth=3
	s_or_b32 exec_lo, exec_lo, s22
	s_and_saveexec_b32 s22, s16
	s_cbranch_execz .LBB6_6671
.LBB6_6670:                             ;   in Loop: Header=BB6_5548 Depth=3
	v_bfe_u32 v1, v35, 24, 3
	v_bfe_u32 v82, v35, 27, 4
	v_ffbh_u32_e32 v5, v1
	v_cmp_eq_u32_e32 vcc_lo, 0, v82
	v_min_u32_e32 v5, 32, v5
	v_subrev_nc_u32_e32 v31, 28, v5
	v_sub_nc_u32_e32 v5, 29, v5
	v_lshlrev_b32_sdwa v31, v31, v35 dst_sel:DWORD dst_unused:UNUSED_PAD src0_sel:DWORD src1_sel:BYTE_3
	v_cndmask_b32_e32 v5, v82, v5, vcc_lo
	v_and_b32_e32 v31, 7, v31
	v_lshl_add_u32 v5, v5, 23, 0x3b800000
	v_cndmask_b32_e32 v1, v1, v31, vcc_lo
	v_and_b32_e32 v31, 0x80000000, v35
	v_lshlrev_b32_e32 v1, 20, v1
	v_or3_b32 v1, v31, v5, v1
.LBB6_6671:                             ;   in Loop: Header=BB6_5548 Depth=3
	s_or_b32 exec_lo, exec_lo, s22
	v_cmp_gt_i16_sdwa s22, v27, v61 src0_sel:BYTE_3 src1_sel:DWORD
	s_mov_b32 s16, 0
	s_and_saveexec_b32 s23, s22
	s_xor_b32 s22, exec_lo, s23
	s_cbranch_execz .LBB6_8100
; %bb.6672:                             ;   in Loop: Header=BB6_5548 Depth=3
	v_cmp_eq_u16_sdwa s73, v27, v62 src0_sel:BYTE_3 src1_sel:DWORD
	s_mov_b32 s16, -1
	s_and_saveexec_b32 s23, s73
; %bb.6673:                             ;   in Loop: Header=BB6_5548 Depth=3
	s_xor_b32 s16, exec_lo, -1
; %bb.6674:                             ;   in Loop: Header=BB6_5548 Depth=3
	s_or_b32 exec_lo, exec_lo, s23
	s_and_b32 s16, s16, exec_lo
	s_or_saveexec_b32 s22, s22
	v_mov_b32_e32 v5, 0x7f800001
	s_xor_b32 exec_lo, exec_lo, s22
	s_cbranch_execnz .LBB6_8101
.LBB6_6675:                             ;   in Loop: Header=BB6_5548 Depth=3
	s_or_b32 exec_lo, exec_lo, s22
	s_and_saveexec_b32 s22, s16
	s_cbranch_execz .LBB6_6677
.LBB6_6676:                             ;   in Loop: Header=BB6_5548 Depth=3
	v_bfe_u32 v5, v27, 24, 3
	v_bfe_u32 v83, v27, 27, 4
	v_ffbh_u32_e32 v31, v5
	v_cmp_eq_u32_e32 vcc_lo, 0, v83
	v_min_u32_e32 v31, 32, v31
	v_subrev_nc_u32_e32 v82, 28, v31
	v_sub_nc_u32_e32 v31, 29, v31
	v_lshlrev_b32_sdwa v82, v82, v27 dst_sel:DWORD dst_unused:UNUSED_PAD src0_sel:DWORD src1_sel:BYTE_3
	v_cndmask_b32_e32 v31, v83, v31, vcc_lo
	v_and_b32_e32 v82, 7, v82
	v_lshl_add_u32 v31, v31, 23, 0x3b800000
	v_cndmask_b32_e32 v5, v5, v82, vcc_lo
	v_and_b32_e32 v82, 0x80000000, v27
	v_lshlrev_b32_e32 v5, 20, v5
	v_or3_b32 v5, v82, v31, v5
.LBB6_6677:                             ;   in Loop: Header=BB6_5548 Depth=3
	s_or_b32 exec_lo, exec_lo, s22
	v_max_f32_e32 v5, v5, v5
	v_max_f32_e32 v1, v1, v1
	s_mov_b32 s16, 0
	v_max_f32_e32 v1, v1, v5
.LBB6_6678:                             ;   in Loop: Header=BB6_5548 Depth=3
	s_and_b32 vcc_lo, exec_lo, s16
	s_cbranch_vccz .LBB6_6692
; %bb.6679:                             ;   in Loop: Header=BB6_5548 Depth=3
	v_cmp_gt_i16_sdwa s22, v35, v61 src0_sel:BYTE_3 src1_sel:DWORD
	s_mov_b32 s16, 0
	s_and_saveexec_b32 s23, s22
	s_xor_b32 s22, exec_lo, s23
	s_cbranch_execz .LBB6_8102
; %bb.6680:                             ;   in Loop: Header=BB6_5548 Depth=3
	v_cmp_eq_u16_sdwa s73, v35, v62 src0_sel:BYTE_3 src1_sel:DWORD
	s_mov_b32 s16, -1
	s_and_saveexec_b32 s23, s73
; %bb.6681:                             ;   in Loop: Header=BB6_5548 Depth=3
	s_xor_b32 s16, exec_lo, -1
; %bb.6682:                             ;   in Loop: Header=BB6_5548 Depth=3
	s_or_b32 exec_lo, exec_lo, s23
	s_and_b32 s16, s16, exec_lo
	s_or_saveexec_b32 s22, s22
	v_mov_b32_e32 v1, 0x7f800001
	s_xor_b32 exec_lo, exec_lo, s22
	s_cbranch_execnz .LBB6_8103
.LBB6_6683:                             ;   in Loop: Header=BB6_5548 Depth=3
	s_or_b32 exec_lo, exec_lo, s22
	s_and_saveexec_b32 s22, s16
	s_cbranch_execz .LBB6_6685
.LBB6_6684:                             ;   in Loop: Header=BB6_5548 Depth=3
	v_bfe_u32 v1, v35, 24, 3
	v_bfe_u32 v82, v35, 27, 4
	v_ffbh_u32_e32 v5, v1
	v_cmp_eq_u32_e32 vcc_lo, 0, v82
	v_min_u32_e32 v5, 32, v5
	v_subrev_nc_u32_e32 v31, 28, v5
	v_sub_nc_u32_e32 v5, 29, v5
	v_lshlrev_b32_sdwa v31, v31, v35 dst_sel:DWORD dst_unused:UNUSED_PAD src0_sel:DWORD src1_sel:BYTE_3
	v_cndmask_b32_e32 v5, v82, v5, vcc_lo
	v_and_b32_e32 v31, 7, v31
	v_lshl_add_u32 v5, v5, 23, 0x3b800000
	v_cndmask_b32_e32 v1, v1, v31, vcc_lo
	v_and_b32_e32 v31, 0x80000000, v35
	v_lshlrev_b32_e32 v1, 20, v1
	v_or3_b32 v1, v31, v5, v1
.LBB6_6685:                             ;   in Loop: Header=BB6_5548 Depth=3
	s_or_b32 exec_lo, exec_lo, s22
	v_cmp_gt_i16_sdwa s22, v27, v61 src0_sel:BYTE_3 src1_sel:DWORD
	s_mov_b32 s16, 0
	s_and_saveexec_b32 s23, s22
	s_xor_b32 s22, exec_lo, s23
	s_cbranch_execz .LBB6_8104
; %bb.6686:                             ;   in Loop: Header=BB6_5548 Depth=3
	v_cmp_eq_u16_sdwa s73, v27, v62 src0_sel:BYTE_3 src1_sel:DWORD
	s_mov_b32 s16, -1
	s_and_saveexec_b32 s23, s73
; %bb.6687:                             ;   in Loop: Header=BB6_5548 Depth=3
	s_xor_b32 s16, exec_lo, -1
; %bb.6688:                             ;   in Loop: Header=BB6_5548 Depth=3
	s_or_b32 exec_lo, exec_lo, s23
	s_and_b32 s16, s16, exec_lo
	s_or_saveexec_b32 s22, s22
	v_mov_b32_e32 v5, 0x7f800001
	s_xor_b32 exec_lo, exec_lo, s22
	s_cbranch_execnz .LBB6_8105
.LBB6_6689:                             ;   in Loop: Header=BB6_5548 Depth=3
	s_or_b32 exec_lo, exec_lo, s22
	s_and_saveexec_b32 s22, s16
	s_cbranch_execz .LBB6_6691
.LBB6_6690:                             ;   in Loop: Header=BB6_5548 Depth=3
	v_bfe_u32 v5, v27, 24, 3
	v_bfe_u32 v82, v27, 27, 4
	v_ffbh_u32_e32 v31, v5
	v_cmp_eq_u32_e32 vcc_lo, 0, v82
	v_min_u32_e32 v31, 32, v31
	v_subrev_nc_u32_e32 v35, 28, v31
	v_sub_nc_u32_e32 v31, 29, v31
	v_lshlrev_b32_sdwa v35, v35, v27 dst_sel:DWORD dst_unused:UNUSED_PAD src0_sel:DWORD src1_sel:BYTE_3
	v_cndmask_b32_e32 v31, v82, v31, vcc_lo
	v_and_b32_e32 v27, 0x80000000, v27
	v_and_b32_e32 v35, 7, v35
	v_lshl_add_u32 v31, v31, 23, 0x3b800000
	v_cndmask_b32_e32 v5, v5, v35, vcc_lo
	v_lshlrev_b32_e32 v5, 20, v5
	v_or3_b32 v5, v27, v31, v5
.LBB6_6691:                             ;   in Loop: Header=BB6_5548 Depth=3
	s_or_b32 exec_lo, exec_lo, s22
	v_max_f32_e32 v5, v5, v5
	v_max_f32_e32 v1, v1, v1
	v_min_f32_e32 v1, v1, v5
.LBB6_6692:                             ;   in Loop: Header=BB6_5548 Depth=3
	v_and_b32_e32 v5, 0x7f800000, v1
	v_cmp_ne_u32_e32 vcc_lo, 0x7f800000, v5
	v_mov_b32_e32 v5, 0x8000
	s_and_saveexec_b32 s22, vcc_lo
	s_cbranch_execz .LBB6_6700
; %bb.6693:                             ;   in Loop: Header=BB6_5548 Depth=3
	v_mov_b32_e32 v5, 0
	s_mov_b32 s23, exec_lo
	v_cmpx_ne_u32_e32 0, v1
	s_cbranch_execz .LBB6_6699
; %bb.6694:                             ;   in Loop: Header=BB6_5548 Depth=3
	v_bfe_u32 v27, v1, 23, 8
	v_and_b32_e32 v5, 0x7fffff, v1
	v_cmp_gt_u32_e64 s16, 0x79, v27
	v_sub_nc_u32_e32 v31, 0x78, v27
	v_cmp_eq_u32_e32 vcc_lo, 0, v27
	v_or_b32_e32 v35, 0x800000, v5
	v_cndmask_b32_e64 v31, 0, v31, s16
	v_cndmask_b32_e32 v5, v35, v5, vcc_lo
	v_cndmask_b32_e64 v31, v31, 0x77, vcc_lo
	v_lshl_add_u32 v35, 0x100000, v31, -1
	v_lshlrev_b32_e64 v82, v31, 0x80000
	v_and_b32_e32 v35, v35, v5
	v_cmp_eq_u32_e64 s16, v35, v82
	v_lshrrev_b32_e32 v35, v31, v5
	v_add_nc_u32_e32 v5, 0xffffff89, v27
	v_lshrrev_b32_e32 v27, 23, v35
	v_cndmask_b32_e64 v5, v5, 0xffffff8a, vcc_lo
	v_xor_b32_e32 v27, 1, v27
	v_add_nc_u32_e32 v5, v31, v5
	v_bfe_u32 v31, v35, 20, 1
	v_add_nc_u32_e32 v31, -1, v31
	v_cndmask_b32_e64 v31, 0, v31, s16
	s_mov_b32 s16, exec_lo
	v_add_nc_u32_e32 v31, v31, v35
	v_and_b32_e32 v31, 0xfffff, v31
	v_add_nc_u32_e32 v31, v31, v35
                                        ; implicit-def: $vgpr35
	v_cmpx_ne_u32_e64 v5, v27
	s_xor_b32 s16, exec_lo, s16
; %bb.6695:                             ;   in Loop: Header=BB6_5548 Depth=3
	v_cmp_lt_u32_e32 vcc_lo, 0xffffff, v31
	v_sub_nc_u32_e32 v5, v5, v27
	v_cndmask_b32_e64 v27, 0, 1, vcc_lo
	v_add_co_ci_u32_e64 v35, null, 0, v5, vcc_lo
	v_lshrrev_b32_e32 v31, v27, v31
; %bb.6696:                             ;   in Loop: Header=BB6_5548 Depth=3
	s_andn2_saveexec_b32 s16, s16
; %bb.6697:                             ;   in Loop: Header=BB6_5548 Depth=3
	v_bfe_u32 v35, v31, 23, 1
; %bb.6698:                             ;   in Loop: Header=BB6_5548 Depth=3
	s_or_b32 exec_lo, exec_lo, s16
	v_lshrrev_b32_e32 v5, 20, v31
	v_min_i32_e32 v27, 15, v35
	v_cmp_gt_i32_e32 vcc_lo, 16, v35
	v_and_b32_sdwa v1, v1, v62 dst_sel:DWORD dst_unused:UNUSED_PAD src0_sel:BYTE_3 src1_sel:DWORD
	v_lshlrev_b32_e32 v27, 3, v27
	v_cndmask_b32_e32 v5, 7, v5, vcc_lo
	v_and_b32_e32 v27, 0xf8, v27
	v_or_b32_e32 v31, v35, v5
	v_and_b32_e32 v5, 7, v5
	v_cmp_ne_u32_e32 vcc_lo, 0, v31
	v_or3_b32 v1, v1, v27, v5
	v_lshlrev_b32_e32 v1, 8, v1
	v_cndmask_b32_e32 v5, 0, v1, vcc_lo
.LBB6_6699:                             ;   in Loop: Header=BB6_5548 Depth=3
	s_or_b32 exec_lo, exec_lo, s23
.LBB6_6700:                             ;   in Loop: Header=BB6_5548 Depth=3
	s_or_b32 exec_lo, exec_lo, s22
	v_cmp_gt_i16_sdwa s23, v20, v61 src0_sel:BYTE_0 src1_sel:DWORD
	s_andn2_b32 vcc_lo, exec_lo, s19
	s_mov_b32 s16, -1
                                        ; implicit-def: $vgpr1
	s_cbranch_vccnz .LBB6_6714
; %bb.6701:                             ;   in Loop: Header=BB6_5548 Depth=3
	s_mov_b32 s22, 0
	s_and_saveexec_b32 s16, s23
	s_xor_b32 s16, exec_lo, s16
	s_cbranch_execz .LBB6_8106
; %bb.6702:                             ;   in Loop: Header=BB6_5548 Depth=3
	v_cmp_eq_u16_sdwa s73, v20, v62 src0_sel:BYTE_0 src1_sel:DWORD
	s_mov_b32 s22, -1
	s_and_saveexec_b32 s23, s73
; %bb.6703:                             ;   in Loop: Header=BB6_5548 Depth=3
	s_xor_b32 s22, exec_lo, -1
; %bb.6704:                             ;   in Loop: Header=BB6_5548 Depth=3
	s_or_b32 exec_lo, exec_lo, s23
	s_and_b32 s22, s22, exec_lo
	s_or_saveexec_b32 s16, s16
	v_mov_b32_e32 v1, 0x7f800001
	s_xor_b32 exec_lo, exec_lo, s16
	s_cbranch_execnz .LBB6_8107
.LBB6_6705:                             ;   in Loop: Header=BB6_5548 Depth=3
	s_or_b32 exec_lo, exec_lo, s16
	s_and_saveexec_b32 s16, s22
	s_cbranch_execz .LBB6_6707
.LBB6_6706:                             ;   in Loop: Header=BB6_5548 Depth=3
	v_and_b32_e32 v1, 7, v20
	v_bfe_u32 v27, v20, 3, 4
	v_ffbh_u32_e32 v31, v1
	v_cmp_eq_u32_e32 vcc_lo, 0, v27
	v_min_u32_e32 v31, 32, v31
	v_subrev_nc_u32_e32 v35, 28, v31
	v_sub_nc_u32_e32 v31, 29, v31
	v_lshlrev_b32_e32 v35, v35, v20
	v_cndmask_b32_e32 v27, v27, v31, vcc_lo
	v_lshlrev_b32_e32 v31, 24, v20
	v_and_b32_e32 v35, 7, v35
	v_lshl_add_u32 v27, v27, 23, 0x3b800000
	v_and_b32_e32 v31, 0x80000000, v31
	v_cndmask_b32_e32 v1, v1, v35, vcc_lo
	v_lshlrev_b32_e32 v1, 20, v1
	v_or3_b32 v1, v31, v27, v1
.LBB6_6707:                             ;   in Loop: Header=BB6_5548 Depth=3
	s_or_b32 exec_lo, exec_lo, s16
	s_waitcnt vmcnt(1)
	v_cmp_gt_i16_sdwa s16, v16, v61 src0_sel:BYTE_0 src1_sel:DWORD
	s_mov_b32 s22, 0
	s_and_saveexec_b32 s23, s16
	s_xor_b32 s16, exec_lo, s23
	s_cbranch_execz .LBB6_8108
; %bb.6708:                             ;   in Loop: Header=BB6_5548 Depth=3
	v_cmp_eq_u16_sdwa s73, v16, v62 src0_sel:BYTE_0 src1_sel:DWORD
	s_mov_b32 s22, -1
	s_and_saveexec_b32 s23, s73
; %bb.6709:                             ;   in Loop: Header=BB6_5548 Depth=3
	s_xor_b32 s22, exec_lo, -1
; %bb.6710:                             ;   in Loop: Header=BB6_5548 Depth=3
	s_or_b32 exec_lo, exec_lo, s23
	s_and_b32 s22, s22, exec_lo
	s_or_saveexec_b32 s16, s16
	v_mov_b32_e32 v27, 0x7f800001
	s_xor_b32 exec_lo, exec_lo, s16
	s_cbranch_execnz .LBB6_8109
.LBB6_6711:                             ;   in Loop: Header=BB6_5548 Depth=3
	s_or_b32 exec_lo, exec_lo, s16
	s_and_saveexec_b32 s16, s22
	s_cbranch_execz .LBB6_6713
.LBB6_6712:                             ;   in Loop: Header=BB6_5548 Depth=3
	v_and_b32_e32 v27, 7, v16
	v_bfe_u32 v31, v16, 3, 4
	v_ffbh_u32_e32 v35, v27
	v_cmp_eq_u32_e32 vcc_lo, 0, v31
	v_min_u32_e32 v35, 32, v35
	v_subrev_nc_u32_e32 v82, 28, v35
	v_sub_nc_u32_e32 v35, 29, v35
	v_lshlrev_b32_e32 v82, v82, v16
	v_cndmask_b32_e32 v31, v31, v35, vcc_lo
	v_lshlrev_b32_e32 v35, 24, v16
	v_and_b32_e32 v82, 7, v82
	v_lshl_add_u32 v31, v31, 23, 0x3b800000
	v_and_b32_e32 v35, 0x80000000, v35
	v_cndmask_b32_e32 v27, v27, v82, vcc_lo
	v_lshlrev_b32_e32 v27, 20, v27
	v_or3_b32 v27, v35, v31, v27
.LBB6_6713:                             ;   in Loop: Header=BB6_5548 Depth=3
	s_or_b32 exec_lo, exec_lo, s16
	v_max_f32_e32 v27, v27, v27
	v_max_f32_e32 v1, v1, v1
	s_mov_b32 s16, 0
	v_max_f32_e32 v1, v1, v27
.LBB6_6714:                             ;   in Loop: Header=BB6_5548 Depth=3
	s_and_b32 vcc_lo, exec_lo, s16
	s_cbranch_vccz .LBB6_6728
; %bb.6715:                             ;   in Loop: Header=BB6_5548 Depth=3
	v_cmp_gt_i16_sdwa s16, v20, v61 src0_sel:BYTE_0 src1_sel:DWORD
	s_mov_b32 s22, 0
	s_and_saveexec_b32 s23, s16
	s_xor_b32 s16, exec_lo, s23
	s_cbranch_execz .LBB6_8110
; %bb.6716:                             ;   in Loop: Header=BB6_5548 Depth=3
	v_cmp_eq_u16_sdwa s73, v20, v62 src0_sel:BYTE_0 src1_sel:DWORD
	s_mov_b32 s22, -1
	s_and_saveexec_b32 s23, s73
; %bb.6717:                             ;   in Loop: Header=BB6_5548 Depth=3
	s_xor_b32 s22, exec_lo, -1
; %bb.6718:                             ;   in Loop: Header=BB6_5548 Depth=3
	s_or_b32 exec_lo, exec_lo, s23
	s_and_b32 s22, s22, exec_lo
	s_or_saveexec_b32 s16, s16
	v_mov_b32_e32 v1, 0x7f800001
	s_xor_b32 exec_lo, exec_lo, s16
	s_cbranch_execnz .LBB6_8111
.LBB6_6719:                             ;   in Loop: Header=BB6_5548 Depth=3
	s_or_b32 exec_lo, exec_lo, s16
	s_and_saveexec_b32 s16, s22
	s_cbranch_execz .LBB6_6721
.LBB6_6720:                             ;   in Loop: Header=BB6_5548 Depth=3
	v_and_b32_e32 v1, 7, v20
	v_bfe_u32 v27, v20, 3, 4
	v_ffbh_u32_e32 v31, v1
	v_cmp_eq_u32_e32 vcc_lo, 0, v27
	v_min_u32_e32 v31, 32, v31
	v_subrev_nc_u32_e32 v35, 28, v31
	v_sub_nc_u32_e32 v31, 29, v31
	v_lshlrev_b32_e32 v35, v35, v20
	v_cndmask_b32_e32 v27, v27, v31, vcc_lo
	v_lshlrev_b32_e32 v31, 24, v20
	v_and_b32_e32 v35, 7, v35
	v_lshl_add_u32 v27, v27, 23, 0x3b800000
	v_and_b32_e32 v31, 0x80000000, v31
	v_cndmask_b32_e32 v1, v1, v35, vcc_lo
	v_lshlrev_b32_e32 v1, 20, v1
	v_or3_b32 v1, v31, v27, v1
.LBB6_6721:                             ;   in Loop: Header=BB6_5548 Depth=3
	s_or_b32 exec_lo, exec_lo, s16
	s_waitcnt vmcnt(1)
	v_cmp_gt_i16_sdwa s16, v16, v61 src0_sel:BYTE_0 src1_sel:DWORD
	s_mov_b32 s22, 0
	s_and_saveexec_b32 s23, s16
	s_xor_b32 s16, exec_lo, s23
	s_cbranch_execz .LBB6_8112
; %bb.6722:                             ;   in Loop: Header=BB6_5548 Depth=3
	v_cmp_eq_u16_sdwa s73, v16, v62 src0_sel:BYTE_0 src1_sel:DWORD
	s_mov_b32 s22, -1
	s_and_saveexec_b32 s23, s73
; %bb.6723:                             ;   in Loop: Header=BB6_5548 Depth=3
	s_xor_b32 s22, exec_lo, -1
; %bb.6724:                             ;   in Loop: Header=BB6_5548 Depth=3
	s_or_b32 exec_lo, exec_lo, s23
	s_and_b32 s22, s22, exec_lo
	s_or_saveexec_b32 s16, s16
	v_mov_b32_e32 v27, 0x7f800001
	s_xor_b32 exec_lo, exec_lo, s16
	s_cbranch_execnz .LBB6_8113
.LBB6_6725:                             ;   in Loop: Header=BB6_5548 Depth=3
	s_or_b32 exec_lo, exec_lo, s16
	s_and_saveexec_b32 s16, s22
	s_cbranch_execz .LBB6_6727
.LBB6_6726:                             ;   in Loop: Header=BB6_5548 Depth=3
	v_and_b32_e32 v27, 7, v16
	v_bfe_u32 v31, v16, 3, 4
	v_ffbh_u32_e32 v35, v27
	v_cmp_eq_u32_e32 vcc_lo, 0, v31
	v_min_u32_e32 v35, 32, v35
	v_subrev_nc_u32_e32 v82, 28, v35
	v_sub_nc_u32_e32 v35, 29, v35
	v_lshlrev_b32_e32 v82, v82, v16
	v_cndmask_b32_e32 v31, v31, v35, vcc_lo
	v_lshlrev_b32_e32 v35, 24, v16
	v_and_b32_e32 v82, 7, v82
	v_lshl_add_u32 v31, v31, 23, 0x3b800000
	v_and_b32_e32 v35, 0x80000000, v35
	v_cndmask_b32_e32 v27, v27, v82, vcc_lo
	v_lshlrev_b32_e32 v27, 20, v27
	v_or3_b32 v27, v35, v31, v27
.LBB6_6727:                             ;   in Loop: Header=BB6_5548 Depth=3
	s_or_b32 exec_lo, exec_lo, s16
	v_max_f32_e32 v27, v27, v27
	v_max_f32_e32 v1, v1, v1
	v_min_f32_e32 v1, v1, v27
.LBB6_6728:                             ;   in Loop: Header=BB6_5548 Depth=3
	v_and_b32_e32 v27, 0x7f800000, v1
	v_cmp_ne_u32_e32 vcc_lo, 0x7f800000, v27
	v_mov_b32_e32 v27, 0x80
	s_and_saveexec_b32 s22, vcc_lo
	s_cbranch_execz .LBB6_6736
; %bb.6729:                             ;   in Loop: Header=BB6_5548 Depth=3
	v_mov_b32_e32 v27, 0
	s_mov_b32 s23, exec_lo
	v_cmpx_ne_u32_e32 0, v1
	s_cbranch_execz .LBB6_6735
; %bb.6730:                             ;   in Loop: Header=BB6_5548 Depth=3
	v_bfe_u32 v31, v1, 23, 8
	v_and_b32_e32 v27, 0x7fffff, v1
	v_cmp_gt_u32_e64 s16, 0x79, v31
	v_sub_nc_u32_e32 v35, 0x78, v31
	v_cmp_eq_u32_e32 vcc_lo, 0, v31
	v_or_b32_e32 v82, 0x800000, v27
	v_cndmask_b32_e64 v35, 0, v35, s16
	v_cndmask_b32_e32 v27, v82, v27, vcc_lo
	v_cndmask_b32_e64 v35, v35, 0x77, vcc_lo
	v_lshl_add_u32 v82, 0x100000, v35, -1
	v_lshlrev_b32_e64 v83, v35, 0x80000
	v_and_b32_e32 v82, v82, v27
	v_cmp_eq_u32_e64 s16, v82, v83
	v_lshrrev_b32_e32 v82, v35, v27
	v_add_nc_u32_e32 v27, 0xffffff89, v31
	v_lshrrev_b32_e32 v31, 23, v82
	v_cndmask_b32_e64 v27, v27, 0xffffff8a, vcc_lo
	v_xor_b32_e32 v31, 1, v31
	v_add_nc_u32_e32 v27, v35, v27
	v_bfe_u32 v35, v82, 20, 1
	v_add_nc_u32_e32 v35, -1, v35
	v_cndmask_b32_e64 v35, 0, v35, s16
	s_mov_b32 s16, exec_lo
	v_add_nc_u32_e32 v35, v35, v82
	v_and_b32_e32 v35, 0xfffff, v35
	v_add_nc_u32_e32 v35, v35, v82
                                        ; implicit-def: $vgpr82
	v_cmpx_ne_u32_e64 v27, v31
	s_xor_b32 s16, exec_lo, s16
; %bb.6731:                             ;   in Loop: Header=BB6_5548 Depth=3
	v_cmp_lt_u32_e32 vcc_lo, 0xffffff, v35
	v_sub_nc_u32_e32 v27, v27, v31
	v_cndmask_b32_e64 v31, 0, 1, vcc_lo
	v_add_co_ci_u32_e64 v82, null, 0, v27, vcc_lo
	v_lshrrev_b32_e32 v35, v31, v35
; %bb.6732:                             ;   in Loop: Header=BB6_5548 Depth=3
	s_andn2_saveexec_b32 s16, s16
; %bb.6733:                             ;   in Loop: Header=BB6_5548 Depth=3
	v_bfe_u32 v82, v35, 23, 1
; %bb.6734:                             ;   in Loop: Header=BB6_5548 Depth=3
	s_or_b32 exec_lo, exec_lo, s16
	v_lshrrev_b32_e32 v27, 20, v35
	v_min_i32_e32 v31, 15, v82
	v_cmp_gt_i32_e32 vcc_lo, 16, v82
	v_and_b32_sdwa v1, v1, v62 dst_sel:DWORD dst_unused:UNUSED_PAD src0_sel:BYTE_3 src1_sel:DWORD
	v_lshlrev_b32_e32 v31, 3, v31
	v_cndmask_b32_e32 v27, 7, v27, vcc_lo
	v_and_b32_e32 v31, 0xf8, v31
	v_or_b32_e32 v35, v82, v27
	v_and_b32_e32 v27, 7, v27
	v_cmp_ne_u32_e32 vcc_lo, 0, v35
	v_or3_b32 v1, v31, v1, v27
	v_cndmask_b32_e32 v27, 0, v1, vcc_lo
.LBB6_6735:                             ;   in Loop: Header=BB6_5548 Depth=3
	s_or_b32 exec_lo, exec_lo, s23
.LBB6_6736:                             ;   in Loop: Header=BB6_5548 Depth=3
	s_or_b32 exec_lo, exec_lo, s22
	v_cmp_gt_i16_sdwa s22, v20, v61 src0_sel:BYTE_1 src1_sel:DWORD
	s_andn2_b32 vcc_lo, exec_lo, s19
	s_mov_b32 s16, -1
                                        ; implicit-def: $vgpr1
	s_cbranch_vccnz .LBB6_6750
; %bb.6737:                             ;   in Loop: Header=BB6_5548 Depth=3
	s_mov_b32 s16, 0
	s_and_saveexec_b32 s23, s22
	s_xor_b32 s22, exec_lo, s23
	s_cbranch_execz .LBB6_8114
; %bb.6738:                             ;   in Loop: Header=BB6_5548 Depth=3
	v_cmp_eq_u16_sdwa s73, v20, v62 src0_sel:BYTE_1 src1_sel:DWORD
	s_mov_b32 s16, -1
	s_and_saveexec_b32 s23, s73
; %bb.6739:                             ;   in Loop: Header=BB6_5548 Depth=3
	s_xor_b32 s16, exec_lo, -1
; %bb.6740:                             ;   in Loop: Header=BB6_5548 Depth=3
	s_or_b32 exec_lo, exec_lo, s23
	s_and_b32 s16, s16, exec_lo
	s_or_saveexec_b32 s22, s22
	v_mov_b32_e32 v1, 0x7f800001
	s_xor_b32 exec_lo, exec_lo, s22
	s_cbranch_execnz .LBB6_8115
.LBB6_6741:                             ;   in Loop: Header=BB6_5548 Depth=3
	s_or_b32 exec_lo, exec_lo, s22
	s_and_saveexec_b32 s22, s16
	s_cbranch_execz .LBB6_6743
.LBB6_6742:                             ;   in Loop: Header=BB6_5548 Depth=3
	v_and_b32_sdwa v1, v63, v20 dst_sel:DWORD dst_unused:UNUSED_PAD src0_sel:DWORD src1_sel:BYTE_1
	v_and_b32_e32 v31, 7, v1
	v_bfe_u32 v83, v1, 3, 4
	v_ffbh_u32_e32 v35, v31
	v_cmp_eq_u32_e32 vcc_lo, 0, v83
	v_min_u32_e32 v35, 32, v35
	v_subrev_nc_u32_e32 v82, 28, v35
	v_sub_nc_u32_e32 v35, 29, v35
	v_lshlrev_b32_e32 v1, v82, v1
	v_lshlrev_b32_e32 v82, 16, v20
	v_cndmask_b32_e32 v35, v83, v35, vcc_lo
	v_and_b32_e32 v1, 7, v1
	v_lshl_add_u32 v35, v35, 23, 0x3b800000
	v_cndmask_b32_e32 v1, v31, v1, vcc_lo
	v_and_b32_e32 v31, 0x80000000, v82
	v_lshlrev_b32_e32 v1, 20, v1
	v_or3_b32 v1, v31, v35, v1
.LBB6_6743:                             ;   in Loop: Header=BB6_5548 Depth=3
	s_or_b32 exec_lo, exec_lo, s22
	s_waitcnt vmcnt(1)
	v_cmp_gt_i16_sdwa s22, v16, v61 src0_sel:BYTE_1 src1_sel:DWORD
	s_mov_b32 s16, 0
	s_and_saveexec_b32 s23, s22
	s_xor_b32 s22, exec_lo, s23
	s_cbranch_execz .LBB6_8116
; %bb.6744:                             ;   in Loop: Header=BB6_5548 Depth=3
	v_cmp_eq_u16_sdwa s73, v16, v62 src0_sel:BYTE_1 src1_sel:DWORD
	s_mov_b32 s16, -1
	s_and_saveexec_b32 s23, s73
; %bb.6745:                             ;   in Loop: Header=BB6_5548 Depth=3
	s_xor_b32 s16, exec_lo, -1
; %bb.6746:                             ;   in Loop: Header=BB6_5548 Depth=3
	s_or_b32 exec_lo, exec_lo, s23
	s_and_b32 s16, s16, exec_lo
	s_or_saveexec_b32 s22, s22
	v_mov_b32_e32 v31, 0x7f800001
	s_xor_b32 exec_lo, exec_lo, s22
	s_cbranch_execnz .LBB6_8117
.LBB6_6747:                             ;   in Loop: Header=BB6_5548 Depth=3
	s_or_b32 exec_lo, exec_lo, s22
	s_and_saveexec_b32 s22, s16
	s_cbranch_execz .LBB6_6749
.LBB6_6748:                             ;   in Loop: Header=BB6_5548 Depth=3
	v_and_b32_sdwa v31, v63, v16 dst_sel:DWORD dst_unused:UNUSED_PAD src0_sel:DWORD src1_sel:BYTE_1
	v_and_b32_e32 v35, 7, v31
	v_bfe_u32 v86, v31, 3, 4
	v_ffbh_u32_e32 v82, v35
	v_cmp_eq_u32_e32 vcc_lo, 0, v86
	v_min_u32_e32 v82, 32, v82
	v_subrev_nc_u32_e32 v83, 28, v82
	v_sub_nc_u32_e32 v82, 29, v82
	v_lshlrev_b32_e32 v31, v83, v31
	v_lshlrev_b32_e32 v83, 16, v16
	v_cndmask_b32_e32 v82, v86, v82, vcc_lo
	v_and_b32_e32 v31, 7, v31
	v_lshl_add_u32 v82, v82, 23, 0x3b800000
	v_cndmask_b32_e32 v31, v35, v31, vcc_lo
	v_and_b32_e32 v35, 0x80000000, v83
	v_lshlrev_b32_e32 v31, 20, v31
	v_or3_b32 v31, v35, v82, v31
.LBB6_6749:                             ;   in Loop: Header=BB6_5548 Depth=3
	s_or_b32 exec_lo, exec_lo, s22
	v_max_f32_e32 v31, v31, v31
	v_max_f32_e32 v1, v1, v1
	s_mov_b32 s16, 0
	v_max_f32_e32 v1, v1, v31
.LBB6_6750:                             ;   in Loop: Header=BB6_5548 Depth=3
	s_and_b32 vcc_lo, exec_lo, s16
	s_cbranch_vccz .LBB6_6764
; %bb.6751:                             ;   in Loop: Header=BB6_5548 Depth=3
	v_cmp_gt_i16_sdwa s22, v20, v61 src0_sel:BYTE_1 src1_sel:DWORD
	s_mov_b32 s16, 0
	s_and_saveexec_b32 s23, s22
	s_xor_b32 s22, exec_lo, s23
	s_cbranch_execz .LBB6_8118
; %bb.6752:                             ;   in Loop: Header=BB6_5548 Depth=3
	v_cmp_eq_u16_sdwa s73, v20, v62 src0_sel:BYTE_1 src1_sel:DWORD
	s_mov_b32 s16, -1
	s_and_saveexec_b32 s23, s73
; %bb.6753:                             ;   in Loop: Header=BB6_5548 Depth=3
	s_xor_b32 s16, exec_lo, -1
; %bb.6754:                             ;   in Loop: Header=BB6_5548 Depth=3
	s_or_b32 exec_lo, exec_lo, s23
	s_and_b32 s16, s16, exec_lo
	s_or_saveexec_b32 s22, s22
	v_mov_b32_e32 v1, 0x7f800001
	s_xor_b32 exec_lo, exec_lo, s22
	s_cbranch_execnz .LBB6_8119
.LBB6_6755:                             ;   in Loop: Header=BB6_5548 Depth=3
	s_or_b32 exec_lo, exec_lo, s22
	s_and_saveexec_b32 s22, s16
	s_cbranch_execz .LBB6_6757
.LBB6_6756:                             ;   in Loop: Header=BB6_5548 Depth=3
	v_and_b32_sdwa v1, v63, v20 dst_sel:DWORD dst_unused:UNUSED_PAD src0_sel:DWORD src1_sel:BYTE_1
	v_and_b32_e32 v31, 7, v1
	v_bfe_u32 v83, v1, 3, 4
	v_ffbh_u32_e32 v35, v31
	v_cmp_eq_u32_e32 vcc_lo, 0, v83
	v_min_u32_e32 v35, 32, v35
	v_subrev_nc_u32_e32 v82, 28, v35
	v_sub_nc_u32_e32 v35, 29, v35
	v_lshlrev_b32_e32 v1, v82, v1
	v_lshlrev_b32_e32 v82, 16, v20
	v_cndmask_b32_e32 v35, v83, v35, vcc_lo
	v_and_b32_e32 v1, 7, v1
	v_lshl_add_u32 v35, v35, 23, 0x3b800000
	v_cndmask_b32_e32 v1, v31, v1, vcc_lo
	v_and_b32_e32 v31, 0x80000000, v82
	v_lshlrev_b32_e32 v1, 20, v1
	v_or3_b32 v1, v31, v35, v1
.LBB6_6757:                             ;   in Loop: Header=BB6_5548 Depth=3
	s_or_b32 exec_lo, exec_lo, s22
	s_waitcnt vmcnt(1)
	v_cmp_gt_i16_sdwa s22, v16, v61 src0_sel:BYTE_1 src1_sel:DWORD
	s_mov_b32 s16, 0
	s_and_saveexec_b32 s23, s22
	s_xor_b32 s22, exec_lo, s23
	s_cbranch_execz .LBB6_8120
; %bb.6758:                             ;   in Loop: Header=BB6_5548 Depth=3
	v_cmp_eq_u16_sdwa s73, v16, v62 src0_sel:BYTE_1 src1_sel:DWORD
	s_mov_b32 s16, -1
	s_and_saveexec_b32 s23, s73
; %bb.6759:                             ;   in Loop: Header=BB6_5548 Depth=3
	s_xor_b32 s16, exec_lo, -1
; %bb.6760:                             ;   in Loop: Header=BB6_5548 Depth=3
	s_or_b32 exec_lo, exec_lo, s23
	s_and_b32 s16, s16, exec_lo
	s_or_saveexec_b32 s22, s22
	v_mov_b32_e32 v31, 0x7f800001
	s_xor_b32 exec_lo, exec_lo, s22
	s_cbranch_execnz .LBB6_8121
.LBB6_6761:                             ;   in Loop: Header=BB6_5548 Depth=3
	s_or_b32 exec_lo, exec_lo, s22
	s_and_saveexec_b32 s22, s16
	s_cbranch_execz .LBB6_6763
.LBB6_6762:                             ;   in Loop: Header=BB6_5548 Depth=3
	v_and_b32_sdwa v31, v63, v16 dst_sel:DWORD dst_unused:UNUSED_PAD src0_sel:DWORD src1_sel:BYTE_1
	v_and_b32_e32 v35, 7, v31
	v_bfe_u32 v86, v31, 3, 4
	v_ffbh_u32_e32 v82, v35
	v_cmp_eq_u32_e32 vcc_lo, 0, v86
	v_min_u32_e32 v82, 32, v82
	v_subrev_nc_u32_e32 v83, 28, v82
	v_sub_nc_u32_e32 v82, 29, v82
	v_lshlrev_b32_e32 v31, v83, v31
	v_lshlrev_b32_e32 v83, 16, v16
	v_cndmask_b32_e32 v82, v86, v82, vcc_lo
	v_and_b32_e32 v31, 7, v31
	v_lshl_add_u32 v82, v82, 23, 0x3b800000
	v_cndmask_b32_e32 v31, v35, v31, vcc_lo
	v_and_b32_e32 v35, 0x80000000, v83
	v_lshlrev_b32_e32 v31, 20, v31
	v_or3_b32 v31, v35, v82, v31
.LBB6_6763:                             ;   in Loop: Header=BB6_5548 Depth=3
	s_or_b32 exec_lo, exec_lo, s22
	v_max_f32_e32 v31, v31, v31
	v_max_f32_e32 v1, v1, v1
	v_min_f32_e32 v1, v1, v31
.LBB6_6764:                             ;   in Loop: Header=BB6_5548 Depth=3
	v_and_b32_e32 v31, 0x7f800000, v1
	v_mov_b32_e32 v35, 0x8000
	s_mov_b32 s22, exec_lo
	v_cmpx_ne_u32_e32 0x7f800000, v31
	s_cbranch_execz .LBB6_6772
; %bb.6765:                             ;   in Loop: Header=BB6_5548 Depth=3
	v_mov_b32_e32 v35, 0
	s_mov_b32 s23, exec_lo
	v_cmpx_ne_u32_e32 0, v1
	s_cbranch_execz .LBB6_6771
; %bb.6766:                             ;   in Loop: Header=BB6_5548 Depth=3
	v_bfe_u32 v35, v1, 23, 8
	v_and_b32_e32 v31, 0x7fffff, v1
	v_cmp_gt_u32_e64 s16, 0x79, v35
	v_sub_nc_u32_e32 v82, 0x78, v35
	v_cmp_eq_u32_e32 vcc_lo, 0, v35
	v_or_b32_e32 v83, 0x800000, v31
	v_cndmask_b32_e64 v82, 0, v82, s16
	v_cndmask_b32_e32 v31, v83, v31, vcc_lo
	v_cndmask_b32_e64 v82, v82, 0x77, vcc_lo
	v_lshl_add_u32 v83, 0x100000, v82, -1
	v_lshlrev_b32_e64 v86, v82, 0x80000
	v_and_b32_e32 v83, v83, v31
	v_cmp_eq_u32_e64 s16, v83, v86
	v_lshrrev_b32_e32 v83, v82, v31
	v_add_nc_u32_e32 v31, 0xffffff89, v35
	v_lshrrev_b32_e32 v35, 23, v83
	v_cndmask_b32_e64 v31, v31, 0xffffff8a, vcc_lo
	v_xor_b32_e32 v35, 1, v35
	v_add_nc_u32_e32 v31, v82, v31
	v_bfe_u32 v82, v83, 20, 1
	v_add_nc_u32_e32 v82, -1, v82
	v_cndmask_b32_e64 v82, 0, v82, s16
	s_mov_b32 s16, exec_lo
	v_add_nc_u32_e32 v82, v82, v83
	v_and_b32_e32 v82, 0xfffff, v82
	v_add_nc_u32_e32 v82, v82, v83
                                        ; implicit-def: $vgpr83
	v_cmpx_ne_u32_e64 v31, v35
	s_xor_b32 s16, exec_lo, s16
; %bb.6767:                             ;   in Loop: Header=BB6_5548 Depth=3
	v_cmp_lt_u32_e32 vcc_lo, 0xffffff, v82
	v_sub_nc_u32_e32 v31, v31, v35
	v_cndmask_b32_e64 v35, 0, 1, vcc_lo
	v_add_co_ci_u32_e64 v83, null, 0, v31, vcc_lo
	v_lshrrev_b32_e32 v82, v35, v82
; %bb.6768:                             ;   in Loop: Header=BB6_5548 Depth=3
	s_andn2_saveexec_b32 s16, s16
; %bb.6769:                             ;   in Loop: Header=BB6_5548 Depth=3
	v_bfe_u32 v83, v82, 23, 1
; %bb.6770:                             ;   in Loop: Header=BB6_5548 Depth=3
	s_or_b32 exec_lo, exec_lo, s16
	v_lshrrev_b32_e32 v31, 20, v82
	v_min_i32_e32 v35, 15, v83
	v_cmp_gt_i32_e32 vcc_lo, 16, v83
	v_and_b32_sdwa v1, v1, v62 dst_sel:DWORD dst_unused:UNUSED_PAD src0_sel:BYTE_3 src1_sel:DWORD
	v_lshlrev_b32_e32 v35, 3, v35
	v_cndmask_b32_e32 v31, 7, v31, vcc_lo
	v_and_b32_e32 v35, 0xf8, v35
	v_or_b32_e32 v82, v83, v31
	v_and_b32_e32 v31, 7, v31
	v_cmp_ne_u32_e32 vcc_lo, 0, v82
	v_or3_b32 v1, v1, v35, v31
	v_lshlrev_b32_e32 v1, 8, v1
	v_cndmask_b32_e32 v35, 0, v1, vcc_lo
.LBB6_6771:                             ;   in Loop: Header=BB6_5548 Depth=3
	s_or_b32 exec_lo, exec_lo, s23
.LBB6_6772:                             ;   in Loop: Header=BB6_5548 Depth=3
	s_or_b32 exec_lo, exec_lo, s22
	v_and_b32_sdwa v1, v20, v72 dst_sel:DWORD dst_unused:UNUSED_PAD src0_sel:WORD_1 src1_sel:DWORD
	s_andn2_b32 vcc_lo, exec_lo, s19
	s_mov_b32 s22, -1
                                        ; implicit-def: $vgpr31
	v_cmp_lt_i16_e64 s16, 0x7f, v1
	s_cbranch_vccnz .LBB6_6786
; %bb.6773:                             ;   in Loop: Header=BB6_5548 Depth=3
	s_mov_b32 s22, 0
	s_and_saveexec_b32 s23, s16
	s_xor_b32 s16, exec_lo, s23
	s_cbranch_execz .LBB6_8122
; %bb.6774:                             ;   in Loop: Header=BB6_5548 Depth=3
	s_mov_b32 s22, -1
	s_mov_b32 s23, exec_lo
	v_cmpx_eq_u16_e32 0x80, v1
; %bb.6775:                             ;   in Loop: Header=BB6_5548 Depth=3
	s_xor_b32 s22, exec_lo, -1
; %bb.6776:                             ;   in Loop: Header=BB6_5548 Depth=3
	s_or_b32 exec_lo, exec_lo, s23
	s_and_b32 s22, s22, exec_lo
	s_or_saveexec_b32 s16, s16
	v_mov_b32_e32 v31, 0x7f800001
	s_xor_b32 exec_lo, exec_lo, s16
	s_cbranch_execnz .LBB6_8123
.LBB6_6777:                             ;   in Loop: Header=BB6_5548 Depth=3
	s_or_b32 exec_lo, exec_lo, s16
	s_and_saveexec_b32 s16, s22
	s_cbranch_execz .LBB6_6779
.LBB6_6778:                             ;   in Loop: Header=BB6_5548 Depth=3
	v_bfe_u32 v31, v20, 16, 3
	v_bfe_u32 v82, v20, 19, 4
	v_ffbh_u32_e32 v83, v31
	v_cmp_eq_u32_e32 vcc_lo, 0, v82
	v_min_u32_e32 v83, 32, v83
	v_subrev_nc_u32_e32 v86, 28, v83
	v_sub_nc_u32_e32 v83, 29, v83
	v_lshlrev_b32_sdwa v86, v86, v20 dst_sel:DWORD dst_unused:UNUSED_PAD src0_sel:DWORD src1_sel:WORD_1
	v_cndmask_b32_e32 v82, v82, v83, vcc_lo
	v_lshlrev_b32_sdwa v83, v73, v20 dst_sel:DWORD dst_unused:UNUSED_PAD src0_sel:DWORD src1_sel:WORD_1
	v_and_b32_e32 v86, 7, v86
	v_lshl_add_u32 v82, v82, 23, 0x3b800000
	v_and_b32_e32 v83, 0x80000000, v83
	v_cndmask_b32_e32 v31, v31, v86, vcc_lo
	v_lshlrev_b32_e32 v31, 20, v31
	v_or3_b32 v31, v83, v82, v31
.LBB6_6779:                             ;   in Loop: Header=BB6_5548 Depth=3
	s_or_b32 exec_lo, exec_lo, s16
	s_waitcnt vmcnt(1)
	v_and_b32_sdwa v83, v16, v72 dst_sel:DWORD dst_unused:UNUSED_PAD src0_sel:WORD_1 src1_sel:DWORD
	s_mov_b32 s22, 0
	s_mov_b32 s16, exec_lo
	v_cmpx_lt_i16_e32 0x7f, v83
	s_xor_b32 s16, exec_lo, s16
	s_cbranch_execz .LBB6_8124
; %bb.6780:                             ;   in Loop: Header=BB6_5548 Depth=3
	s_mov_b32 s22, -1
	s_mov_b32 s23, exec_lo
	v_cmpx_eq_u16_e32 0x80, v83
; %bb.6781:                             ;   in Loop: Header=BB6_5548 Depth=3
	s_xor_b32 s22, exec_lo, -1
; %bb.6782:                             ;   in Loop: Header=BB6_5548 Depth=3
	s_or_b32 exec_lo, exec_lo, s23
	s_and_b32 s22, s22, exec_lo
                                        ; implicit-def: $vgpr83
	s_or_saveexec_b32 s16, s16
	v_mov_b32_e32 v82, 0x7f800001
	s_xor_b32 exec_lo, exec_lo, s16
	s_cbranch_execnz .LBB6_8125
.LBB6_6783:                             ;   in Loop: Header=BB6_5548 Depth=3
	s_or_b32 exec_lo, exec_lo, s16
	s_and_saveexec_b32 s16, s22
	s_cbranch_execz .LBB6_6785
.LBB6_6784:                             ;   in Loop: Header=BB6_5548 Depth=3
	v_bfe_u32 v82, v16, 16, 3
	v_bfe_u32 v83, v16, 19, 4
	v_ffbh_u32_e32 v86, v82
	v_cmp_eq_u32_e32 vcc_lo, 0, v83
	v_min_u32_e32 v86, 32, v86
	v_subrev_nc_u32_e32 v87, 28, v86
	v_sub_nc_u32_e32 v86, 29, v86
	v_lshlrev_b32_sdwa v87, v87, v16 dst_sel:DWORD dst_unused:UNUSED_PAD src0_sel:DWORD src1_sel:WORD_1
	v_cndmask_b32_e32 v83, v83, v86, vcc_lo
	v_lshlrev_b32_sdwa v86, v73, v16 dst_sel:DWORD dst_unused:UNUSED_PAD src0_sel:DWORD src1_sel:WORD_1
	v_and_b32_e32 v87, 7, v87
	v_lshl_add_u32 v83, v83, 23, 0x3b800000
	v_and_b32_e32 v86, 0x80000000, v86
	v_cndmask_b32_e32 v82, v82, v87, vcc_lo
	v_lshlrev_b32_e32 v82, 20, v82
	v_or3_b32 v82, v86, v83, v82
.LBB6_6785:                             ;   in Loop: Header=BB6_5548 Depth=3
	s_or_b32 exec_lo, exec_lo, s16
	v_max_f32_e32 v82, v82, v82
	v_max_f32_e32 v31, v31, v31
	s_mov_b32 s22, 0
	v_max_f32_e32 v31, v31, v82
.LBB6_6786:                             ;   in Loop: Header=BB6_5548 Depth=3
	s_and_b32 vcc_lo, exec_lo, s22
	s_cbranch_vccz .LBB6_6800
; %bb.6787:                             ;   in Loop: Header=BB6_5548 Depth=3
	s_mov_b32 s22, 0
	s_mov_b32 s16, exec_lo
	v_cmpx_lt_i16_e32 0x7f, v1
	s_xor_b32 s16, exec_lo, s16
	s_cbranch_execz .LBB6_8126
; %bb.6788:                             ;   in Loop: Header=BB6_5548 Depth=3
	s_mov_b32 s22, -1
	s_mov_b32 s23, exec_lo
	v_cmpx_eq_u16_e32 0x80, v1
; %bb.6789:                             ;   in Loop: Header=BB6_5548 Depth=3
	s_xor_b32 s22, exec_lo, -1
; %bb.6790:                             ;   in Loop: Header=BB6_5548 Depth=3
	s_or_b32 exec_lo, exec_lo, s23
	s_and_b32 s22, s22, exec_lo
                                        ; implicit-def: $vgpr1
	s_or_saveexec_b32 s16, s16
	v_mov_b32_e32 v31, 0x7f800001
	s_xor_b32 exec_lo, exec_lo, s16
	s_cbranch_execnz .LBB6_8127
.LBB6_6791:                             ;   in Loop: Header=BB6_5548 Depth=3
	s_or_b32 exec_lo, exec_lo, s16
	s_and_saveexec_b32 s16, s22
	s_cbranch_execz .LBB6_6793
.LBB6_6792:                             ;   in Loop: Header=BB6_5548 Depth=3
	v_bfe_u32 v1, v20, 16, 3
	v_bfe_u32 v31, v20, 19, 4
	v_ffbh_u32_e32 v82, v1
	v_cmp_eq_u32_e32 vcc_lo, 0, v31
	v_min_u32_e32 v82, 32, v82
	v_subrev_nc_u32_e32 v83, 28, v82
	v_sub_nc_u32_e32 v82, 29, v82
	v_lshlrev_b32_sdwa v83, v83, v20 dst_sel:DWORD dst_unused:UNUSED_PAD src0_sel:DWORD src1_sel:WORD_1
	v_cndmask_b32_e32 v31, v31, v82, vcc_lo
	v_lshlrev_b32_sdwa v82, v73, v20 dst_sel:DWORD dst_unused:UNUSED_PAD src0_sel:DWORD src1_sel:WORD_1
	v_and_b32_e32 v83, 7, v83
	v_lshl_add_u32 v31, v31, 23, 0x3b800000
	v_and_b32_e32 v82, 0x80000000, v82
	v_cndmask_b32_e32 v1, v1, v83, vcc_lo
	v_lshlrev_b32_e32 v1, 20, v1
	v_or3_b32 v31, v82, v31, v1
.LBB6_6793:                             ;   in Loop: Header=BB6_5548 Depth=3
	s_or_b32 exec_lo, exec_lo, s16
	s_waitcnt vmcnt(1)
	v_and_b32_sdwa v82, v16, v72 dst_sel:DWORD dst_unused:UNUSED_PAD src0_sel:WORD_1 src1_sel:DWORD
	s_mov_b32 s22, 0
	s_mov_b32 s16, exec_lo
	v_cmpx_lt_i16_e32 0x7f, v82
	s_xor_b32 s16, exec_lo, s16
	s_cbranch_execz .LBB6_8128
; %bb.6794:                             ;   in Loop: Header=BB6_5548 Depth=3
	s_mov_b32 s22, -1
	s_mov_b32 s23, exec_lo
	v_cmpx_eq_u16_e32 0x80, v82
; %bb.6795:                             ;   in Loop: Header=BB6_5548 Depth=3
	s_xor_b32 s22, exec_lo, -1
; %bb.6796:                             ;   in Loop: Header=BB6_5548 Depth=3
	s_or_b32 exec_lo, exec_lo, s23
	s_and_b32 s22, s22, exec_lo
                                        ; implicit-def: $vgpr82
	s_or_saveexec_b32 s16, s16
	v_mov_b32_e32 v1, 0x7f800001
	s_xor_b32 exec_lo, exec_lo, s16
	s_cbranch_execnz .LBB6_8129
.LBB6_6797:                             ;   in Loop: Header=BB6_5548 Depth=3
	s_or_b32 exec_lo, exec_lo, s16
	s_and_saveexec_b32 s16, s22
	s_cbranch_execz .LBB6_6799
.LBB6_6798:                             ;   in Loop: Header=BB6_5548 Depth=3
	v_bfe_u32 v1, v16, 16, 3
	v_bfe_u32 v82, v16, 19, 4
	v_ffbh_u32_e32 v83, v1
	v_cmp_eq_u32_e32 vcc_lo, 0, v82
	v_min_u32_e32 v83, 32, v83
	v_subrev_nc_u32_e32 v86, 28, v83
	v_sub_nc_u32_e32 v83, 29, v83
	v_lshlrev_b32_sdwa v86, v86, v16 dst_sel:DWORD dst_unused:UNUSED_PAD src0_sel:DWORD src1_sel:WORD_1
	v_cndmask_b32_e32 v82, v82, v83, vcc_lo
	v_lshlrev_b32_sdwa v83, v73, v16 dst_sel:DWORD dst_unused:UNUSED_PAD src0_sel:DWORD src1_sel:WORD_1
	v_and_b32_e32 v86, 7, v86
	v_lshl_add_u32 v82, v82, 23, 0x3b800000
	v_and_b32_e32 v83, 0x80000000, v83
	v_cndmask_b32_e32 v1, v1, v86, vcc_lo
	v_lshlrev_b32_e32 v1, 20, v1
	v_or3_b32 v1, v83, v82, v1
.LBB6_6799:                             ;   in Loop: Header=BB6_5548 Depth=3
	s_or_b32 exec_lo, exec_lo, s16
	v_max_f32_e32 v1, v1, v1
	v_max_f32_e32 v31, v31, v31
	v_min_f32_e32 v31, v31, v1
.LBB6_6800:                             ;   in Loop: Header=BB6_5548 Depth=3
	v_and_b32_e32 v1, 0x7f800000, v31
	v_mov_b32_e32 v82, 0x80
	s_mov_b32 s22, exec_lo
	v_cmpx_ne_u32_e32 0x7f800000, v1
	s_cbranch_execz .LBB6_6808
; %bb.6801:                             ;   in Loop: Header=BB6_5548 Depth=3
	v_mov_b32_e32 v82, 0
	s_mov_b32 s23, exec_lo
	v_cmpx_ne_u32_e32 0, v31
	s_cbranch_execz .LBB6_6807
; %bb.6802:                             ;   in Loop: Header=BB6_5548 Depth=3
	v_bfe_u32 v82, v31, 23, 8
	v_and_b32_e32 v1, 0x7fffff, v31
                                        ; implicit-def: $vgpr98
	v_cmp_gt_u32_e64 s16, 0x79, v82
	v_sub_nc_u32_e32 v83, 0x78, v82
	v_cmp_eq_u32_e32 vcc_lo, 0, v82
	v_or_b32_e32 v86, 0x800000, v1
	v_cndmask_b32_e64 v83, 0, v83, s16
	v_cndmask_b32_e32 v1, v86, v1, vcc_lo
	v_cndmask_b32_e64 v83, v83, 0x77, vcc_lo
	v_lshl_add_u32 v86, 0x100000, v83, -1
	v_lshlrev_b32_e64 v87, v83, 0x80000
	v_and_b32_e32 v86, v86, v1
	v_cmp_eq_u32_e64 s16, v86, v87
	v_lshrrev_b32_e32 v86, v83, v1
	v_add_nc_u32_e32 v1, 0xffffff89, v82
	v_lshrrev_b32_e32 v82, 23, v86
	v_cndmask_b32_e64 v1, v1, 0xffffff8a, vcc_lo
	v_xor_b32_e32 v82, 1, v82
	v_add_nc_u32_e32 v1, v83, v1
	v_bfe_u32 v83, v86, 20, 1
	v_add_nc_u32_e32 v83, -1, v83
	v_cndmask_b32_e64 v83, 0, v83, s16
	s_mov_b32 s16, exec_lo
	v_add_nc_u32_e32 v83, v83, v86
	v_and_b32_e32 v83, 0xfffff, v83
	v_add_nc_u32_e32 v83, v83, v86
	v_cmpx_ne_u32_e64 v1, v82
	s_xor_b32 s16, exec_lo, s16
; %bb.6803:                             ;   in Loop: Header=BB6_5548 Depth=3
	v_cmp_lt_u32_e32 vcc_lo, 0xffffff, v83
	v_sub_nc_u32_e32 v1, v1, v82
	v_cndmask_b32_e64 v82, 0, 1, vcc_lo
	v_add_co_ci_u32_e64 v98, null, 0, v1, vcc_lo
	v_lshrrev_b32_e32 v83, v82, v83
; %bb.6804:                             ;   in Loop: Header=BB6_5548 Depth=3
	s_andn2_saveexec_b32 s16, s16
; %bb.6805:                             ;   in Loop: Header=BB6_5548 Depth=3
	v_bfe_u32 v98, v83, 23, 1
; %bb.6806:                             ;   in Loop: Header=BB6_5548 Depth=3
	s_or_b32 exec_lo, exec_lo, s16
	v_and_b32_sdwa v1, v31, v62 dst_sel:DWORD dst_unused:UNUSED_PAD src0_sel:BYTE_3 src1_sel:DWORD
	v_lshrrev_b32_e32 v31, 20, v83
	v_min_i32_e32 v82, 15, v98
	v_cmp_gt_i32_e32 vcc_lo, 16, v98
	v_lshlrev_b32_e32 v82, 3, v82
	v_cndmask_b32_e32 v31, 7, v31, vcc_lo
	v_and_b32_e32 v82, 0xf8, v82
	v_or_b32_e32 v83, v98, v31
	v_and_b32_e32 v31, 7, v31
	v_cmp_ne_u32_e32 vcc_lo, 0, v83
	v_or3_b32 v1, v82, v1, v31
	v_cndmask_b32_e32 v82, 0, v1, vcc_lo
.LBB6_6807:                             ;   in Loop: Header=BB6_5548 Depth=3
	s_or_b32 exec_lo, exec_lo, s23
.LBB6_6808:                             ;   in Loop: Header=BB6_5548 Depth=3
	s_or_b32 exec_lo, exec_lo, s22
	v_cmp_gt_i16_sdwa s22, v20, v61 src0_sel:BYTE_3 src1_sel:DWORD
	s_andn2_b32 vcc_lo, exec_lo, s19
	s_mov_b32 s16, -1
                                        ; implicit-def: $vgpr1
	s_cbranch_vccnz .LBB6_6822
; %bb.6809:                             ;   in Loop: Header=BB6_5548 Depth=3
	s_mov_b32 s16, 0
	s_and_saveexec_b32 s23, s22
	s_xor_b32 s22, exec_lo, s23
	s_cbranch_execz .LBB6_8130
; %bb.6810:                             ;   in Loop: Header=BB6_5548 Depth=3
	v_cmp_eq_u16_sdwa s73, v20, v62 src0_sel:BYTE_3 src1_sel:DWORD
	s_mov_b32 s16, -1
	s_and_saveexec_b32 s23, s73
; %bb.6811:                             ;   in Loop: Header=BB6_5548 Depth=3
	s_xor_b32 s16, exec_lo, -1
; %bb.6812:                             ;   in Loop: Header=BB6_5548 Depth=3
	s_or_b32 exec_lo, exec_lo, s23
	s_and_b32 s16, s16, exec_lo
	s_or_saveexec_b32 s22, s22
	v_mov_b32_e32 v1, 0x7f800001
	s_xor_b32 exec_lo, exec_lo, s22
	s_cbranch_execnz .LBB6_8131
.LBB6_6813:                             ;   in Loop: Header=BB6_5548 Depth=3
	s_or_b32 exec_lo, exec_lo, s22
	s_and_saveexec_b32 s22, s16
	s_cbranch_execz .LBB6_6815
.LBB6_6814:                             ;   in Loop: Header=BB6_5548 Depth=3
	v_bfe_u32 v1, v20, 24, 3
	v_bfe_u32 v86, v20, 27, 4
	v_ffbh_u32_e32 v31, v1
	v_cmp_eq_u32_e32 vcc_lo, 0, v86
	v_min_u32_e32 v31, 32, v31
	v_subrev_nc_u32_e32 v83, 28, v31
	v_sub_nc_u32_e32 v31, 29, v31
	v_lshlrev_b32_sdwa v83, v83, v20 dst_sel:DWORD dst_unused:UNUSED_PAD src0_sel:DWORD src1_sel:BYTE_3
	v_cndmask_b32_e32 v31, v86, v31, vcc_lo
	v_and_b32_e32 v83, 7, v83
	v_lshl_add_u32 v31, v31, 23, 0x3b800000
	v_cndmask_b32_e32 v1, v1, v83, vcc_lo
	v_and_b32_e32 v83, 0x80000000, v20
	v_lshlrev_b32_e32 v1, 20, v1
	v_or3_b32 v1, v83, v31, v1
.LBB6_6815:                             ;   in Loop: Header=BB6_5548 Depth=3
	s_or_b32 exec_lo, exec_lo, s22
	s_waitcnt vmcnt(1)
	v_cmp_gt_i16_sdwa s22, v16, v61 src0_sel:BYTE_3 src1_sel:DWORD
	s_mov_b32 s16, 0
	s_and_saveexec_b32 s23, s22
	s_xor_b32 s22, exec_lo, s23
	s_cbranch_execz .LBB6_8132
; %bb.6816:                             ;   in Loop: Header=BB6_5548 Depth=3
	v_cmp_eq_u16_sdwa s73, v16, v62 src0_sel:BYTE_3 src1_sel:DWORD
	s_mov_b32 s16, -1
	s_and_saveexec_b32 s23, s73
; %bb.6817:                             ;   in Loop: Header=BB6_5548 Depth=3
	s_xor_b32 s16, exec_lo, -1
; %bb.6818:                             ;   in Loop: Header=BB6_5548 Depth=3
	s_or_b32 exec_lo, exec_lo, s23
	s_and_b32 s16, s16, exec_lo
	s_or_saveexec_b32 s22, s22
	v_mov_b32_e32 v31, 0x7f800001
	s_xor_b32 exec_lo, exec_lo, s22
	s_cbranch_execnz .LBB6_8133
.LBB6_6819:                             ;   in Loop: Header=BB6_5548 Depth=3
	s_or_b32 exec_lo, exec_lo, s22
	s_and_saveexec_b32 s22, s16
	s_cbranch_execz .LBB6_6821
.LBB6_6820:                             ;   in Loop: Header=BB6_5548 Depth=3
	v_bfe_u32 v31, v16, 24, 3
	v_bfe_u32 v87, v16, 27, 4
	v_ffbh_u32_e32 v83, v31
	v_cmp_eq_u32_e32 vcc_lo, 0, v87
	v_min_u32_e32 v83, 32, v83
	v_subrev_nc_u32_e32 v86, 28, v83
	v_sub_nc_u32_e32 v83, 29, v83
	v_lshlrev_b32_sdwa v86, v86, v16 dst_sel:DWORD dst_unused:UNUSED_PAD src0_sel:DWORD src1_sel:BYTE_3
	v_cndmask_b32_e32 v83, v87, v83, vcc_lo
	v_and_b32_e32 v86, 7, v86
	v_lshl_add_u32 v83, v83, 23, 0x3b800000
	v_cndmask_b32_e32 v31, v31, v86, vcc_lo
	v_and_b32_e32 v86, 0x80000000, v16
	v_lshlrev_b32_e32 v31, 20, v31
	v_or3_b32 v31, v86, v83, v31
.LBB6_6821:                             ;   in Loop: Header=BB6_5548 Depth=3
	s_or_b32 exec_lo, exec_lo, s22
	v_max_f32_e32 v31, v31, v31
	v_max_f32_e32 v1, v1, v1
	s_mov_b32 s16, 0
	v_max_f32_e32 v1, v1, v31
.LBB6_6822:                             ;   in Loop: Header=BB6_5548 Depth=3
	s_and_b32 vcc_lo, exec_lo, s16
	s_cbranch_vccz .LBB6_6836
; %bb.6823:                             ;   in Loop: Header=BB6_5548 Depth=3
	v_cmp_gt_i16_sdwa s22, v20, v61 src0_sel:BYTE_3 src1_sel:DWORD
	s_mov_b32 s16, 0
	s_and_saveexec_b32 s23, s22
	s_xor_b32 s22, exec_lo, s23
	s_cbranch_execz .LBB6_8134
; %bb.6824:                             ;   in Loop: Header=BB6_5548 Depth=3
	v_cmp_eq_u16_sdwa s73, v20, v62 src0_sel:BYTE_3 src1_sel:DWORD
	s_mov_b32 s16, -1
	s_and_saveexec_b32 s23, s73
; %bb.6825:                             ;   in Loop: Header=BB6_5548 Depth=3
	s_xor_b32 s16, exec_lo, -1
; %bb.6826:                             ;   in Loop: Header=BB6_5548 Depth=3
	s_or_b32 exec_lo, exec_lo, s23
	s_and_b32 s16, s16, exec_lo
	s_or_saveexec_b32 s22, s22
	v_mov_b32_e32 v1, 0x7f800001
	s_xor_b32 exec_lo, exec_lo, s22
	s_cbranch_execnz .LBB6_8135
.LBB6_6827:                             ;   in Loop: Header=BB6_5548 Depth=3
	s_or_b32 exec_lo, exec_lo, s22
	s_and_saveexec_b32 s22, s16
	s_cbranch_execz .LBB6_6829
.LBB6_6828:                             ;   in Loop: Header=BB6_5548 Depth=3
	v_bfe_u32 v1, v20, 24, 3
	v_bfe_u32 v86, v20, 27, 4
	v_ffbh_u32_e32 v31, v1
	v_cmp_eq_u32_e32 vcc_lo, 0, v86
	v_min_u32_e32 v31, 32, v31
	v_subrev_nc_u32_e32 v83, 28, v31
	v_sub_nc_u32_e32 v31, 29, v31
	v_lshlrev_b32_sdwa v83, v83, v20 dst_sel:DWORD dst_unused:UNUSED_PAD src0_sel:DWORD src1_sel:BYTE_3
	v_cndmask_b32_e32 v31, v86, v31, vcc_lo
	v_and_b32_e32 v20, 0x80000000, v20
	v_and_b32_e32 v83, 7, v83
	v_lshl_add_u32 v31, v31, 23, 0x3b800000
	v_cndmask_b32_e32 v1, v1, v83, vcc_lo
	v_lshlrev_b32_e32 v1, 20, v1
	v_or3_b32 v1, v20, v31, v1
.LBB6_6829:                             ;   in Loop: Header=BB6_5548 Depth=3
	s_or_b32 exec_lo, exec_lo, s22
	s_waitcnt vmcnt(1)
	v_cmp_gt_i16_sdwa s22, v16, v61 src0_sel:BYTE_3 src1_sel:DWORD
	s_mov_b32 s16, 0
	s_and_saveexec_b32 s23, s22
	s_xor_b32 s22, exec_lo, s23
	s_cbranch_execz .LBB6_8136
; %bb.6830:                             ;   in Loop: Header=BB6_5548 Depth=3
	v_cmp_eq_u16_sdwa s73, v16, v62 src0_sel:BYTE_3 src1_sel:DWORD
	s_mov_b32 s16, -1
	s_and_saveexec_b32 s23, s73
; %bb.6831:                             ;   in Loop: Header=BB6_5548 Depth=3
	s_xor_b32 s16, exec_lo, -1
; %bb.6832:                             ;   in Loop: Header=BB6_5548 Depth=3
	s_or_b32 exec_lo, exec_lo, s23
	s_and_b32 s16, s16, exec_lo
	s_or_saveexec_b32 s22, s22
	v_mov_b32_e32 v20, 0x7f800001
	s_xor_b32 exec_lo, exec_lo, s22
	s_cbranch_execnz .LBB6_8137
.LBB6_6833:                             ;   in Loop: Header=BB6_5548 Depth=3
	s_or_b32 exec_lo, exec_lo, s22
	s_and_saveexec_b32 s22, s16
	s_cbranch_execz .LBB6_6835
.LBB6_6834:                             ;   in Loop: Header=BB6_5548 Depth=3
	v_bfe_u32 v20, v16, 24, 3
	v_bfe_u32 v86, v16, 27, 4
	v_ffbh_u32_e32 v31, v20
	v_cmp_eq_u32_e32 vcc_lo, 0, v86
	v_min_u32_e32 v31, 32, v31
	v_subrev_nc_u32_e32 v83, 28, v31
	v_sub_nc_u32_e32 v31, 29, v31
	v_lshlrev_b32_sdwa v83, v83, v16 dst_sel:DWORD dst_unused:UNUSED_PAD src0_sel:DWORD src1_sel:BYTE_3
	v_cndmask_b32_e32 v31, v86, v31, vcc_lo
	v_and_b32_e32 v16, 0x80000000, v16
	v_and_b32_e32 v83, 7, v83
	v_lshl_add_u32 v31, v31, 23, 0x3b800000
	v_cndmask_b32_e32 v20, v20, v83, vcc_lo
	v_lshlrev_b32_e32 v20, 20, v20
	v_or3_b32 v20, v16, v31, v20
.LBB6_6835:                             ;   in Loop: Header=BB6_5548 Depth=3
	s_or_b32 exec_lo, exec_lo, s22
	v_max_f32_e32 v16, v20, v20
	v_max_f32_e32 v1, v1, v1
	v_min_f32_e32 v1, v1, v16
.LBB6_6836:                             ;   in Loop: Header=BB6_5548 Depth=3
	s_waitcnt vmcnt(1)
	v_and_b32_e32 v16, 0x7f800000, v1
	v_cmp_ne_u32_e32 vcc_lo, 0x7f800000, v16
	v_mov_b32_e32 v16, 0x8000
	s_and_saveexec_b32 s22, vcc_lo
	s_cbranch_execz .LBB6_6844
; %bb.6837:                             ;   in Loop: Header=BB6_5548 Depth=3
	v_mov_b32_e32 v16, 0
	s_mov_b32 s23, exec_lo
	v_cmpx_ne_u32_e32 0, v1
	s_cbranch_execz .LBB6_6843
; %bb.6838:                             ;   in Loop: Header=BB6_5548 Depth=3
	v_bfe_u32 v20, v1, 23, 8
	v_and_b32_e32 v16, 0x7fffff, v1
	v_cmp_gt_u32_e64 s16, 0x79, v20
	v_sub_nc_u32_e32 v31, 0x78, v20
	v_cmp_eq_u32_e32 vcc_lo, 0, v20
	v_or_b32_e32 v83, 0x800000, v16
	v_cndmask_b32_e64 v31, 0, v31, s16
	v_cndmask_b32_e32 v16, v83, v16, vcc_lo
	v_cndmask_b32_e64 v31, v31, 0x77, vcc_lo
	v_lshl_add_u32 v83, 0x100000, v31, -1
	v_lshlrev_b32_e64 v86, v31, 0x80000
	v_and_b32_e32 v83, v83, v16
	v_cmp_eq_u32_e64 s16, v83, v86
	v_lshrrev_b32_e32 v83, v31, v16
	v_add_nc_u32_e32 v16, 0xffffff89, v20
	v_lshrrev_b32_e32 v20, 23, v83
	v_cndmask_b32_e64 v16, v16, 0xffffff8a, vcc_lo
	v_xor_b32_e32 v20, 1, v20
	v_add_nc_u32_e32 v16, v31, v16
	v_bfe_u32 v31, v83, 20, 1
	v_add_nc_u32_e32 v31, -1, v31
	v_cndmask_b32_e64 v31, 0, v31, s16
	s_mov_b32 s16, exec_lo
	v_add_nc_u32_e32 v31, v31, v83
	v_and_b32_e32 v31, 0xfffff, v31
	v_add_nc_u32_e32 v31, v31, v83
                                        ; implicit-def: $vgpr83
	v_cmpx_ne_u32_e64 v16, v20
	s_xor_b32 s16, exec_lo, s16
; %bb.6839:                             ;   in Loop: Header=BB6_5548 Depth=3
	v_cmp_lt_u32_e32 vcc_lo, 0xffffff, v31
	v_sub_nc_u32_e32 v16, v16, v20
	v_cndmask_b32_e64 v20, 0, 1, vcc_lo
	v_add_co_ci_u32_e64 v83, null, 0, v16, vcc_lo
	v_lshrrev_b32_e32 v31, v20, v31
; %bb.6840:                             ;   in Loop: Header=BB6_5548 Depth=3
	s_andn2_saveexec_b32 s16, s16
; %bb.6841:                             ;   in Loop: Header=BB6_5548 Depth=3
	v_bfe_u32 v83, v31, 23, 1
; %bb.6842:                             ;   in Loop: Header=BB6_5548 Depth=3
	s_or_b32 exec_lo, exec_lo, s16
	v_lshrrev_b32_e32 v16, 20, v31
	v_min_i32_e32 v20, 15, v83
	v_cmp_gt_i32_e32 vcc_lo, 16, v83
	v_and_b32_sdwa v1, v1, v62 dst_sel:DWORD dst_unused:UNUSED_PAD src0_sel:BYTE_3 src1_sel:DWORD
	v_lshlrev_b32_e32 v20, 3, v20
	v_cndmask_b32_e32 v16, 7, v16, vcc_lo
	v_and_b32_e32 v20, 0xf8, v20
	v_or_b32_e32 v31, v83, v16
	v_and_b32_e32 v16, 7, v16
	v_cmp_ne_u32_e32 vcc_lo, 0, v31
	v_or3_b32 v1, v1, v20, v16
	v_lshlrev_b32_e32 v1, 8, v1
	v_cndmask_b32_e32 v16, 0, v1, vcc_lo
.LBB6_6843:                             ;   in Loop: Header=BB6_5548 Depth=3
	s_or_b32 exec_lo, exec_lo, s23
.LBB6_6844:                             ;   in Loop: Header=BB6_5548 Depth=3
	s_or_b32 exec_lo, exec_lo, s22
	v_cmp_gt_i16_sdwa s23, v21, v61 src0_sel:BYTE_0 src1_sel:DWORD
	s_andn2_b32 vcc_lo, exec_lo, s19
	s_mov_b32 s16, -1
                                        ; implicit-def: $vgpr1
	s_cbranch_vccnz .LBB6_6858
; %bb.6845:                             ;   in Loop: Header=BB6_5548 Depth=3
	s_mov_b32 s22, 0
	s_and_saveexec_b32 s16, s23
	s_xor_b32 s16, exec_lo, s16
	s_cbranch_execz .LBB6_8138
; %bb.6846:                             ;   in Loop: Header=BB6_5548 Depth=3
	v_cmp_eq_u16_sdwa s73, v21, v62 src0_sel:BYTE_0 src1_sel:DWORD
	s_mov_b32 s22, -1
	s_and_saveexec_b32 s23, s73
; %bb.6847:                             ;   in Loop: Header=BB6_5548 Depth=3
	s_xor_b32 s22, exec_lo, -1
; %bb.6848:                             ;   in Loop: Header=BB6_5548 Depth=3
	s_or_b32 exec_lo, exec_lo, s23
	s_and_b32 s22, s22, exec_lo
	s_or_saveexec_b32 s16, s16
	v_mov_b32_e32 v1, 0x7f800001
	s_xor_b32 exec_lo, exec_lo, s16
	s_cbranch_execnz .LBB6_8139
.LBB6_6849:                             ;   in Loop: Header=BB6_5548 Depth=3
	s_or_b32 exec_lo, exec_lo, s16
	s_and_saveexec_b32 s16, s22
	s_cbranch_execz .LBB6_6851
.LBB6_6850:                             ;   in Loop: Header=BB6_5548 Depth=3
	v_and_b32_e32 v1, 7, v21
	v_bfe_u32 v20, v21, 3, 4
	v_ffbh_u32_e32 v31, v1
	v_cmp_eq_u32_e32 vcc_lo, 0, v20
	v_min_u32_e32 v31, 32, v31
	v_subrev_nc_u32_e32 v83, 28, v31
	v_sub_nc_u32_e32 v31, 29, v31
	v_lshlrev_b32_e32 v83, v83, v21
	v_cndmask_b32_e32 v20, v20, v31, vcc_lo
	v_lshlrev_b32_e32 v31, 24, v21
	v_and_b32_e32 v83, 7, v83
	v_lshl_add_u32 v20, v20, 23, 0x3b800000
	v_and_b32_e32 v31, 0x80000000, v31
	v_cndmask_b32_e32 v1, v1, v83, vcc_lo
	v_lshlrev_b32_e32 v1, 20, v1
	v_or3_b32 v1, v31, v20, v1
.LBB6_6851:                             ;   in Loop: Header=BB6_5548 Depth=3
	s_or_b32 exec_lo, exec_lo, s16
	v_cmp_gt_i16_sdwa s16, v17, v61 src0_sel:BYTE_0 src1_sel:DWORD
	s_mov_b32 s22, 0
	s_and_saveexec_b32 s23, s16
	s_xor_b32 s16, exec_lo, s23
	s_cbranch_execz .LBB6_8140
; %bb.6852:                             ;   in Loop: Header=BB6_5548 Depth=3
	v_cmp_eq_u16_sdwa s73, v17, v62 src0_sel:BYTE_0 src1_sel:DWORD
	s_mov_b32 s22, -1
	s_and_saveexec_b32 s23, s73
; %bb.6853:                             ;   in Loop: Header=BB6_5548 Depth=3
	s_xor_b32 s22, exec_lo, -1
; %bb.6854:                             ;   in Loop: Header=BB6_5548 Depth=3
	s_or_b32 exec_lo, exec_lo, s23
	s_and_b32 s22, s22, exec_lo
	s_or_saveexec_b32 s16, s16
	v_mov_b32_e32 v20, 0x7f800001
	s_xor_b32 exec_lo, exec_lo, s16
	s_cbranch_execnz .LBB6_8141
.LBB6_6855:                             ;   in Loop: Header=BB6_5548 Depth=3
	s_or_b32 exec_lo, exec_lo, s16
	s_and_saveexec_b32 s16, s22
	s_cbranch_execz .LBB6_6857
.LBB6_6856:                             ;   in Loop: Header=BB6_5548 Depth=3
	v_and_b32_e32 v20, 7, v17
	v_bfe_u32 v31, v17, 3, 4
	v_ffbh_u32_e32 v83, v20
	v_cmp_eq_u32_e32 vcc_lo, 0, v31
	v_min_u32_e32 v83, 32, v83
	v_subrev_nc_u32_e32 v86, 28, v83
	v_sub_nc_u32_e32 v83, 29, v83
	v_lshlrev_b32_e32 v86, v86, v17
	v_cndmask_b32_e32 v31, v31, v83, vcc_lo
	v_lshlrev_b32_e32 v83, 24, v17
	v_and_b32_e32 v86, 7, v86
	v_lshl_add_u32 v31, v31, 23, 0x3b800000
	v_and_b32_e32 v83, 0x80000000, v83
	v_cndmask_b32_e32 v20, v20, v86, vcc_lo
	v_lshlrev_b32_e32 v20, 20, v20
	v_or3_b32 v20, v83, v31, v20
.LBB6_6857:                             ;   in Loop: Header=BB6_5548 Depth=3
	s_or_b32 exec_lo, exec_lo, s16
	v_max_f32_e32 v20, v20, v20
	v_max_f32_e32 v1, v1, v1
	s_mov_b32 s16, 0
	v_max_f32_e32 v1, v1, v20
.LBB6_6858:                             ;   in Loop: Header=BB6_5548 Depth=3
	s_and_b32 vcc_lo, exec_lo, s16
	s_cbranch_vccz .LBB6_6872
; %bb.6859:                             ;   in Loop: Header=BB6_5548 Depth=3
	v_cmp_gt_i16_sdwa s16, v21, v61 src0_sel:BYTE_0 src1_sel:DWORD
	s_mov_b32 s22, 0
	s_and_saveexec_b32 s23, s16
	s_xor_b32 s16, exec_lo, s23
	s_cbranch_execz .LBB6_8142
; %bb.6860:                             ;   in Loop: Header=BB6_5548 Depth=3
	v_cmp_eq_u16_sdwa s73, v21, v62 src0_sel:BYTE_0 src1_sel:DWORD
	s_mov_b32 s22, -1
	s_and_saveexec_b32 s23, s73
; %bb.6861:                             ;   in Loop: Header=BB6_5548 Depth=3
	s_xor_b32 s22, exec_lo, -1
; %bb.6862:                             ;   in Loop: Header=BB6_5548 Depth=3
	s_or_b32 exec_lo, exec_lo, s23
	s_and_b32 s22, s22, exec_lo
	s_or_saveexec_b32 s16, s16
	v_mov_b32_e32 v1, 0x7f800001
	s_xor_b32 exec_lo, exec_lo, s16
	s_cbranch_execnz .LBB6_8143
.LBB6_6863:                             ;   in Loop: Header=BB6_5548 Depth=3
	s_or_b32 exec_lo, exec_lo, s16
	s_and_saveexec_b32 s16, s22
	s_cbranch_execz .LBB6_6865
.LBB6_6864:                             ;   in Loop: Header=BB6_5548 Depth=3
	v_and_b32_e32 v1, 7, v21
	v_bfe_u32 v20, v21, 3, 4
	v_ffbh_u32_e32 v31, v1
	v_cmp_eq_u32_e32 vcc_lo, 0, v20
	v_min_u32_e32 v31, 32, v31
	v_subrev_nc_u32_e32 v83, 28, v31
	v_sub_nc_u32_e32 v31, 29, v31
	v_lshlrev_b32_e32 v83, v83, v21
	v_cndmask_b32_e32 v20, v20, v31, vcc_lo
	v_lshlrev_b32_e32 v31, 24, v21
	v_and_b32_e32 v83, 7, v83
	v_lshl_add_u32 v20, v20, 23, 0x3b800000
	v_and_b32_e32 v31, 0x80000000, v31
	v_cndmask_b32_e32 v1, v1, v83, vcc_lo
	v_lshlrev_b32_e32 v1, 20, v1
	v_or3_b32 v1, v31, v20, v1
.LBB6_6865:                             ;   in Loop: Header=BB6_5548 Depth=3
	s_or_b32 exec_lo, exec_lo, s16
	v_cmp_gt_i16_sdwa s16, v17, v61 src0_sel:BYTE_0 src1_sel:DWORD
	s_mov_b32 s22, 0
	s_and_saveexec_b32 s23, s16
	s_xor_b32 s16, exec_lo, s23
	s_cbranch_execz .LBB6_8144
; %bb.6866:                             ;   in Loop: Header=BB6_5548 Depth=3
	v_cmp_eq_u16_sdwa s73, v17, v62 src0_sel:BYTE_0 src1_sel:DWORD
	s_mov_b32 s22, -1
	s_and_saveexec_b32 s23, s73
; %bb.6867:                             ;   in Loop: Header=BB6_5548 Depth=3
	s_xor_b32 s22, exec_lo, -1
; %bb.6868:                             ;   in Loop: Header=BB6_5548 Depth=3
	s_or_b32 exec_lo, exec_lo, s23
	s_and_b32 s22, s22, exec_lo
	s_or_saveexec_b32 s16, s16
	v_mov_b32_e32 v20, 0x7f800001
	s_xor_b32 exec_lo, exec_lo, s16
	s_cbranch_execnz .LBB6_8145
.LBB6_6869:                             ;   in Loop: Header=BB6_5548 Depth=3
	s_or_b32 exec_lo, exec_lo, s16
	s_and_saveexec_b32 s16, s22
	s_cbranch_execz .LBB6_6871
.LBB6_6870:                             ;   in Loop: Header=BB6_5548 Depth=3
	v_and_b32_e32 v20, 7, v17
	v_bfe_u32 v31, v17, 3, 4
	v_ffbh_u32_e32 v83, v20
	v_cmp_eq_u32_e32 vcc_lo, 0, v31
	v_min_u32_e32 v83, 32, v83
	v_subrev_nc_u32_e32 v86, 28, v83
	v_sub_nc_u32_e32 v83, 29, v83
	v_lshlrev_b32_e32 v86, v86, v17
	v_cndmask_b32_e32 v31, v31, v83, vcc_lo
	v_lshlrev_b32_e32 v83, 24, v17
	v_and_b32_e32 v86, 7, v86
	v_lshl_add_u32 v31, v31, 23, 0x3b800000
	v_and_b32_e32 v83, 0x80000000, v83
	v_cndmask_b32_e32 v20, v20, v86, vcc_lo
	v_lshlrev_b32_e32 v20, 20, v20
	v_or3_b32 v20, v83, v31, v20
.LBB6_6871:                             ;   in Loop: Header=BB6_5548 Depth=3
	s_or_b32 exec_lo, exec_lo, s16
	v_max_f32_e32 v20, v20, v20
	v_max_f32_e32 v1, v1, v1
	v_min_f32_e32 v1, v1, v20
.LBB6_6872:                             ;   in Loop: Header=BB6_5548 Depth=3
	v_and_b32_e32 v20, 0x7f800000, v1
	v_cmp_ne_u32_e32 vcc_lo, 0x7f800000, v20
	v_mov_b32_e32 v20, 0x80
	s_and_saveexec_b32 s22, vcc_lo
	s_cbranch_execz .LBB6_6880
; %bb.6873:                             ;   in Loop: Header=BB6_5548 Depth=3
	v_mov_b32_e32 v20, 0
	s_mov_b32 s23, exec_lo
	v_cmpx_ne_u32_e32 0, v1
	s_cbranch_execz .LBB6_6879
; %bb.6874:                             ;   in Loop: Header=BB6_5548 Depth=3
	v_bfe_u32 v31, v1, 23, 8
	v_and_b32_e32 v20, 0x7fffff, v1
                                        ; implicit-def: $vgpr98
	v_cmp_gt_u32_e64 s16, 0x79, v31
	v_sub_nc_u32_e32 v83, 0x78, v31
	v_cmp_eq_u32_e32 vcc_lo, 0, v31
	v_or_b32_e32 v86, 0x800000, v20
	v_cndmask_b32_e64 v83, 0, v83, s16
	v_cndmask_b32_e32 v20, v86, v20, vcc_lo
	v_cndmask_b32_e64 v83, v83, 0x77, vcc_lo
	v_lshl_add_u32 v86, 0x100000, v83, -1
	v_lshlrev_b32_e64 v87, v83, 0x80000
	v_and_b32_e32 v86, v86, v20
	v_cmp_eq_u32_e64 s16, v86, v87
	v_lshrrev_b32_e32 v86, v83, v20
	v_add_nc_u32_e32 v20, 0xffffff89, v31
	v_lshrrev_b32_e32 v31, 23, v86
	v_cndmask_b32_e64 v20, v20, 0xffffff8a, vcc_lo
	v_xor_b32_e32 v31, 1, v31
	v_add_nc_u32_e32 v20, v83, v20
	v_bfe_u32 v83, v86, 20, 1
	v_add_nc_u32_e32 v83, -1, v83
	v_cndmask_b32_e64 v83, 0, v83, s16
	s_mov_b32 s16, exec_lo
	v_add_nc_u32_e32 v83, v83, v86
	v_and_b32_e32 v83, 0xfffff, v83
	v_add_nc_u32_e32 v83, v83, v86
	v_cmpx_ne_u32_e64 v20, v31
	s_xor_b32 s16, exec_lo, s16
; %bb.6875:                             ;   in Loop: Header=BB6_5548 Depth=3
	v_cmp_lt_u32_e32 vcc_lo, 0xffffff, v83
	v_sub_nc_u32_e32 v20, v20, v31
	v_cndmask_b32_e64 v31, 0, 1, vcc_lo
	v_add_co_ci_u32_e64 v98, null, 0, v20, vcc_lo
	v_lshrrev_b32_e32 v83, v31, v83
; %bb.6876:                             ;   in Loop: Header=BB6_5548 Depth=3
	s_andn2_saveexec_b32 s16, s16
; %bb.6877:                             ;   in Loop: Header=BB6_5548 Depth=3
	v_bfe_u32 v98, v83, 23, 1
; %bb.6878:                             ;   in Loop: Header=BB6_5548 Depth=3
	s_or_b32 exec_lo, exec_lo, s16
	v_lshrrev_b32_e32 v20, 20, v83
	v_min_i32_e32 v31, 15, v98
	v_cmp_gt_i32_e32 vcc_lo, 16, v98
	v_and_b32_sdwa v1, v1, v62 dst_sel:DWORD dst_unused:UNUSED_PAD src0_sel:BYTE_3 src1_sel:DWORD
	v_lshlrev_b32_e32 v31, 3, v31
	v_cndmask_b32_e32 v20, 7, v20, vcc_lo
	v_and_b32_e32 v31, 0xf8, v31
	v_or_b32_e32 v83, v98, v20
	v_and_b32_e32 v20, 7, v20
	v_cmp_ne_u32_e32 vcc_lo, 0, v83
	v_or3_b32 v1, v31, v1, v20
	v_cndmask_b32_e32 v20, 0, v1, vcc_lo
.LBB6_6879:                             ;   in Loop: Header=BB6_5548 Depth=3
	s_or_b32 exec_lo, exec_lo, s23
.LBB6_6880:                             ;   in Loop: Header=BB6_5548 Depth=3
	s_or_b32 exec_lo, exec_lo, s22
	v_cmp_gt_i16_sdwa s22, v21, v61 src0_sel:BYTE_1 src1_sel:DWORD
	s_andn2_b32 vcc_lo, exec_lo, s19
	s_mov_b32 s16, -1
                                        ; implicit-def: $vgpr1
	s_cbranch_vccnz .LBB6_6894
; %bb.6881:                             ;   in Loop: Header=BB6_5548 Depth=3
	s_mov_b32 s16, 0
	s_and_saveexec_b32 s23, s22
	s_xor_b32 s22, exec_lo, s23
	s_cbranch_execz .LBB6_8146
; %bb.6882:                             ;   in Loop: Header=BB6_5548 Depth=3
	v_cmp_eq_u16_sdwa s73, v21, v62 src0_sel:BYTE_1 src1_sel:DWORD
	s_mov_b32 s16, -1
	s_and_saveexec_b32 s23, s73
; %bb.6883:                             ;   in Loop: Header=BB6_5548 Depth=3
	s_xor_b32 s16, exec_lo, -1
; %bb.6884:                             ;   in Loop: Header=BB6_5548 Depth=3
	s_or_b32 exec_lo, exec_lo, s23
	s_and_b32 s16, s16, exec_lo
	s_or_saveexec_b32 s22, s22
	v_mov_b32_e32 v1, 0x7f800001
	s_xor_b32 exec_lo, exec_lo, s22
	s_cbranch_execnz .LBB6_8147
.LBB6_6885:                             ;   in Loop: Header=BB6_5548 Depth=3
	s_or_b32 exec_lo, exec_lo, s22
	s_and_saveexec_b32 s22, s16
	s_cbranch_execz .LBB6_6887
.LBB6_6886:                             ;   in Loop: Header=BB6_5548 Depth=3
	v_and_b32_sdwa v1, v63, v21 dst_sel:DWORD dst_unused:UNUSED_PAD src0_sel:DWORD src1_sel:BYTE_1
	v_and_b32_e32 v31, 7, v1
	v_bfe_u32 v87, v1, 3, 4
	v_ffbh_u32_e32 v83, v31
	v_cmp_eq_u32_e32 vcc_lo, 0, v87
	v_min_u32_e32 v83, 32, v83
	v_subrev_nc_u32_e32 v86, 28, v83
	v_sub_nc_u32_e32 v83, 29, v83
	v_lshlrev_b32_e32 v1, v86, v1
	v_lshlrev_b32_e32 v86, 16, v21
	v_cndmask_b32_e32 v83, v87, v83, vcc_lo
	v_and_b32_e32 v1, 7, v1
	v_lshl_add_u32 v83, v83, 23, 0x3b800000
	v_cndmask_b32_e32 v1, v31, v1, vcc_lo
	v_and_b32_e32 v31, 0x80000000, v86
	v_lshlrev_b32_e32 v1, 20, v1
	v_or3_b32 v1, v31, v83, v1
.LBB6_6887:                             ;   in Loop: Header=BB6_5548 Depth=3
	s_or_b32 exec_lo, exec_lo, s22
	v_cmp_gt_i16_sdwa s22, v17, v61 src0_sel:BYTE_1 src1_sel:DWORD
	s_mov_b32 s16, 0
	s_and_saveexec_b32 s23, s22
	s_xor_b32 s22, exec_lo, s23
	s_cbranch_execz .LBB6_8148
; %bb.6888:                             ;   in Loop: Header=BB6_5548 Depth=3
	v_cmp_eq_u16_sdwa s73, v17, v62 src0_sel:BYTE_1 src1_sel:DWORD
	s_mov_b32 s16, -1
	s_and_saveexec_b32 s23, s73
; %bb.6889:                             ;   in Loop: Header=BB6_5548 Depth=3
	s_xor_b32 s16, exec_lo, -1
; %bb.6890:                             ;   in Loop: Header=BB6_5548 Depth=3
	s_or_b32 exec_lo, exec_lo, s23
	s_and_b32 s16, s16, exec_lo
	s_or_saveexec_b32 s22, s22
	v_mov_b32_e32 v31, 0x7f800001
	s_xor_b32 exec_lo, exec_lo, s22
	s_cbranch_execnz .LBB6_8149
.LBB6_6891:                             ;   in Loop: Header=BB6_5548 Depth=3
	s_or_b32 exec_lo, exec_lo, s22
	s_and_saveexec_b32 s22, s16
	s_cbranch_execz .LBB6_6893
.LBB6_6892:                             ;   in Loop: Header=BB6_5548 Depth=3
	v_and_b32_sdwa v31, v63, v17 dst_sel:DWORD dst_unused:UNUSED_PAD src0_sel:DWORD src1_sel:BYTE_1
	v_and_b32_e32 v83, 7, v31
	v_bfe_u32 v98, v31, 3, 4
	v_ffbh_u32_e32 v86, v83
	v_cmp_eq_u32_e32 vcc_lo, 0, v98
	v_min_u32_e32 v86, 32, v86
	v_subrev_nc_u32_e32 v87, 28, v86
	v_sub_nc_u32_e32 v86, 29, v86
	v_lshlrev_b32_e32 v31, v87, v31
	v_lshlrev_b32_e32 v87, 16, v17
	v_cndmask_b32_e32 v86, v98, v86, vcc_lo
	v_and_b32_e32 v31, 7, v31
	v_lshl_add_u32 v86, v86, 23, 0x3b800000
	v_cndmask_b32_e32 v31, v83, v31, vcc_lo
	v_and_b32_e32 v83, 0x80000000, v87
	v_lshlrev_b32_e32 v31, 20, v31
	v_or3_b32 v31, v83, v86, v31
.LBB6_6893:                             ;   in Loop: Header=BB6_5548 Depth=3
	s_or_b32 exec_lo, exec_lo, s22
	v_max_f32_e32 v31, v31, v31
	v_max_f32_e32 v1, v1, v1
	s_mov_b32 s16, 0
	v_max_f32_e32 v1, v1, v31
.LBB6_6894:                             ;   in Loop: Header=BB6_5548 Depth=3
	s_and_b32 vcc_lo, exec_lo, s16
	s_cbranch_vccz .LBB6_6908
; %bb.6895:                             ;   in Loop: Header=BB6_5548 Depth=3
	v_cmp_gt_i16_sdwa s22, v21, v61 src0_sel:BYTE_1 src1_sel:DWORD
	s_mov_b32 s16, 0
	s_and_saveexec_b32 s23, s22
	s_xor_b32 s22, exec_lo, s23
	s_cbranch_execz .LBB6_8150
; %bb.6896:                             ;   in Loop: Header=BB6_5548 Depth=3
	v_cmp_eq_u16_sdwa s73, v21, v62 src0_sel:BYTE_1 src1_sel:DWORD
	s_mov_b32 s16, -1
	s_and_saveexec_b32 s23, s73
; %bb.6897:                             ;   in Loop: Header=BB6_5548 Depth=3
	s_xor_b32 s16, exec_lo, -1
; %bb.6898:                             ;   in Loop: Header=BB6_5548 Depth=3
	s_or_b32 exec_lo, exec_lo, s23
	s_and_b32 s16, s16, exec_lo
	s_or_saveexec_b32 s22, s22
	v_mov_b32_e32 v1, 0x7f800001
	s_xor_b32 exec_lo, exec_lo, s22
	s_cbranch_execnz .LBB6_8151
.LBB6_6899:                             ;   in Loop: Header=BB6_5548 Depth=3
	s_or_b32 exec_lo, exec_lo, s22
	s_and_saveexec_b32 s22, s16
	s_cbranch_execz .LBB6_6901
.LBB6_6900:                             ;   in Loop: Header=BB6_5548 Depth=3
	v_and_b32_sdwa v1, v63, v21 dst_sel:DWORD dst_unused:UNUSED_PAD src0_sel:DWORD src1_sel:BYTE_1
	v_and_b32_e32 v31, 7, v1
	v_bfe_u32 v87, v1, 3, 4
	v_ffbh_u32_e32 v83, v31
	v_cmp_eq_u32_e32 vcc_lo, 0, v87
	v_min_u32_e32 v83, 32, v83
	v_subrev_nc_u32_e32 v86, 28, v83
	v_sub_nc_u32_e32 v83, 29, v83
	v_lshlrev_b32_e32 v1, v86, v1
	v_lshlrev_b32_e32 v86, 16, v21
	v_cndmask_b32_e32 v83, v87, v83, vcc_lo
	v_and_b32_e32 v1, 7, v1
	v_lshl_add_u32 v83, v83, 23, 0x3b800000
	v_cndmask_b32_e32 v1, v31, v1, vcc_lo
	v_and_b32_e32 v31, 0x80000000, v86
	v_lshlrev_b32_e32 v1, 20, v1
	v_or3_b32 v1, v31, v83, v1
.LBB6_6901:                             ;   in Loop: Header=BB6_5548 Depth=3
	s_or_b32 exec_lo, exec_lo, s22
	v_cmp_gt_i16_sdwa s22, v17, v61 src0_sel:BYTE_1 src1_sel:DWORD
	s_mov_b32 s16, 0
	s_and_saveexec_b32 s23, s22
	s_xor_b32 s22, exec_lo, s23
	s_cbranch_execz .LBB6_8152
; %bb.6902:                             ;   in Loop: Header=BB6_5548 Depth=3
	v_cmp_eq_u16_sdwa s73, v17, v62 src0_sel:BYTE_1 src1_sel:DWORD
	s_mov_b32 s16, -1
	s_and_saveexec_b32 s23, s73
; %bb.6903:                             ;   in Loop: Header=BB6_5548 Depth=3
	s_xor_b32 s16, exec_lo, -1
; %bb.6904:                             ;   in Loop: Header=BB6_5548 Depth=3
	s_or_b32 exec_lo, exec_lo, s23
	s_and_b32 s16, s16, exec_lo
	s_or_saveexec_b32 s22, s22
	v_mov_b32_e32 v31, 0x7f800001
	s_xor_b32 exec_lo, exec_lo, s22
	s_cbranch_execnz .LBB6_8153
.LBB6_6905:                             ;   in Loop: Header=BB6_5548 Depth=3
	s_or_b32 exec_lo, exec_lo, s22
	s_and_saveexec_b32 s22, s16
	s_cbranch_execz .LBB6_6907
.LBB6_6906:                             ;   in Loop: Header=BB6_5548 Depth=3
	v_and_b32_sdwa v31, v63, v17 dst_sel:DWORD dst_unused:UNUSED_PAD src0_sel:DWORD src1_sel:BYTE_1
	v_and_b32_e32 v83, 7, v31
	v_bfe_u32 v98, v31, 3, 4
	v_ffbh_u32_e32 v86, v83
	v_cmp_eq_u32_e32 vcc_lo, 0, v98
	v_min_u32_e32 v86, 32, v86
	v_subrev_nc_u32_e32 v87, 28, v86
	v_sub_nc_u32_e32 v86, 29, v86
	v_lshlrev_b32_e32 v31, v87, v31
	v_lshlrev_b32_e32 v87, 16, v17
	v_cndmask_b32_e32 v86, v98, v86, vcc_lo
	v_and_b32_e32 v31, 7, v31
	v_lshl_add_u32 v86, v86, 23, 0x3b800000
	v_cndmask_b32_e32 v31, v83, v31, vcc_lo
	v_and_b32_e32 v83, 0x80000000, v87
	v_lshlrev_b32_e32 v31, 20, v31
	v_or3_b32 v31, v83, v86, v31
.LBB6_6907:                             ;   in Loop: Header=BB6_5548 Depth=3
	s_or_b32 exec_lo, exec_lo, s22
	v_max_f32_e32 v31, v31, v31
	v_max_f32_e32 v1, v1, v1
	v_min_f32_e32 v1, v1, v31
.LBB6_6908:                             ;   in Loop: Header=BB6_5548 Depth=3
	v_and_b32_e32 v31, 0x7f800000, v1
	v_mov_b32_e32 v83, 0x8000
	s_mov_b32 s22, exec_lo
	v_cmpx_ne_u32_e32 0x7f800000, v31
	s_cbranch_execz .LBB6_6916
; %bb.6909:                             ;   in Loop: Header=BB6_5548 Depth=3
	v_mov_b32_e32 v83, 0
	s_mov_b32 s23, exec_lo
	v_cmpx_ne_u32_e32 0, v1
	s_cbranch_execz .LBB6_6915
; %bb.6910:                             ;   in Loop: Header=BB6_5548 Depth=3
	v_bfe_u32 v83, v1, 23, 8
	v_and_b32_e32 v31, 0x7fffff, v1
                                        ; implicit-def: $vgpr99
	v_cmp_gt_u32_e64 s16, 0x79, v83
	v_sub_nc_u32_e32 v86, 0x78, v83
	v_cmp_eq_u32_e32 vcc_lo, 0, v83
	v_or_b32_e32 v87, 0x800000, v31
	v_cndmask_b32_e64 v86, 0, v86, s16
	v_cndmask_b32_e32 v31, v87, v31, vcc_lo
	v_cndmask_b32_e64 v86, v86, 0x77, vcc_lo
	v_lshl_add_u32 v87, 0x100000, v86, -1
	v_lshlrev_b32_e64 v98, v86, 0x80000
	v_and_b32_e32 v87, v87, v31
	v_cmp_eq_u32_e64 s16, v87, v98
	v_lshrrev_b32_e32 v87, v86, v31
	v_add_nc_u32_e32 v31, 0xffffff89, v83
	v_lshrrev_b32_e32 v83, 23, v87
	v_cndmask_b32_e64 v31, v31, 0xffffff8a, vcc_lo
	v_xor_b32_e32 v83, 1, v83
	v_add_nc_u32_e32 v31, v86, v31
	v_bfe_u32 v86, v87, 20, 1
	v_add_nc_u32_e32 v86, -1, v86
	v_cndmask_b32_e64 v86, 0, v86, s16
	s_mov_b32 s16, exec_lo
	v_add_nc_u32_e32 v86, v86, v87
	v_and_b32_e32 v86, 0xfffff, v86
	v_add_nc_u32_e32 v98, v86, v87
	v_cmpx_ne_u32_e64 v31, v83
	s_xor_b32 s16, exec_lo, s16
; %bb.6911:                             ;   in Loop: Header=BB6_5548 Depth=3
	v_cmp_lt_u32_e32 vcc_lo, 0xffffff, v98
	v_sub_nc_u32_e32 v31, v31, v83
	v_cndmask_b32_e64 v83, 0, 1, vcc_lo
	v_add_co_ci_u32_e64 v99, null, 0, v31, vcc_lo
	v_lshrrev_b32_e32 v98, v83, v98
; %bb.6912:                             ;   in Loop: Header=BB6_5548 Depth=3
	s_andn2_saveexec_b32 s16, s16
; %bb.6913:                             ;   in Loop: Header=BB6_5548 Depth=3
	v_bfe_u32 v99, v98, 23, 1
; %bb.6914:                             ;   in Loop: Header=BB6_5548 Depth=3
	s_or_b32 exec_lo, exec_lo, s16
	v_lshrrev_b32_e32 v31, 20, v98
	v_min_i32_e32 v83, 15, v99
	v_cmp_gt_i32_e32 vcc_lo, 16, v99
	v_and_b32_sdwa v1, v1, v62 dst_sel:DWORD dst_unused:UNUSED_PAD src0_sel:BYTE_3 src1_sel:DWORD
	v_lshlrev_b32_e32 v83, 3, v83
	v_cndmask_b32_e32 v31, 7, v31, vcc_lo
	v_and_b32_e32 v83, 0xf8, v83
	v_or_b32_e32 v86, v99, v31
	v_and_b32_e32 v31, 7, v31
	v_cmp_ne_u32_e32 vcc_lo, 0, v86
	v_or3_b32 v1, v1, v83, v31
	v_lshlrev_b32_e32 v1, 8, v1
	v_cndmask_b32_e32 v83, 0, v1, vcc_lo
.LBB6_6915:                             ;   in Loop: Header=BB6_5548 Depth=3
	s_or_b32 exec_lo, exec_lo, s23
.LBB6_6916:                             ;   in Loop: Header=BB6_5548 Depth=3
	s_or_b32 exec_lo, exec_lo, s22
	v_and_b32_sdwa v1, v21, v72 dst_sel:DWORD dst_unused:UNUSED_PAD src0_sel:WORD_1 src1_sel:DWORD
	s_andn2_b32 vcc_lo, exec_lo, s19
	s_mov_b32 s22, -1
                                        ; implicit-def: $vgpr31
	v_cmp_lt_i16_e64 s16, 0x7f, v1
	s_cbranch_vccnz .LBB6_6930
; %bb.6917:                             ;   in Loop: Header=BB6_5548 Depth=3
	s_mov_b32 s22, 0
	s_and_saveexec_b32 s23, s16
	s_xor_b32 s16, exec_lo, s23
	s_cbranch_execz .LBB6_8154
; %bb.6918:                             ;   in Loop: Header=BB6_5548 Depth=3
	s_mov_b32 s22, -1
	s_mov_b32 s23, exec_lo
	v_cmpx_eq_u16_e32 0x80, v1
; %bb.6919:                             ;   in Loop: Header=BB6_5548 Depth=3
	s_xor_b32 s22, exec_lo, -1
; %bb.6920:                             ;   in Loop: Header=BB6_5548 Depth=3
	s_or_b32 exec_lo, exec_lo, s23
	s_and_b32 s22, s22, exec_lo
	s_or_saveexec_b32 s16, s16
	v_mov_b32_e32 v31, 0x7f800001
	s_xor_b32 exec_lo, exec_lo, s16
	s_cbranch_execnz .LBB6_8155
.LBB6_6921:                             ;   in Loop: Header=BB6_5548 Depth=3
	s_or_b32 exec_lo, exec_lo, s16
	s_and_saveexec_b32 s16, s22
	s_cbranch_execz .LBB6_6923
.LBB6_6922:                             ;   in Loop: Header=BB6_5548 Depth=3
	v_bfe_u32 v31, v21, 16, 3
	v_bfe_u32 v86, v21, 19, 4
	v_ffbh_u32_e32 v87, v31
	v_cmp_eq_u32_e32 vcc_lo, 0, v86
	v_min_u32_e32 v87, 32, v87
	v_subrev_nc_u32_e32 v98, 28, v87
	v_sub_nc_u32_e32 v87, 29, v87
	v_lshlrev_b32_sdwa v98, v98, v21 dst_sel:DWORD dst_unused:UNUSED_PAD src0_sel:DWORD src1_sel:WORD_1
	v_cndmask_b32_e32 v86, v86, v87, vcc_lo
	v_lshlrev_b32_sdwa v87, v73, v21 dst_sel:DWORD dst_unused:UNUSED_PAD src0_sel:DWORD src1_sel:WORD_1
	v_and_b32_e32 v98, 7, v98
	v_lshl_add_u32 v86, v86, 23, 0x3b800000
	v_and_b32_e32 v87, 0x80000000, v87
	v_cndmask_b32_e32 v31, v31, v98, vcc_lo
	v_lshlrev_b32_e32 v31, 20, v31
	v_or3_b32 v31, v87, v86, v31
.LBB6_6923:                             ;   in Loop: Header=BB6_5548 Depth=3
	s_or_b32 exec_lo, exec_lo, s16
	v_and_b32_sdwa v87, v17, v72 dst_sel:DWORD dst_unused:UNUSED_PAD src0_sel:WORD_1 src1_sel:DWORD
	s_mov_b32 s22, 0
	s_mov_b32 s16, exec_lo
	v_cmpx_lt_i16_e32 0x7f, v87
	s_xor_b32 s16, exec_lo, s16
	s_cbranch_execz .LBB6_8156
; %bb.6924:                             ;   in Loop: Header=BB6_5548 Depth=3
	s_mov_b32 s22, -1
	s_mov_b32 s23, exec_lo
	v_cmpx_eq_u16_e32 0x80, v87
; %bb.6925:                             ;   in Loop: Header=BB6_5548 Depth=3
	s_xor_b32 s22, exec_lo, -1
; %bb.6926:                             ;   in Loop: Header=BB6_5548 Depth=3
	s_or_b32 exec_lo, exec_lo, s23
	s_and_b32 s22, s22, exec_lo
                                        ; implicit-def: $vgpr87
	s_or_saveexec_b32 s16, s16
	v_mov_b32_e32 v86, 0x7f800001
	s_xor_b32 exec_lo, exec_lo, s16
	s_cbranch_execnz .LBB6_8157
.LBB6_6927:                             ;   in Loop: Header=BB6_5548 Depth=3
	s_or_b32 exec_lo, exec_lo, s16
	s_and_saveexec_b32 s16, s22
	s_cbranch_execz .LBB6_6929
.LBB6_6928:                             ;   in Loop: Header=BB6_5548 Depth=3
	v_bfe_u32 v86, v17, 16, 3
	v_bfe_u32 v87, v17, 19, 4
	v_ffbh_u32_e32 v98, v86
	v_cmp_eq_u32_e32 vcc_lo, 0, v87
	v_min_u32_e32 v98, 32, v98
	v_subrev_nc_u32_e32 v99, 28, v98
	v_sub_nc_u32_e32 v98, 29, v98
	v_lshlrev_b32_sdwa v99, v99, v17 dst_sel:DWORD dst_unused:UNUSED_PAD src0_sel:DWORD src1_sel:WORD_1
	v_cndmask_b32_e32 v87, v87, v98, vcc_lo
	v_lshlrev_b32_sdwa v98, v73, v17 dst_sel:DWORD dst_unused:UNUSED_PAD src0_sel:DWORD src1_sel:WORD_1
	v_and_b32_e32 v99, 7, v99
	v_lshl_add_u32 v87, v87, 23, 0x3b800000
	v_and_b32_e32 v98, 0x80000000, v98
	v_cndmask_b32_e32 v86, v86, v99, vcc_lo
	v_lshlrev_b32_e32 v86, 20, v86
	v_or3_b32 v86, v98, v87, v86
.LBB6_6929:                             ;   in Loop: Header=BB6_5548 Depth=3
	s_or_b32 exec_lo, exec_lo, s16
	v_max_f32_e32 v86, v86, v86
	v_max_f32_e32 v31, v31, v31
	s_mov_b32 s22, 0
	v_max_f32_e32 v31, v31, v86
.LBB6_6930:                             ;   in Loop: Header=BB6_5548 Depth=3
	s_and_b32 vcc_lo, exec_lo, s22
	s_cbranch_vccz .LBB6_6944
; %bb.6931:                             ;   in Loop: Header=BB6_5548 Depth=3
	s_mov_b32 s22, 0
	s_mov_b32 s16, exec_lo
	v_cmpx_lt_i16_e32 0x7f, v1
	s_xor_b32 s16, exec_lo, s16
	s_cbranch_execz .LBB6_8158
; %bb.6932:                             ;   in Loop: Header=BB6_5548 Depth=3
	s_mov_b32 s22, -1
	s_mov_b32 s23, exec_lo
	v_cmpx_eq_u16_e32 0x80, v1
; %bb.6933:                             ;   in Loop: Header=BB6_5548 Depth=3
	s_xor_b32 s22, exec_lo, -1
; %bb.6934:                             ;   in Loop: Header=BB6_5548 Depth=3
	s_or_b32 exec_lo, exec_lo, s23
	s_and_b32 s22, s22, exec_lo
                                        ; implicit-def: $vgpr1
	s_or_saveexec_b32 s16, s16
	v_mov_b32_e32 v31, 0x7f800001
	s_xor_b32 exec_lo, exec_lo, s16
	s_cbranch_execnz .LBB6_8159
.LBB6_6935:                             ;   in Loop: Header=BB6_5548 Depth=3
	s_or_b32 exec_lo, exec_lo, s16
	s_and_saveexec_b32 s16, s22
	s_cbranch_execz .LBB6_6937
.LBB6_6936:                             ;   in Loop: Header=BB6_5548 Depth=3
	v_bfe_u32 v1, v21, 16, 3
	v_bfe_u32 v31, v21, 19, 4
	v_ffbh_u32_e32 v86, v1
	v_cmp_eq_u32_e32 vcc_lo, 0, v31
	v_min_u32_e32 v86, 32, v86
	v_subrev_nc_u32_e32 v87, 28, v86
	v_sub_nc_u32_e32 v86, 29, v86
	v_lshlrev_b32_sdwa v87, v87, v21 dst_sel:DWORD dst_unused:UNUSED_PAD src0_sel:DWORD src1_sel:WORD_1
	v_cndmask_b32_e32 v31, v31, v86, vcc_lo
	v_lshlrev_b32_sdwa v86, v73, v21 dst_sel:DWORD dst_unused:UNUSED_PAD src0_sel:DWORD src1_sel:WORD_1
	v_and_b32_e32 v87, 7, v87
	v_lshl_add_u32 v31, v31, 23, 0x3b800000
	v_and_b32_e32 v86, 0x80000000, v86
	v_cndmask_b32_e32 v1, v1, v87, vcc_lo
	v_lshlrev_b32_e32 v1, 20, v1
	v_or3_b32 v31, v86, v31, v1
.LBB6_6937:                             ;   in Loop: Header=BB6_5548 Depth=3
	s_or_b32 exec_lo, exec_lo, s16
	v_and_b32_sdwa v86, v17, v72 dst_sel:DWORD dst_unused:UNUSED_PAD src0_sel:WORD_1 src1_sel:DWORD
	s_mov_b32 s22, 0
	s_mov_b32 s16, exec_lo
	v_cmpx_lt_i16_e32 0x7f, v86
	s_xor_b32 s16, exec_lo, s16
	s_cbranch_execz .LBB6_8160
; %bb.6938:                             ;   in Loop: Header=BB6_5548 Depth=3
	s_mov_b32 s22, -1
	s_mov_b32 s23, exec_lo
	v_cmpx_eq_u16_e32 0x80, v86
; %bb.6939:                             ;   in Loop: Header=BB6_5548 Depth=3
	s_xor_b32 s22, exec_lo, -1
; %bb.6940:                             ;   in Loop: Header=BB6_5548 Depth=3
	s_or_b32 exec_lo, exec_lo, s23
	s_and_b32 s22, s22, exec_lo
                                        ; implicit-def: $vgpr86
	s_or_saveexec_b32 s16, s16
	v_mov_b32_e32 v1, 0x7f800001
	s_xor_b32 exec_lo, exec_lo, s16
	s_cbranch_execnz .LBB6_8161
.LBB6_6941:                             ;   in Loop: Header=BB6_5548 Depth=3
	s_or_b32 exec_lo, exec_lo, s16
	s_and_saveexec_b32 s16, s22
	s_cbranch_execz .LBB6_6943
.LBB6_6942:                             ;   in Loop: Header=BB6_5548 Depth=3
	v_bfe_u32 v1, v17, 16, 3
	v_bfe_u32 v86, v17, 19, 4
	v_ffbh_u32_e32 v87, v1
	v_cmp_eq_u32_e32 vcc_lo, 0, v86
	v_min_u32_e32 v87, 32, v87
	v_subrev_nc_u32_e32 v98, 28, v87
	v_sub_nc_u32_e32 v87, 29, v87
	v_lshlrev_b32_sdwa v98, v98, v17 dst_sel:DWORD dst_unused:UNUSED_PAD src0_sel:DWORD src1_sel:WORD_1
	v_cndmask_b32_e32 v86, v86, v87, vcc_lo
	v_lshlrev_b32_sdwa v87, v73, v17 dst_sel:DWORD dst_unused:UNUSED_PAD src0_sel:DWORD src1_sel:WORD_1
	v_and_b32_e32 v98, 7, v98
	v_lshl_add_u32 v86, v86, 23, 0x3b800000
	v_and_b32_e32 v87, 0x80000000, v87
	v_cndmask_b32_e32 v1, v1, v98, vcc_lo
	v_lshlrev_b32_e32 v1, 20, v1
	v_or3_b32 v1, v87, v86, v1
.LBB6_6943:                             ;   in Loop: Header=BB6_5548 Depth=3
	s_or_b32 exec_lo, exec_lo, s16
	v_max_f32_e32 v1, v1, v1
	v_max_f32_e32 v31, v31, v31
	v_min_f32_e32 v31, v31, v1
.LBB6_6944:                             ;   in Loop: Header=BB6_5548 Depth=3
	v_and_b32_e32 v1, 0x7f800000, v31
	v_mov_b32_e32 v56, 0x80
	s_mov_b32 s22, exec_lo
	v_cmpx_ne_u32_e32 0x7f800000, v1
	s_cbranch_execz .LBB6_6952
; %bb.6945:                             ;   in Loop: Header=BB6_5548 Depth=3
	v_mov_b32_e32 v56, 0
	s_mov_b32 s23, exec_lo
	v_cmpx_ne_u32_e32 0, v31
	s_cbranch_execz .LBB6_6951
; %bb.6946:                             ;   in Loop: Header=BB6_5548 Depth=3
	v_bfe_u32 v86, v31, 23, 8
	v_and_b32_e32 v1, 0x7fffff, v31
                                        ; implicit-def: $vgpr112
	v_cmp_gt_u32_e64 s16, 0x79, v86
	v_sub_nc_u32_e32 v87, 0x78, v86
	v_cmp_eq_u32_e32 vcc_lo, 0, v86
	v_or_b32_e32 v98, 0x800000, v1
	v_cndmask_b32_e64 v87, 0, v87, s16
	v_cndmask_b32_e32 v1, v98, v1, vcc_lo
	v_cndmask_b32_e64 v87, v87, 0x77, vcc_lo
	v_lshl_add_u32 v98, 0x100000, v87, -1
	v_lshlrev_b32_e64 v99, v87, 0x80000
	v_and_b32_e32 v98, v98, v1
	v_cmp_eq_u32_e64 s16, v98, v99
	v_lshrrev_b32_e32 v99, v87, v1
	v_add_nc_u32_e32 v1, 0xffffff89, v86
	v_lshrrev_b32_e32 v86, 23, v99
	v_cndmask_b32_e64 v1, v1, 0xffffff8a, vcc_lo
	v_xor_b32_e32 v98, 1, v86
	v_bfe_u32 v86, v99, 20, 1
	v_add_nc_u32_e32 v1, v87, v1
	v_add_nc_u32_e32 v86, -1, v86
	v_cndmask_b32_e64 v86, 0, v86, s16
	s_mov_b32 s16, exec_lo
	v_add_nc_u32_e32 v86, v86, v99
	v_and_b32_e32 v86, 0xfffff, v86
	v_add_nc_u32_e32 v99, v86, v99
	v_cmpx_ne_u32_e64 v1, v98
	s_xor_b32 s16, exec_lo, s16
; %bb.6947:                             ;   in Loop: Header=BB6_5548 Depth=3
	v_cmp_lt_u32_e32 vcc_lo, 0xffffff, v99
	v_sub_nc_u32_e32 v1, v1, v98
	v_cndmask_b32_e64 v86, 0, 1, vcc_lo
	v_add_co_ci_u32_e64 v112, null, 0, v1, vcc_lo
	v_lshrrev_b32_e32 v99, v86, v99
; %bb.6948:                             ;   in Loop: Header=BB6_5548 Depth=3
	s_andn2_saveexec_b32 s16, s16
; %bb.6949:                             ;   in Loop: Header=BB6_5548 Depth=3
	v_bfe_u32 v112, v99, 23, 1
; %bb.6950:                             ;   in Loop: Header=BB6_5548 Depth=3
	s_or_b32 exec_lo, exec_lo, s16
	v_and_b32_sdwa v1, v31, v62 dst_sel:DWORD dst_unused:UNUSED_PAD src0_sel:BYTE_3 src1_sel:DWORD
	v_lshrrev_b32_e32 v31, 20, v99
	v_min_i32_e32 v86, 15, v112
	v_cmp_gt_i32_e32 vcc_lo, 16, v112
	v_lshlrev_b32_e32 v86, 3, v86
	v_cndmask_b32_e32 v31, 7, v31, vcc_lo
	v_and_b32_e32 v86, 0xf8, v86
	v_or_b32_e32 v87, v112, v31
	v_and_b32_e32 v31, 7, v31
	v_cmp_ne_u32_e32 vcc_lo, 0, v87
	v_or3_b32 v1, v86, v1, v31
	v_cndmask_b32_e32 v56, 0, v1, vcc_lo
.LBB6_6951:                             ;   in Loop: Header=BB6_5548 Depth=3
	s_or_b32 exec_lo, exec_lo, s23
.LBB6_6952:                             ;   in Loop: Header=BB6_5548 Depth=3
	s_or_b32 exec_lo, exec_lo, s22
	v_cmp_gt_i16_sdwa s22, v21, v61 src0_sel:BYTE_3 src1_sel:DWORD
	s_andn2_b32 vcc_lo, exec_lo, s19
	s_mov_b32 s16, -1
                                        ; implicit-def: $vgpr1
	s_cbranch_vccnz .LBB6_6966
; %bb.6953:                             ;   in Loop: Header=BB6_5548 Depth=3
	s_mov_b32 s16, 0
	s_and_saveexec_b32 s23, s22
	s_xor_b32 s22, exec_lo, s23
	s_cbranch_execz .LBB6_8162
; %bb.6954:                             ;   in Loop: Header=BB6_5548 Depth=3
	v_cmp_eq_u16_sdwa s73, v21, v62 src0_sel:BYTE_3 src1_sel:DWORD
	s_mov_b32 s16, -1
	s_and_saveexec_b32 s23, s73
; %bb.6955:                             ;   in Loop: Header=BB6_5548 Depth=3
	s_xor_b32 s16, exec_lo, -1
; %bb.6956:                             ;   in Loop: Header=BB6_5548 Depth=3
	s_or_b32 exec_lo, exec_lo, s23
	s_and_b32 s16, s16, exec_lo
	s_or_saveexec_b32 s22, s22
	v_mov_b32_e32 v1, 0x7f800001
	s_xor_b32 exec_lo, exec_lo, s22
	s_cbranch_execnz .LBB6_8163
.LBB6_6957:                             ;   in Loop: Header=BB6_5548 Depth=3
	s_or_b32 exec_lo, exec_lo, s22
	s_and_saveexec_b32 s22, s16
	s_cbranch_execz .LBB6_6959
.LBB6_6958:                             ;   in Loop: Header=BB6_5548 Depth=3
	v_bfe_u32 v1, v21, 24, 3
	v_bfe_u32 v87, v21, 27, 4
	v_ffbh_u32_e32 v31, v1
	v_cmp_eq_u32_e32 vcc_lo, 0, v87
	v_min_u32_e32 v31, 32, v31
	v_subrev_nc_u32_e32 v86, 28, v31
	v_sub_nc_u32_e32 v31, 29, v31
	v_lshlrev_b32_sdwa v86, v86, v21 dst_sel:DWORD dst_unused:UNUSED_PAD src0_sel:DWORD src1_sel:BYTE_3
	v_cndmask_b32_e32 v31, v87, v31, vcc_lo
	v_and_b32_e32 v86, 7, v86
	v_lshl_add_u32 v31, v31, 23, 0x3b800000
	v_cndmask_b32_e32 v1, v1, v86, vcc_lo
	v_and_b32_e32 v86, 0x80000000, v21
	v_lshlrev_b32_e32 v1, 20, v1
	v_or3_b32 v1, v86, v31, v1
.LBB6_6959:                             ;   in Loop: Header=BB6_5548 Depth=3
	s_or_b32 exec_lo, exec_lo, s22
	v_cmp_gt_i16_sdwa s22, v17, v61 src0_sel:BYTE_3 src1_sel:DWORD
	s_mov_b32 s16, 0
	s_and_saveexec_b32 s23, s22
	s_xor_b32 s22, exec_lo, s23
	s_cbranch_execz .LBB6_8164
; %bb.6960:                             ;   in Loop: Header=BB6_5548 Depth=3
	v_cmp_eq_u16_sdwa s73, v17, v62 src0_sel:BYTE_3 src1_sel:DWORD
	s_mov_b32 s16, -1
	s_and_saveexec_b32 s23, s73
; %bb.6961:                             ;   in Loop: Header=BB6_5548 Depth=3
	s_xor_b32 s16, exec_lo, -1
; %bb.6962:                             ;   in Loop: Header=BB6_5548 Depth=3
	s_or_b32 exec_lo, exec_lo, s23
	s_and_b32 s16, s16, exec_lo
	s_or_saveexec_b32 s22, s22
	v_mov_b32_e32 v31, 0x7f800001
	s_xor_b32 exec_lo, exec_lo, s22
	s_cbranch_execnz .LBB6_8165
.LBB6_6963:                             ;   in Loop: Header=BB6_5548 Depth=3
	s_or_b32 exec_lo, exec_lo, s22
	s_and_saveexec_b32 s22, s16
	s_cbranch_execz .LBB6_6965
.LBB6_6964:                             ;   in Loop: Header=BB6_5548 Depth=3
	v_bfe_u32 v31, v17, 24, 3
	v_bfe_u32 v98, v17, 27, 4
	v_ffbh_u32_e32 v86, v31
	v_cmp_eq_u32_e32 vcc_lo, 0, v98
	v_min_u32_e32 v86, 32, v86
	v_subrev_nc_u32_e32 v87, 28, v86
	v_sub_nc_u32_e32 v86, 29, v86
	v_lshlrev_b32_sdwa v87, v87, v17 dst_sel:DWORD dst_unused:UNUSED_PAD src0_sel:DWORD src1_sel:BYTE_3
	v_cndmask_b32_e32 v86, v98, v86, vcc_lo
	v_and_b32_e32 v87, 7, v87
	v_lshl_add_u32 v86, v86, 23, 0x3b800000
	v_cndmask_b32_e32 v31, v31, v87, vcc_lo
	v_and_b32_e32 v87, 0x80000000, v17
	v_lshlrev_b32_e32 v31, 20, v31
	v_or3_b32 v31, v87, v86, v31
.LBB6_6965:                             ;   in Loop: Header=BB6_5548 Depth=3
	s_or_b32 exec_lo, exec_lo, s22
	v_max_f32_e32 v31, v31, v31
	v_max_f32_e32 v1, v1, v1
	s_mov_b32 s16, 0
	v_max_f32_e32 v1, v1, v31
.LBB6_6966:                             ;   in Loop: Header=BB6_5548 Depth=3
	s_and_b32 vcc_lo, exec_lo, s16
	s_cbranch_vccz .LBB6_6980
; %bb.6967:                             ;   in Loop: Header=BB6_5548 Depth=3
	v_cmp_gt_i16_sdwa s22, v21, v61 src0_sel:BYTE_3 src1_sel:DWORD
	s_mov_b32 s16, 0
	s_and_saveexec_b32 s23, s22
	s_xor_b32 s22, exec_lo, s23
	s_cbranch_execz .LBB6_8166
; %bb.6968:                             ;   in Loop: Header=BB6_5548 Depth=3
	v_cmp_eq_u16_sdwa s73, v21, v62 src0_sel:BYTE_3 src1_sel:DWORD
	s_mov_b32 s16, -1
	s_and_saveexec_b32 s23, s73
; %bb.6969:                             ;   in Loop: Header=BB6_5548 Depth=3
	s_xor_b32 s16, exec_lo, -1
; %bb.6970:                             ;   in Loop: Header=BB6_5548 Depth=3
	s_or_b32 exec_lo, exec_lo, s23
	s_and_b32 s16, s16, exec_lo
	s_or_saveexec_b32 s22, s22
	v_mov_b32_e32 v1, 0x7f800001
	s_xor_b32 exec_lo, exec_lo, s22
	s_cbranch_execnz .LBB6_8167
.LBB6_6971:                             ;   in Loop: Header=BB6_5548 Depth=3
	s_or_b32 exec_lo, exec_lo, s22
	s_and_saveexec_b32 s22, s16
	s_cbranch_execz .LBB6_6973
.LBB6_6972:                             ;   in Loop: Header=BB6_5548 Depth=3
	v_bfe_u32 v1, v21, 24, 3
	v_bfe_u32 v87, v21, 27, 4
	v_ffbh_u32_e32 v31, v1
	v_cmp_eq_u32_e32 vcc_lo, 0, v87
	v_min_u32_e32 v31, 32, v31
	v_subrev_nc_u32_e32 v86, 28, v31
	v_sub_nc_u32_e32 v31, 29, v31
	v_lshlrev_b32_sdwa v86, v86, v21 dst_sel:DWORD dst_unused:UNUSED_PAD src0_sel:DWORD src1_sel:BYTE_3
	v_cndmask_b32_e32 v31, v87, v31, vcc_lo
	v_and_b32_e32 v21, 0x80000000, v21
	v_and_b32_e32 v86, 7, v86
	v_lshl_add_u32 v31, v31, 23, 0x3b800000
	v_cndmask_b32_e32 v1, v1, v86, vcc_lo
	v_lshlrev_b32_e32 v1, 20, v1
	v_or3_b32 v1, v21, v31, v1
.LBB6_6973:                             ;   in Loop: Header=BB6_5548 Depth=3
	s_or_b32 exec_lo, exec_lo, s22
	v_cmp_gt_i16_sdwa s22, v17, v61 src0_sel:BYTE_3 src1_sel:DWORD
	s_mov_b32 s16, 0
	s_and_saveexec_b32 s23, s22
	s_xor_b32 s22, exec_lo, s23
	s_cbranch_execz .LBB6_8168
; %bb.6974:                             ;   in Loop: Header=BB6_5548 Depth=3
	v_cmp_eq_u16_sdwa s73, v17, v62 src0_sel:BYTE_3 src1_sel:DWORD
	s_mov_b32 s16, -1
	s_and_saveexec_b32 s23, s73
; %bb.6975:                             ;   in Loop: Header=BB6_5548 Depth=3
	s_xor_b32 s16, exec_lo, -1
; %bb.6976:                             ;   in Loop: Header=BB6_5548 Depth=3
	s_or_b32 exec_lo, exec_lo, s23
	s_and_b32 s16, s16, exec_lo
	s_or_saveexec_b32 s22, s22
	v_mov_b32_e32 v21, 0x7f800001
	s_xor_b32 exec_lo, exec_lo, s22
	s_cbranch_execnz .LBB6_8169
.LBB6_6977:                             ;   in Loop: Header=BB6_5548 Depth=3
	s_or_b32 exec_lo, exec_lo, s22
	s_and_saveexec_b32 s22, s16
	s_cbranch_execz .LBB6_6979
.LBB6_6978:                             ;   in Loop: Header=BB6_5548 Depth=3
	v_bfe_u32 v21, v17, 24, 3
	v_bfe_u32 v87, v17, 27, 4
	v_ffbh_u32_e32 v31, v21
	v_cmp_eq_u32_e32 vcc_lo, 0, v87
	v_min_u32_e32 v31, 32, v31
	v_subrev_nc_u32_e32 v86, 28, v31
	v_sub_nc_u32_e32 v31, 29, v31
	v_lshlrev_b32_sdwa v86, v86, v17 dst_sel:DWORD dst_unused:UNUSED_PAD src0_sel:DWORD src1_sel:BYTE_3
	v_cndmask_b32_e32 v31, v87, v31, vcc_lo
	v_and_b32_e32 v17, 0x80000000, v17
	v_and_b32_e32 v86, 7, v86
	v_lshl_add_u32 v31, v31, 23, 0x3b800000
	v_cndmask_b32_e32 v21, v21, v86, vcc_lo
	v_lshlrev_b32_e32 v21, 20, v21
	v_or3_b32 v21, v17, v31, v21
.LBB6_6979:                             ;   in Loop: Header=BB6_5548 Depth=3
	s_or_b32 exec_lo, exec_lo, s22
	v_max_f32_e32 v17, v21, v21
	v_max_f32_e32 v1, v1, v1
	v_min_f32_e32 v1, v1, v17
.LBB6_6980:                             ;   in Loop: Header=BB6_5548 Depth=3
	v_and_b32_e32 v17, 0x7f800000, v1
	v_cmp_ne_u32_e32 vcc_lo, 0x7f800000, v17
	v_mov_b32_e32 v17, 0x8000
	s_and_saveexec_b32 s22, vcc_lo
	s_cbranch_execz .LBB6_6988
; %bb.6981:                             ;   in Loop: Header=BB6_5548 Depth=3
	v_mov_b32_e32 v17, 0
	s_mov_b32 s23, exec_lo
	v_cmpx_ne_u32_e32 0, v1
	s_cbranch_execz .LBB6_6987
; %bb.6982:                             ;   in Loop: Header=BB6_5548 Depth=3
	v_bfe_u32 v21, v1, 23, 8
	v_and_b32_e32 v17, 0x7fffff, v1
                                        ; implicit-def: $vgpr98
	v_cmp_gt_u32_e64 s16, 0x79, v21
	v_sub_nc_u32_e32 v31, 0x78, v21
	v_cmp_eq_u32_e32 vcc_lo, 0, v21
	v_or_b32_e32 v86, 0x800000, v17
	v_cndmask_b32_e64 v31, 0, v31, s16
	v_cndmask_b32_e32 v17, v86, v17, vcc_lo
	v_cndmask_b32_e64 v31, v31, 0x77, vcc_lo
	v_lshl_add_u32 v86, 0x100000, v31, -1
	v_lshlrev_b32_e64 v87, v31, 0x80000
	v_and_b32_e32 v86, v86, v17
	v_cmp_eq_u32_e64 s16, v86, v87
	v_lshrrev_b32_e32 v86, v31, v17
	v_add_nc_u32_e32 v17, 0xffffff89, v21
	v_lshrrev_b32_e32 v21, 23, v86
	v_cndmask_b32_e64 v17, v17, 0xffffff8a, vcc_lo
	v_xor_b32_e32 v21, 1, v21
	v_add_nc_u32_e32 v17, v31, v17
	v_bfe_u32 v31, v86, 20, 1
	v_add_nc_u32_e32 v31, -1, v31
	v_cndmask_b32_e64 v31, 0, v31, s16
	s_mov_b32 s16, exec_lo
	v_add_nc_u32_e32 v31, v31, v86
	v_and_b32_e32 v31, 0xfffff, v31
	v_add_nc_u32_e32 v31, v31, v86
	v_cmpx_ne_u32_e64 v17, v21
	s_xor_b32 s16, exec_lo, s16
; %bb.6983:                             ;   in Loop: Header=BB6_5548 Depth=3
	v_cmp_lt_u32_e32 vcc_lo, 0xffffff, v31
	v_sub_nc_u32_e32 v17, v17, v21
	v_cndmask_b32_e64 v21, 0, 1, vcc_lo
	v_add_co_ci_u32_e64 v98, null, 0, v17, vcc_lo
	v_lshrrev_b32_e32 v31, v21, v31
; %bb.6984:                             ;   in Loop: Header=BB6_5548 Depth=3
	s_andn2_saveexec_b32 s16, s16
; %bb.6985:                             ;   in Loop: Header=BB6_5548 Depth=3
	v_bfe_u32 v98, v31, 23, 1
; %bb.6986:                             ;   in Loop: Header=BB6_5548 Depth=3
	s_or_b32 exec_lo, exec_lo, s16
	v_lshrrev_b32_e32 v17, 20, v31
	v_min_i32_e32 v21, 15, v98
	v_cmp_gt_i32_e32 vcc_lo, 16, v98
	v_and_b32_sdwa v1, v1, v62 dst_sel:DWORD dst_unused:UNUSED_PAD src0_sel:BYTE_3 src1_sel:DWORD
	v_lshlrev_b32_e32 v21, 3, v21
	v_cndmask_b32_e32 v17, 7, v17, vcc_lo
	v_and_b32_e32 v21, 0xf8, v21
	v_or_b32_e32 v31, v98, v17
	v_and_b32_e32 v17, 7, v17
	v_cmp_ne_u32_e32 vcc_lo, 0, v31
	v_or3_b32 v1, v1, v21, v17
	v_lshlrev_b32_e32 v1, 8, v1
	v_cndmask_b32_e32 v17, 0, v1, vcc_lo
.LBB6_6987:                             ;   in Loop: Header=BB6_5548 Depth=3
	s_or_b32 exec_lo, exec_lo, s23
.LBB6_6988:                             ;   in Loop: Header=BB6_5548 Depth=3
	s_or_b32 exec_lo, exec_lo, s22
	v_cmp_gt_i16_sdwa s23, v22, v61 src0_sel:BYTE_0 src1_sel:DWORD
	s_andn2_b32 vcc_lo, exec_lo, s19
	s_mov_b32 s16, -1
                                        ; implicit-def: $vgpr1
	s_cbranch_vccnz .LBB6_7002
; %bb.6989:                             ;   in Loop: Header=BB6_5548 Depth=3
	s_mov_b32 s22, 0
	s_and_saveexec_b32 s16, s23
	s_xor_b32 s16, exec_lo, s16
	s_cbranch_execz .LBB6_8170
; %bb.6990:                             ;   in Loop: Header=BB6_5548 Depth=3
	v_cmp_eq_u16_sdwa s73, v22, v62 src0_sel:BYTE_0 src1_sel:DWORD
	s_mov_b32 s22, -1
	s_and_saveexec_b32 s23, s73
; %bb.6991:                             ;   in Loop: Header=BB6_5548 Depth=3
	s_xor_b32 s22, exec_lo, -1
; %bb.6992:                             ;   in Loop: Header=BB6_5548 Depth=3
	s_or_b32 exec_lo, exec_lo, s23
	s_and_b32 s22, s22, exec_lo
	s_or_saveexec_b32 s16, s16
	v_mov_b32_e32 v1, 0x7f800001
	s_xor_b32 exec_lo, exec_lo, s16
	s_cbranch_execnz .LBB6_8171
.LBB6_6993:                             ;   in Loop: Header=BB6_5548 Depth=3
	s_or_b32 exec_lo, exec_lo, s16
	s_and_saveexec_b32 s16, s22
	s_cbranch_execz .LBB6_6995
.LBB6_6994:                             ;   in Loop: Header=BB6_5548 Depth=3
	v_and_b32_e32 v1, 7, v22
	v_bfe_u32 v21, v22, 3, 4
	v_ffbh_u32_e32 v31, v1
	v_cmp_eq_u32_e32 vcc_lo, 0, v21
	v_min_u32_e32 v31, 32, v31
	v_subrev_nc_u32_e32 v86, 28, v31
	v_sub_nc_u32_e32 v31, 29, v31
	v_lshlrev_b32_e32 v86, v86, v22
	v_cndmask_b32_e32 v21, v21, v31, vcc_lo
	v_lshlrev_b32_e32 v31, 24, v22
	v_and_b32_e32 v86, 7, v86
	v_lshl_add_u32 v21, v21, 23, 0x3b800000
	v_and_b32_e32 v31, 0x80000000, v31
	v_cndmask_b32_e32 v1, v1, v86, vcc_lo
	v_lshlrev_b32_e32 v1, 20, v1
	v_or3_b32 v1, v31, v21, v1
.LBB6_6995:                             ;   in Loop: Header=BB6_5548 Depth=3
	s_or_b32 exec_lo, exec_lo, s16
	v_cmp_gt_i16_sdwa s16, v18, v61 src0_sel:BYTE_0 src1_sel:DWORD
	s_mov_b32 s22, 0
	s_and_saveexec_b32 s23, s16
	s_xor_b32 s16, exec_lo, s23
	s_cbranch_execz .LBB6_8172
; %bb.6996:                             ;   in Loop: Header=BB6_5548 Depth=3
	v_cmp_eq_u16_sdwa s73, v18, v62 src0_sel:BYTE_0 src1_sel:DWORD
	s_mov_b32 s22, -1
	s_and_saveexec_b32 s23, s73
; %bb.6997:                             ;   in Loop: Header=BB6_5548 Depth=3
	s_xor_b32 s22, exec_lo, -1
; %bb.6998:                             ;   in Loop: Header=BB6_5548 Depth=3
	s_or_b32 exec_lo, exec_lo, s23
	s_and_b32 s22, s22, exec_lo
	s_or_saveexec_b32 s16, s16
	v_mov_b32_e32 v21, 0x7f800001
	s_xor_b32 exec_lo, exec_lo, s16
	s_cbranch_execnz .LBB6_8173
.LBB6_6999:                             ;   in Loop: Header=BB6_5548 Depth=3
	s_or_b32 exec_lo, exec_lo, s16
	s_and_saveexec_b32 s16, s22
	s_cbranch_execz .LBB6_7001
.LBB6_7000:                             ;   in Loop: Header=BB6_5548 Depth=3
	v_and_b32_e32 v21, 7, v18
	v_bfe_u32 v31, v18, 3, 4
	v_ffbh_u32_e32 v86, v21
	v_cmp_eq_u32_e32 vcc_lo, 0, v31
	v_min_u32_e32 v86, 32, v86
	v_subrev_nc_u32_e32 v87, 28, v86
	v_sub_nc_u32_e32 v86, 29, v86
	v_lshlrev_b32_e32 v87, v87, v18
	v_cndmask_b32_e32 v31, v31, v86, vcc_lo
	v_lshlrev_b32_e32 v86, 24, v18
	v_and_b32_e32 v87, 7, v87
	v_lshl_add_u32 v31, v31, 23, 0x3b800000
	v_and_b32_e32 v86, 0x80000000, v86
	v_cndmask_b32_e32 v21, v21, v87, vcc_lo
	v_lshlrev_b32_e32 v21, 20, v21
	v_or3_b32 v21, v86, v31, v21
.LBB6_7001:                             ;   in Loop: Header=BB6_5548 Depth=3
	s_or_b32 exec_lo, exec_lo, s16
	v_max_f32_e32 v21, v21, v21
	v_max_f32_e32 v1, v1, v1
	s_mov_b32 s16, 0
	v_max_f32_e32 v1, v1, v21
.LBB6_7002:                             ;   in Loop: Header=BB6_5548 Depth=3
	s_and_b32 vcc_lo, exec_lo, s16
	s_cbranch_vccz .LBB6_7016
; %bb.7003:                             ;   in Loop: Header=BB6_5548 Depth=3
	v_cmp_gt_i16_sdwa s16, v22, v61 src0_sel:BYTE_0 src1_sel:DWORD
	s_mov_b32 s22, 0
	s_and_saveexec_b32 s23, s16
	s_xor_b32 s16, exec_lo, s23
	s_cbranch_execz .LBB6_8174
; %bb.7004:                             ;   in Loop: Header=BB6_5548 Depth=3
	v_cmp_eq_u16_sdwa s73, v22, v62 src0_sel:BYTE_0 src1_sel:DWORD
	s_mov_b32 s22, -1
	s_and_saveexec_b32 s23, s73
; %bb.7005:                             ;   in Loop: Header=BB6_5548 Depth=3
	s_xor_b32 s22, exec_lo, -1
; %bb.7006:                             ;   in Loop: Header=BB6_5548 Depth=3
	s_or_b32 exec_lo, exec_lo, s23
	s_and_b32 s22, s22, exec_lo
	s_or_saveexec_b32 s16, s16
	v_mov_b32_e32 v1, 0x7f800001
	s_xor_b32 exec_lo, exec_lo, s16
	s_cbranch_execnz .LBB6_8175
.LBB6_7007:                             ;   in Loop: Header=BB6_5548 Depth=3
	s_or_b32 exec_lo, exec_lo, s16
	s_and_saveexec_b32 s16, s22
	s_cbranch_execz .LBB6_7009
.LBB6_7008:                             ;   in Loop: Header=BB6_5548 Depth=3
	v_and_b32_e32 v1, 7, v22
	v_bfe_u32 v21, v22, 3, 4
	v_ffbh_u32_e32 v31, v1
	v_cmp_eq_u32_e32 vcc_lo, 0, v21
	v_min_u32_e32 v31, 32, v31
	v_subrev_nc_u32_e32 v86, 28, v31
	v_sub_nc_u32_e32 v31, 29, v31
	v_lshlrev_b32_e32 v86, v86, v22
	v_cndmask_b32_e32 v21, v21, v31, vcc_lo
	v_lshlrev_b32_e32 v31, 24, v22
	v_and_b32_e32 v86, 7, v86
	v_lshl_add_u32 v21, v21, 23, 0x3b800000
	v_and_b32_e32 v31, 0x80000000, v31
	v_cndmask_b32_e32 v1, v1, v86, vcc_lo
	v_lshlrev_b32_e32 v1, 20, v1
	v_or3_b32 v1, v31, v21, v1
.LBB6_7009:                             ;   in Loop: Header=BB6_5548 Depth=3
	s_or_b32 exec_lo, exec_lo, s16
	v_cmp_gt_i16_sdwa s16, v18, v61 src0_sel:BYTE_0 src1_sel:DWORD
	s_mov_b32 s22, 0
	s_and_saveexec_b32 s23, s16
	s_xor_b32 s16, exec_lo, s23
	s_cbranch_execz .LBB6_8176
; %bb.7010:                             ;   in Loop: Header=BB6_5548 Depth=3
	v_cmp_eq_u16_sdwa s73, v18, v62 src0_sel:BYTE_0 src1_sel:DWORD
	s_mov_b32 s22, -1
	s_and_saveexec_b32 s23, s73
; %bb.7011:                             ;   in Loop: Header=BB6_5548 Depth=3
	s_xor_b32 s22, exec_lo, -1
; %bb.7012:                             ;   in Loop: Header=BB6_5548 Depth=3
	s_or_b32 exec_lo, exec_lo, s23
	s_and_b32 s22, s22, exec_lo
	s_or_saveexec_b32 s16, s16
	v_mov_b32_e32 v21, 0x7f800001
	s_xor_b32 exec_lo, exec_lo, s16
	s_cbranch_execnz .LBB6_8177
.LBB6_7013:                             ;   in Loop: Header=BB6_5548 Depth=3
	s_or_b32 exec_lo, exec_lo, s16
	s_and_saveexec_b32 s16, s22
	s_cbranch_execz .LBB6_7015
.LBB6_7014:                             ;   in Loop: Header=BB6_5548 Depth=3
	v_and_b32_e32 v21, 7, v18
	v_bfe_u32 v31, v18, 3, 4
	v_ffbh_u32_e32 v86, v21
	v_cmp_eq_u32_e32 vcc_lo, 0, v31
	v_min_u32_e32 v86, 32, v86
	v_subrev_nc_u32_e32 v87, 28, v86
	v_sub_nc_u32_e32 v86, 29, v86
	v_lshlrev_b32_e32 v87, v87, v18
	v_cndmask_b32_e32 v31, v31, v86, vcc_lo
	v_lshlrev_b32_e32 v86, 24, v18
	v_and_b32_e32 v87, 7, v87
	v_lshl_add_u32 v31, v31, 23, 0x3b800000
	v_and_b32_e32 v86, 0x80000000, v86
	v_cndmask_b32_e32 v21, v21, v87, vcc_lo
	v_lshlrev_b32_e32 v21, 20, v21
	v_or3_b32 v21, v86, v31, v21
.LBB6_7015:                             ;   in Loop: Header=BB6_5548 Depth=3
	s_or_b32 exec_lo, exec_lo, s16
	v_max_f32_e32 v21, v21, v21
	v_max_f32_e32 v1, v1, v1
	v_min_f32_e32 v1, v1, v21
.LBB6_7016:                             ;   in Loop: Header=BB6_5548 Depth=3
	v_and_b32_e32 v21, 0x7f800000, v1
	v_cmp_ne_u32_e32 vcc_lo, 0x7f800000, v21
	v_mov_b32_e32 v21, 0x80
	s_and_saveexec_b32 s22, vcc_lo
	s_cbranch_execz .LBB6_7024
; %bb.7017:                             ;   in Loop: Header=BB6_5548 Depth=3
	v_mov_b32_e32 v21, 0
	s_mov_b32 s23, exec_lo
	v_cmpx_ne_u32_e32 0, v1
	s_cbranch_execz .LBB6_7023
; %bb.7018:                             ;   in Loop: Header=BB6_5548 Depth=3
	v_bfe_u32 v31, v1, 23, 8
	v_and_b32_e32 v21, 0x7fffff, v1
                                        ; implicit-def: $vgpr99
	v_cmp_gt_u32_e64 s16, 0x79, v31
	v_sub_nc_u32_e32 v86, 0x78, v31
	v_cmp_eq_u32_e32 vcc_lo, 0, v31
	v_or_b32_e32 v87, 0x800000, v21
	v_cndmask_b32_e64 v86, 0, v86, s16
	v_cndmask_b32_e32 v21, v87, v21, vcc_lo
	v_cndmask_b32_e64 v86, v86, 0x77, vcc_lo
	v_lshl_add_u32 v87, 0x100000, v86, -1
	v_lshlrev_b32_e64 v98, v86, 0x80000
	v_and_b32_e32 v87, v87, v21
	v_cmp_eq_u32_e64 s16, v87, v98
	v_lshrrev_b32_e32 v87, v86, v21
	v_add_nc_u32_e32 v21, 0xffffff89, v31
	v_lshrrev_b32_e32 v31, 23, v87
	v_cndmask_b32_e64 v21, v21, 0xffffff8a, vcc_lo
	v_xor_b32_e32 v31, 1, v31
	v_add_nc_u32_e32 v21, v86, v21
	v_bfe_u32 v86, v87, 20, 1
	v_add_nc_u32_e32 v86, -1, v86
	v_cndmask_b32_e64 v86, 0, v86, s16
	s_mov_b32 s16, exec_lo
	v_add_nc_u32_e32 v86, v86, v87
	v_and_b32_e32 v86, 0xfffff, v86
	v_add_nc_u32_e32 v98, v86, v87
	v_cmpx_ne_u32_e64 v21, v31
	s_xor_b32 s16, exec_lo, s16
; %bb.7019:                             ;   in Loop: Header=BB6_5548 Depth=3
	v_cmp_lt_u32_e32 vcc_lo, 0xffffff, v98
	v_sub_nc_u32_e32 v21, v21, v31
	v_cndmask_b32_e64 v31, 0, 1, vcc_lo
	v_add_co_ci_u32_e64 v99, null, 0, v21, vcc_lo
	v_lshrrev_b32_e32 v98, v31, v98
; %bb.7020:                             ;   in Loop: Header=BB6_5548 Depth=3
	s_andn2_saveexec_b32 s16, s16
; %bb.7021:                             ;   in Loop: Header=BB6_5548 Depth=3
	v_bfe_u32 v99, v98, 23, 1
; %bb.7022:                             ;   in Loop: Header=BB6_5548 Depth=3
	s_or_b32 exec_lo, exec_lo, s16
	v_lshrrev_b32_e32 v21, 20, v98
	v_min_i32_e32 v31, 15, v99
	v_cmp_gt_i32_e32 vcc_lo, 16, v99
	v_and_b32_sdwa v1, v1, v62 dst_sel:DWORD dst_unused:UNUSED_PAD src0_sel:BYTE_3 src1_sel:DWORD
	v_lshlrev_b32_e32 v31, 3, v31
	v_cndmask_b32_e32 v21, 7, v21, vcc_lo
	v_and_b32_e32 v31, 0xf8, v31
	v_or_b32_e32 v86, v99, v21
	v_and_b32_e32 v21, 7, v21
	v_cmp_ne_u32_e32 vcc_lo, 0, v86
	v_or3_b32 v1, v31, v1, v21
	v_cndmask_b32_e32 v21, 0, v1, vcc_lo
.LBB6_7023:                             ;   in Loop: Header=BB6_5548 Depth=3
	s_or_b32 exec_lo, exec_lo, s23
.LBB6_7024:                             ;   in Loop: Header=BB6_5548 Depth=3
	s_or_b32 exec_lo, exec_lo, s22
	v_cmp_gt_i16_sdwa s22, v22, v61 src0_sel:BYTE_1 src1_sel:DWORD
	s_andn2_b32 vcc_lo, exec_lo, s19
	s_mov_b32 s16, -1
                                        ; implicit-def: $vgpr1
	s_cbranch_vccnz .LBB6_7038
; %bb.7025:                             ;   in Loop: Header=BB6_5548 Depth=3
	s_mov_b32 s16, 0
	s_and_saveexec_b32 s23, s22
	s_xor_b32 s22, exec_lo, s23
	s_cbranch_execz .LBB6_8178
; %bb.7026:                             ;   in Loop: Header=BB6_5548 Depth=3
	v_cmp_eq_u16_sdwa s73, v22, v62 src0_sel:BYTE_1 src1_sel:DWORD
	s_mov_b32 s16, -1
	s_and_saveexec_b32 s23, s73
; %bb.7027:                             ;   in Loop: Header=BB6_5548 Depth=3
	s_xor_b32 s16, exec_lo, -1
; %bb.7028:                             ;   in Loop: Header=BB6_5548 Depth=3
	s_or_b32 exec_lo, exec_lo, s23
	s_and_b32 s16, s16, exec_lo
	s_or_saveexec_b32 s22, s22
	v_mov_b32_e32 v1, 0x7f800001
	s_xor_b32 exec_lo, exec_lo, s22
	s_cbranch_execnz .LBB6_8179
.LBB6_7029:                             ;   in Loop: Header=BB6_5548 Depth=3
	s_or_b32 exec_lo, exec_lo, s22
	s_and_saveexec_b32 s22, s16
	s_cbranch_execz .LBB6_7031
.LBB6_7030:                             ;   in Loop: Header=BB6_5548 Depth=3
	v_and_b32_sdwa v1, v63, v22 dst_sel:DWORD dst_unused:UNUSED_PAD src0_sel:DWORD src1_sel:BYTE_1
	v_and_b32_e32 v31, 7, v1
	v_bfe_u32 v98, v1, 3, 4
	v_ffbh_u32_e32 v86, v31
	v_cmp_eq_u32_e32 vcc_lo, 0, v98
	v_min_u32_e32 v86, 32, v86
	v_subrev_nc_u32_e32 v87, 28, v86
	v_sub_nc_u32_e32 v86, 29, v86
	v_lshlrev_b32_e32 v1, v87, v1
	v_lshlrev_b32_e32 v87, 16, v22
	v_cndmask_b32_e32 v86, v98, v86, vcc_lo
	v_and_b32_e32 v1, 7, v1
	v_lshl_add_u32 v86, v86, 23, 0x3b800000
	v_cndmask_b32_e32 v1, v31, v1, vcc_lo
	v_and_b32_e32 v31, 0x80000000, v87
	v_lshlrev_b32_e32 v1, 20, v1
	v_or3_b32 v1, v31, v86, v1
.LBB6_7031:                             ;   in Loop: Header=BB6_5548 Depth=3
	s_or_b32 exec_lo, exec_lo, s22
	v_cmp_gt_i16_sdwa s22, v18, v61 src0_sel:BYTE_1 src1_sel:DWORD
	s_mov_b32 s16, 0
	s_and_saveexec_b32 s23, s22
	s_xor_b32 s22, exec_lo, s23
	s_cbranch_execz .LBB6_8180
; %bb.7032:                             ;   in Loop: Header=BB6_5548 Depth=3
	v_cmp_eq_u16_sdwa s73, v18, v62 src0_sel:BYTE_1 src1_sel:DWORD
	s_mov_b32 s16, -1
	s_and_saveexec_b32 s23, s73
; %bb.7033:                             ;   in Loop: Header=BB6_5548 Depth=3
	s_xor_b32 s16, exec_lo, -1
; %bb.7034:                             ;   in Loop: Header=BB6_5548 Depth=3
	s_or_b32 exec_lo, exec_lo, s23
	s_and_b32 s16, s16, exec_lo
	s_or_saveexec_b32 s22, s22
	v_mov_b32_e32 v31, 0x7f800001
	s_xor_b32 exec_lo, exec_lo, s22
	s_cbranch_execnz .LBB6_8181
.LBB6_7035:                             ;   in Loop: Header=BB6_5548 Depth=3
	s_or_b32 exec_lo, exec_lo, s22
	s_and_saveexec_b32 s22, s16
	s_cbranch_execz .LBB6_7037
.LBB6_7036:                             ;   in Loop: Header=BB6_5548 Depth=3
	v_and_b32_sdwa v31, v63, v18 dst_sel:DWORD dst_unused:UNUSED_PAD src0_sel:DWORD src1_sel:BYTE_1
	v_and_b32_e32 v86, 7, v31
	v_bfe_u32 v99, v31, 3, 4
	v_ffbh_u32_e32 v87, v86
	v_cmp_eq_u32_e32 vcc_lo, 0, v99
	v_min_u32_e32 v87, 32, v87
	v_subrev_nc_u32_e32 v98, 28, v87
	v_sub_nc_u32_e32 v87, 29, v87
	v_lshlrev_b32_e32 v31, v98, v31
	v_lshlrev_b32_e32 v98, 16, v18
	v_cndmask_b32_e32 v87, v99, v87, vcc_lo
	v_and_b32_e32 v31, 7, v31
	v_lshl_add_u32 v87, v87, 23, 0x3b800000
	v_cndmask_b32_e32 v31, v86, v31, vcc_lo
	v_and_b32_e32 v86, 0x80000000, v98
	v_lshlrev_b32_e32 v31, 20, v31
	v_or3_b32 v31, v86, v87, v31
.LBB6_7037:                             ;   in Loop: Header=BB6_5548 Depth=3
	s_or_b32 exec_lo, exec_lo, s22
	v_max_f32_e32 v31, v31, v31
	v_max_f32_e32 v1, v1, v1
	s_mov_b32 s16, 0
	v_max_f32_e32 v1, v1, v31
.LBB6_7038:                             ;   in Loop: Header=BB6_5548 Depth=3
	s_and_b32 vcc_lo, exec_lo, s16
	s_cbranch_vccz .LBB6_7052
; %bb.7039:                             ;   in Loop: Header=BB6_5548 Depth=3
	v_cmp_gt_i16_sdwa s22, v22, v61 src0_sel:BYTE_1 src1_sel:DWORD
	s_mov_b32 s16, 0
	s_and_saveexec_b32 s23, s22
	s_xor_b32 s22, exec_lo, s23
	s_cbranch_execz .LBB6_8182
; %bb.7040:                             ;   in Loop: Header=BB6_5548 Depth=3
	v_cmp_eq_u16_sdwa s73, v22, v62 src0_sel:BYTE_1 src1_sel:DWORD
	s_mov_b32 s16, -1
	s_and_saveexec_b32 s23, s73
; %bb.7041:                             ;   in Loop: Header=BB6_5548 Depth=3
	s_xor_b32 s16, exec_lo, -1
; %bb.7042:                             ;   in Loop: Header=BB6_5548 Depth=3
	s_or_b32 exec_lo, exec_lo, s23
	s_and_b32 s16, s16, exec_lo
	s_or_saveexec_b32 s22, s22
	v_mov_b32_e32 v1, 0x7f800001
	s_xor_b32 exec_lo, exec_lo, s22
	s_cbranch_execnz .LBB6_8183
.LBB6_7043:                             ;   in Loop: Header=BB6_5548 Depth=3
	s_or_b32 exec_lo, exec_lo, s22
	s_and_saveexec_b32 s22, s16
	s_cbranch_execz .LBB6_7045
.LBB6_7044:                             ;   in Loop: Header=BB6_5548 Depth=3
	v_and_b32_sdwa v1, v63, v22 dst_sel:DWORD dst_unused:UNUSED_PAD src0_sel:DWORD src1_sel:BYTE_1
	v_and_b32_e32 v31, 7, v1
	v_bfe_u32 v98, v1, 3, 4
	v_ffbh_u32_e32 v86, v31
	v_cmp_eq_u32_e32 vcc_lo, 0, v98
	v_min_u32_e32 v86, 32, v86
	v_subrev_nc_u32_e32 v87, 28, v86
	v_sub_nc_u32_e32 v86, 29, v86
	v_lshlrev_b32_e32 v1, v87, v1
	v_lshlrev_b32_e32 v87, 16, v22
	v_cndmask_b32_e32 v86, v98, v86, vcc_lo
	v_and_b32_e32 v1, 7, v1
	v_lshl_add_u32 v86, v86, 23, 0x3b800000
	v_cndmask_b32_e32 v1, v31, v1, vcc_lo
	v_and_b32_e32 v31, 0x80000000, v87
	v_lshlrev_b32_e32 v1, 20, v1
	v_or3_b32 v1, v31, v86, v1
.LBB6_7045:                             ;   in Loop: Header=BB6_5548 Depth=3
	s_or_b32 exec_lo, exec_lo, s22
	v_cmp_gt_i16_sdwa s22, v18, v61 src0_sel:BYTE_1 src1_sel:DWORD
	s_mov_b32 s16, 0
	s_and_saveexec_b32 s23, s22
	s_xor_b32 s22, exec_lo, s23
	s_cbranch_execz .LBB6_8184
; %bb.7046:                             ;   in Loop: Header=BB6_5548 Depth=3
	v_cmp_eq_u16_sdwa s73, v18, v62 src0_sel:BYTE_1 src1_sel:DWORD
	s_mov_b32 s16, -1
	s_and_saveexec_b32 s23, s73
; %bb.7047:                             ;   in Loop: Header=BB6_5548 Depth=3
	s_xor_b32 s16, exec_lo, -1
; %bb.7048:                             ;   in Loop: Header=BB6_5548 Depth=3
	s_or_b32 exec_lo, exec_lo, s23
	s_and_b32 s16, s16, exec_lo
	s_or_saveexec_b32 s22, s22
	v_mov_b32_e32 v31, 0x7f800001
	s_xor_b32 exec_lo, exec_lo, s22
	s_cbranch_execnz .LBB6_8185
.LBB6_7049:                             ;   in Loop: Header=BB6_5548 Depth=3
	s_or_b32 exec_lo, exec_lo, s22
	s_and_saveexec_b32 s22, s16
	s_cbranch_execz .LBB6_7051
.LBB6_7050:                             ;   in Loop: Header=BB6_5548 Depth=3
	v_and_b32_sdwa v31, v63, v18 dst_sel:DWORD dst_unused:UNUSED_PAD src0_sel:DWORD src1_sel:BYTE_1
	v_and_b32_e32 v86, 7, v31
	v_bfe_u32 v99, v31, 3, 4
	v_ffbh_u32_e32 v87, v86
	v_cmp_eq_u32_e32 vcc_lo, 0, v99
	v_min_u32_e32 v87, 32, v87
	v_subrev_nc_u32_e32 v98, 28, v87
	v_sub_nc_u32_e32 v87, 29, v87
	v_lshlrev_b32_e32 v31, v98, v31
	v_lshlrev_b32_e32 v98, 16, v18
	v_cndmask_b32_e32 v87, v99, v87, vcc_lo
	v_and_b32_e32 v31, 7, v31
	v_lshl_add_u32 v87, v87, 23, 0x3b800000
	v_cndmask_b32_e32 v31, v86, v31, vcc_lo
	v_and_b32_e32 v86, 0x80000000, v98
	v_lshlrev_b32_e32 v31, 20, v31
	v_or3_b32 v31, v86, v87, v31
.LBB6_7051:                             ;   in Loop: Header=BB6_5548 Depth=3
	s_or_b32 exec_lo, exec_lo, s22
	v_max_f32_e32 v31, v31, v31
	v_max_f32_e32 v1, v1, v1
	v_min_f32_e32 v1, v1, v31
.LBB6_7052:                             ;   in Loop: Header=BB6_5548 Depth=3
	v_and_b32_e32 v31, 0x7f800000, v1
	v_cmp_ne_u32_e32 vcc_lo, 0x7f800000, v31
	v_mov_b32_e32 v31, 0x8000
	s_and_saveexec_b32 s22, vcc_lo
	s_cbranch_execz .LBB6_7060
; %bb.7053:                             ;   in Loop: Header=BB6_5548 Depth=3
	v_mov_b32_e32 v31, 0
	s_mov_b32 s23, exec_lo
	v_cmpx_ne_u32_e32 0, v1
	s_cbranch_execz .LBB6_7059
; %bb.7054:                             ;   in Loop: Header=BB6_5548 Depth=3
	v_bfe_u32 v86, v1, 23, 8
	v_and_b32_e32 v31, 0x7fffff, v1
                                        ; implicit-def: $vgpr112
	v_cmp_gt_u32_e64 s16, 0x79, v86
	v_sub_nc_u32_e32 v87, 0x78, v86
	v_cmp_eq_u32_e32 vcc_lo, 0, v86
	v_or_b32_e32 v98, 0x800000, v31
	v_cndmask_b32_e64 v87, 0, v87, s16
	v_cndmask_b32_e32 v31, v98, v31, vcc_lo
	v_cndmask_b32_e64 v87, v87, 0x77, vcc_lo
	v_lshl_add_u32 v98, 0x100000, v87, -1
	v_lshlrev_b32_e64 v99, v87, 0x80000
	v_and_b32_e32 v98, v98, v31
	v_cmp_eq_u32_e64 s16, v98, v99
	v_lshrrev_b32_e32 v99, v87, v31
	v_add_nc_u32_e32 v31, 0xffffff89, v86
	v_lshrrev_b32_e32 v86, 23, v99
	v_cndmask_b32_e64 v31, v31, 0xffffff8a, vcc_lo
	v_xor_b32_e32 v98, 1, v86
	v_bfe_u32 v86, v99, 20, 1
	v_add_nc_u32_e32 v31, v87, v31
	v_add_nc_u32_e32 v86, -1, v86
	v_cndmask_b32_e64 v86, 0, v86, s16
	s_mov_b32 s16, exec_lo
	v_add_nc_u32_e32 v86, v86, v99
	v_and_b32_e32 v86, 0xfffff, v86
	v_add_nc_u32_e32 v99, v86, v99
	v_cmpx_ne_u32_e64 v31, v98
	s_xor_b32 s16, exec_lo, s16
; %bb.7055:                             ;   in Loop: Header=BB6_5548 Depth=3
	v_cmp_lt_u32_e32 vcc_lo, 0xffffff, v99
	v_sub_nc_u32_e32 v31, v31, v98
	v_cndmask_b32_e64 v86, 0, 1, vcc_lo
	v_add_co_ci_u32_e64 v112, null, 0, v31, vcc_lo
	v_lshrrev_b32_e32 v99, v86, v99
; %bb.7056:                             ;   in Loop: Header=BB6_5548 Depth=3
	s_andn2_saveexec_b32 s16, s16
; %bb.7057:                             ;   in Loop: Header=BB6_5548 Depth=3
	v_bfe_u32 v112, v99, 23, 1
; %bb.7058:                             ;   in Loop: Header=BB6_5548 Depth=3
	s_or_b32 exec_lo, exec_lo, s16
	v_lshrrev_b32_e32 v31, 20, v99
	v_min_i32_e32 v86, 15, v112
	v_cmp_gt_i32_e32 vcc_lo, 16, v112
	v_and_b32_sdwa v1, v1, v62 dst_sel:DWORD dst_unused:UNUSED_PAD src0_sel:BYTE_3 src1_sel:DWORD
	v_lshlrev_b32_e32 v86, 3, v86
	v_cndmask_b32_e32 v31, 7, v31, vcc_lo
	v_and_b32_e32 v86, 0xf8, v86
	v_or_b32_e32 v87, v112, v31
	v_and_b32_e32 v31, 7, v31
	v_cmp_ne_u32_e32 vcc_lo, 0, v87
	v_or3_b32 v1, v1, v86, v31
	v_lshlrev_b32_e32 v1, 8, v1
	v_cndmask_b32_e32 v31, 0, v1, vcc_lo
.LBB6_7059:                             ;   in Loop: Header=BB6_5548 Depth=3
	s_or_b32 exec_lo, exec_lo, s23
.LBB6_7060:                             ;   in Loop: Header=BB6_5548 Depth=3
	s_or_b32 exec_lo, exec_lo, s22
	v_and_b32_sdwa v1, v22, v72 dst_sel:DWORD dst_unused:UNUSED_PAD src0_sel:WORD_1 src1_sel:DWORD
	s_andn2_b32 vcc_lo, exec_lo, s19
	s_mov_b32 s22, -1
                                        ; implicit-def: $vgpr98
	v_cmp_lt_i16_e64 s16, 0x7f, v1
	s_cbranch_vccnz .LBB6_7074
; %bb.7061:                             ;   in Loop: Header=BB6_5548 Depth=3
	s_mov_b32 s22, 0
	s_and_saveexec_b32 s23, s16
	s_xor_b32 s16, exec_lo, s23
	s_cbranch_execz .LBB6_8186
; %bb.7062:                             ;   in Loop: Header=BB6_5548 Depth=3
	s_mov_b32 s22, -1
	s_mov_b32 s23, exec_lo
	v_cmpx_eq_u16_e32 0x80, v1
; %bb.7063:                             ;   in Loop: Header=BB6_5548 Depth=3
	s_xor_b32 s22, exec_lo, -1
; %bb.7064:                             ;   in Loop: Header=BB6_5548 Depth=3
	s_or_b32 exec_lo, exec_lo, s23
	s_and_b32 s22, s22, exec_lo
	s_or_saveexec_b32 s16, s16
	v_mov_b32_e32 v98, 0x7f800001
	s_xor_b32 exec_lo, exec_lo, s16
	s_cbranch_execnz .LBB6_8187
.LBB6_7065:                             ;   in Loop: Header=BB6_5548 Depth=3
	s_or_b32 exec_lo, exec_lo, s16
	s_and_saveexec_b32 s16, s22
	s_cbranch_execz .LBB6_7067
.LBB6_7066:                             ;   in Loop: Header=BB6_5548 Depth=3
	v_bfe_u32 v86, v22, 16, 3
	v_bfe_u32 v87, v22, 19, 4
	v_ffbh_u32_e32 v98, v86
	v_cmp_eq_u32_e32 vcc_lo, 0, v87
	v_min_u32_e32 v98, 32, v98
	v_subrev_nc_u32_e32 v99, 28, v98
	v_sub_nc_u32_e32 v98, 29, v98
	v_lshlrev_b32_sdwa v99, v99, v22 dst_sel:DWORD dst_unused:UNUSED_PAD src0_sel:DWORD src1_sel:WORD_1
	v_cndmask_b32_e32 v87, v87, v98, vcc_lo
	v_lshlrev_b32_sdwa v98, v73, v22 dst_sel:DWORD dst_unused:UNUSED_PAD src0_sel:DWORD src1_sel:WORD_1
	v_and_b32_e32 v99, 7, v99
	v_lshl_add_u32 v87, v87, 23, 0x3b800000
	v_and_b32_e32 v98, 0x80000000, v98
	v_cndmask_b32_e32 v86, v86, v99, vcc_lo
	v_lshlrev_b32_e32 v86, 20, v86
	v_or3_b32 v98, v98, v87, v86
.LBB6_7067:                             ;   in Loop: Header=BB6_5548 Depth=3
	s_or_b32 exec_lo, exec_lo, s16
	v_and_b32_sdwa v87, v18, v72 dst_sel:DWORD dst_unused:UNUSED_PAD src0_sel:WORD_1 src1_sel:DWORD
	s_mov_b32 s22, 0
	s_mov_b32 s16, exec_lo
	v_cmpx_lt_i16_e32 0x7f, v87
	s_xor_b32 s16, exec_lo, s16
	s_cbranch_execz .LBB6_8188
; %bb.7068:                             ;   in Loop: Header=BB6_5548 Depth=3
	s_mov_b32 s22, -1
	s_mov_b32 s23, exec_lo
	v_cmpx_eq_u16_e32 0x80, v87
; %bb.7069:                             ;   in Loop: Header=BB6_5548 Depth=3
	s_xor_b32 s22, exec_lo, -1
; %bb.7070:                             ;   in Loop: Header=BB6_5548 Depth=3
	s_or_b32 exec_lo, exec_lo, s23
	s_and_b32 s22, s22, exec_lo
                                        ; implicit-def: $vgpr87
	s_or_saveexec_b32 s16, s16
	v_mov_b32_e32 v86, 0x7f800001
	s_xor_b32 exec_lo, exec_lo, s16
	s_cbranch_execnz .LBB6_8189
.LBB6_7071:                             ;   in Loop: Header=BB6_5548 Depth=3
	s_or_b32 exec_lo, exec_lo, s16
	s_and_saveexec_b32 s16, s22
	s_cbranch_execz .LBB6_7073
.LBB6_7072:                             ;   in Loop: Header=BB6_5548 Depth=3
	v_bfe_u32 v86, v18, 16, 3
	v_bfe_u32 v87, v18, 19, 4
	v_ffbh_u32_e32 v99, v86
	v_cmp_eq_u32_e32 vcc_lo, 0, v87
	v_min_u32_e32 v99, 32, v99
	v_subrev_nc_u32_e32 v112, 28, v99
	v_sub_nc_u32_e32 v99, 29, v99
	v_lshlrev_b32_sdwa v112, v112, v18 dst_sel:DWORD dst_unused:UNUSED_PAD src0_sel:DWORD src1_sel:WORD_1
	v_cndmask_b32_e32 v87, v87, v99, vcc_lo
	v_lshlrev_b32_sdwa v99, v73, v18 dst_sel:DWORD dst_unused:UNUSED_PAD src0_sel:DWORD src1_sel:WORD_1
	v_and_b32_e32 v112, 7, v112
	v_lshl_add_u32 v87, v87, 23, 0x3b800000
	v_and_b32_e32 v99, 0x80000000, v99
	v_cndmask_b32_e32 v86, v86, v112, vcc_lo
	v_lshlrev_b32_e32 v86, 20, v86
	v_or3_b32 v86, v99, v87, v86
.LBB6_7073:                             ;   in Loop: Header=BB6_5548 Depth=3
	s_or_b32 exec_lo, exec_lo, s16
	v_max_f32_e32 v86, v86, v86
	v_max_f32_e32 v87, v98, v98
	s_mov_b32 s22, 0
	v_max_f32_e32 v98, v87, v86
.LBB6_7074:                             ;   in Loop: Header=BB6_5548 Depth=3
	s_and_b32 vcc_lo, exec_lo, s22
	s_cbranch_vccz .LBB6_7088
; %bb.7075:                             ;   in Loop: Header=BB6_5548 Depth=3
	s_mov_b32 s22, 0
	s_mov_b32 s16, exec_lo
	v_cmpx_lt_i16_e32 0x7f, v1
	s_xor_b32 s16, exec_lo, s16
	s_cbranch_execz .LBB6_8190
; %bb.7076:                             ;   in Loop: Header=BB6_5548 Depth=3
	s_mov_b32 s22, -1
	s_mov_b32 s23, exec_lo
	v_cmpx_eq_u16_e32 0x80, v1
; %bb.7077:                             ;   in Loop: Header=BB6_5548 Depth=3
	s_xor_b32 s22, exec_lo, -1
; %bb.7078:                             ;   in Loop: Header=BB6_5548 Depth=3
	s_or_b32 exec_lo, exec_lo, s23
	s_and_b32 s22, s22, exec_lo
                                        ; implicit-def: $vgpr1
	s_or_saveexec_b32 s16, s16
	v_mov_b32_e32 v98, 0x7f800001
	s_xor_b32 exec_lo, exec_lo, s16
	s_cbranch_execnz .LBB6_8191
.LBB6_7079:                             ;   in Loop: Header=BB6_5548 Depth=3
	s_or_b32 exec_lo, exec_lo, s16
	s_and_saveexec_b32 s16, s22
	s_cbranch_execz .LBB6_7081
.LBB6_7080:                             ;   in Loop: Header=BB6_5548 Depth=3
	v_bfe_u32 v1, v22, 16, 3
	v_bfe_u32 v86, v22, 19, 4
	v_ffbh_u32_e32 v87, v1
	v_cmp_eq_u32_e32 vcc_lo, 0, v86
	v_min_u32_e32 v87, 32, v87
	v_subrev_nc_u32_e32 v98, 28, v87
	v_sub_nc_u32_e32 v87, 29, v87
	v_lshlrev_b32_sdwa v98, v98, v22 dst_sel:DWORD dst_unused:UNUSED_PAD src0_sel:DWORD src1_sel:WORD_1
	v_cndmask_b32_e32 v86, v86, v87, vcc_lo
	v_lshlrev_b32_sdwa v87, v73, v22 dst_sel:DWORD dst_unused:UNUSED_PAD src0_sel:DWORD src1_sel:WORD_1
	v_and_b32_e32 v98, 7, v98
	v_lshl_add_u32 v86, v86, 23, 0x3b800000
	v_and_b32_e32 v87, 0x80000000, v87
	v_cndmask_b32_e32 v1, v1, v98, vcc_lo
	v_lshlrev_b32_e32 v1, 20, v1
	v_or3_b32 v98, v87, v86, v1
.LBB6_7081:                             ;   in Loop: Header=BB6_5548 Depth=3
	s_or_b32 exec_lo, exec_lo, s16
	v_and_b32_sdwa v86, v18, v72 dst_sel:DWORD dst_unused:UNUSED_PAD src0_sel:WORD_1 src1_sel:DWORD
	s_mov_b32 s22, 0
	s_mov_b32 s16, exec_lo
	v_cmpx_lt_i16_e32 0x7f, v86
	s_xor_b32 s16, exec_lo, s16
	s_cbranch_execz .LBB6_8192
; %bb.7082:                             ;   in Loop: Header=BB6_5548 Depth=3
	s_mov_b32 s22, -1
	s_mov_b32 s23, exec_lo
	v_cmpx_eq_u16_e32 0x80, v86
; %bb.7083:                             ;   in Loop: Header=BB6_5548 Depth=3
	s_xor_b32 s22, exec_lo, -1
; %bb.7084:                             ;   in Loop: Header=BB6_5548 Depth=3
	s_or_b32 exec_lo, exec_lo, s23
	s_and_b32 s22, s22, exec_lo
                                        ; implicit-def: $vgpr86
	s_or_saveexec_b32 s16, s16
	v_mov_b32_e32 v1, 0x7f800001
	s_xor_b32 exec_lo, exec_lo, s16
	s_cbranch_execnz .LBB6_8193
.LBB6_7085:                             ;   in Loop: Header=BB6_5548 Depth=3
	s_or_b32 exec_lo, exec_lo, s16
	s_and_saveexec_b32 s16, s22
	s_cbranch_execz .LBB6_7087
.LBB6_7086:                             ;   in Loop: Header=BB6_5548 Depth=3
	v_bfe_u32 v1, v18, 16, 3
	v_bfe_u32 v86, v18, 19, 4
	v_ffbh_u32_e32 v87, v1
	v_cmp_eq_u32_e32 vcc_lo, 0, v86
	v_min_u32_e32 v87, 32, v87
	v_subrev_nc_u32_e32 v99, 28, v87
	v_sub_nc_u32_e32 v87, 29, v87
	v_lshlrev_b32_sdwa v99, v99, v18 dst_sel:DWORD dst_unused:UNUSED_PAD src0_sel:DWORD src1_sel:WORD_1
	v_cndmask_b32_e32 v86, v86, v87, vcc_lo
	v_lshlrev_b32_sdwa v87, v73, v18 dst_sel:DWORD dst_unused:UNUSED_PAD src0_sel:DWORD src1_sel:WORD_1
	v_and_b32_e32 v99, 7, v99
	v_lshl_add_u32 v86, v86, 23, 0x3b800000
	v_and_b32_e32 v87, 0x80000000, v87
	v_cndmask_b32_e32 v1, v1, v99, vcc_lo
	v_lshlrev_b32_e32 v1, 20, v1
	v_or3_b32 v1, v87, v86, v1
.LBB6_7087:                             ;   in Loop: Header=BB6_5548 Depth=3
	s_or_b32 exec_lo, exec_lo, s16
	v_max_f32_e32 v1, v1, v1
	v_max_f32_e32 v86, v98, v98
	v_min_f32_e32 v98, v86, v1
.LBB6_7088:                             ;   in Loop: Header=BB6_5548 Depth=3
	v_and_b32_e32 v1, 0x7f800000, v98
	v_cmp_ne_u32_e32 vcc_lo, 0x7f800000, v1
	v_mov_b32_e32 v1, 0x80
	s_and_saveexec_b32 s22, vcc_lo
	s_cbranch_execz .LBB6_7096
; %bb.7089:                             ;   in Loop: Header=BB6_5548 Depth=3
	v_mov_b32_e32 v1, 0
	s_mov_b32 s23, exec_lo
	v_cmpx_ne_u32_e32 0, v98
	s_cbranch_execz .LBB6_7095
; %bb.7090:                             ;   in Loop: Header=BB6_5548 Depth=3
	v_bfe_u32 v86, v98, 23, 8
	v_and_b32_e32 v1, 0x7fffff, v98
                                        ; implicit-def: $vgpr113
	v_cmp_gt_u32_e64 s16, 0x79, v86
	v_sub_nc_u32_e32 v87, 0x78, v86
	v_cmp_eq_u32_e32 vcc_lo, 0, v86
	v_or_b32_e32 v99, 0x800000, v1
	v_cndmask_b32_e64 v87, 0, v87, s16
	v_cndmask_b32_e32 v1, v99, v1, vcc_lo
	v_cndmask_b32_e64 v87, v87, 0x77, vcc_lo
	v_lshl_add_u32 v99, 0x100000, v87, -1
	v_lshlrev_b32_e64 v112, v87, 0x80000
	v_and_b32_e32 v99, v99, v1
	v_cmp_eq_u32_e64 s16, v99, v112
	v_lshrrev_b32_e32 v112, v87, v1
	v_add_nc_u32_e32 v1, 0xffffff89, v86
	v_lshrrev_b32_e32 v86, 23, v112
	v_cndmask_b32_e64 v1, v1, 0xffffff8a, vcc_lo
	v_xor_b32_e32 v99, 1, v86
	v_bfe_u32 v86, v112, 20, 1
	v_add_nc_u32_e32 v1, v87, v1
	v_add_nc_u32_e32 v86, -1, v86
	v_cndmask_b32_e64 v86, 0, v86, s16
	s_mov_b32 s16, exec_lo
	v_add_nc_u32_e32 v86, v86, v112
	v_and_b32_e32 v86, 0xfffff, v86
	v_add_nc_u32_e32 v112, v86, v112
	v_cmpx_ne_u32_e64 v1, v99
	s_xor_b32 s16, exec_lo, s16
; %bb.7091:                             ;   in Loop: Header=BB6_5548 Depth=3
	v_cmp_lt_u32_e32 vcc_lo, 0xffffff, v112
	v_sub_nc_u32_e32 v1, v1, v99
	v_cndmask_b32_e64 v86, 0, 1, vcc_lo
	v_add_co_ci_u32_e64 v113, null, 0, v1, vcc_lo
	v_lshrrev_b32_e32 v112, v86, v112
; %bb.7092:                             ;   in Loop: Header=BB6_5548 Depth=3
	s_andn2_saveexec_b32 s16, s16
; %bb.7093:                             ;   in Loop: Header=BB6_5548 Depth=3
	v_bfe_u32 v113, v112, 23, 1
; %bb.7094:                             ;   in Loop: Header=BB6_5548 Depth=3
	s_or_b32 exec_lo, exec_lo, s16
	v_lshrrev_b32_e32 v86, 20, v112
	v_min_i32_e32 v87, 15, v113
	v_cmp_gt_i32_e32 vcc_lo, 16, v113
	v_and_b32_sdwa v1, v98, v62 dst_sel:DWORD dst_unused:UNUSED_PAD src0_sel:BYTE_3 src1_sel:DWORD
	v_lshlrev_b32_e32 v87, 3, v87
	v_cndmask_b32_e32 v86, 7, v86, vcc_lo
	v_and_b32_e32 v87, 0xf8, v87
	v_or_b32_e32 v98, v113, v86
	v_and_b32_e32 v86, 7, v86
	v_cmp_ne_u32_e32 vcc_lo, 0, v98
	v_or3_b32 v1, v87, v1, v86
	v_cndmask_b32_e32 v1, 0, v1, vcc_lo
.LBB6_7095:                             ;   in Loop: Header=BB6_5548 Depth=3
	s_or_b32 exec_lo, exec_lo, s23
.LBB6_7096:                             ;   in Loop: Header=BB6_5548 Depth=3
	s_or_b32 exec_lo, exec_lo, s22
	v_cmp_gt_i16_sdwa s22, v22, v61 src0_sel:BYTE_3 src1_sel:DWORD
	s_andn2_b32 vcc_lo, exec_lo, s19
	s_mov_b32 s16, -1
                                        ; implicit-def: $vgpr98
	s_cbranch_vccnz .LBB6_7110
; %bb.7097:                             ;   in Loop: Header=BB6_5548 Depth=3
	s_mov_b32 s16, 0
	s_and_saveexec_b32 s23, s22
	s_xor_b32 s22, exec_lo, s23
	s_cbranch_execz .LBB6_8194
; %bb.7098:                             ;   in Loop: Header=BB6_5548 Depth=3
	v_cmp_eq_u16_sdwa s73, v22, v62 src0_sel:BYTE_3 src1_sel:DWORD
	s_mov_b32 s16, -1
	s_and_saveexec_b32 s23, s73
; %bb.7099:                             ;   in Loop: Header=BB6_5548 Depth=3
	s_xor_b32 s16, exec_lo, -1
; %bb.7100:                             ;   in Loop: Header=BB6_5548 Depth=3
	s_or_b32 exec_lo, exec_lo, s23
	s_and_b32 s16, s16, exec_lo
	s_or_saveexec_b32 s22, s22
	v_mov_b32_e32 v98, 0x7f800001
	s_xor_b32 exec_lo, exec_lo, s22
	s_cbranch_execnz .LBB6_8195
.LBB6_7101:                             ;   in Loop: Header=BB6_5548 Depth=3
	s_or_b32 exec_lo, exec_lo, s22
	s_and_saveexec_b32 s22, s16
	s_cbranch_execz .LBB6_7103
.LBB6_7102:                             ;   in Loop: Header=BB6_5548 Depth=3
	v_bfe_u32 v86, v22, 24, 3
	v_bfe_u32 v99, v22, 27, 4
	v_ffbh_u32_e32 v87, v86
	v_cmp_eq_u32_e32 vcc_lo, 0, v99
	v_min_u32_e32 v87, 32, v87
	v_subrev_nc_u32_e32 v98, 28, v87
	v_sub_nc_u32_e32 v87, 29, v87
	v_lshlrev_b32_sdwa v98, v98, v22 dst_sel:DWORD dst_unused:UNUSED_PAD src0_sel:DWORD src1_sel:BYTE_3
	v_cndmask_b32_e32 v87, v99, v87, vcc_lo
	v_and_b32_e32 v98, 7, v98
	v_lshl_add_u32 v87, v87, 23, 0x3b800000
	v_cndmask_b32_e32 v86, v86, v98, vcc_lo
	v_and_b32_e32 v98, 0x80000000, v22
	v_lshlrev_b32_e32 v86, 20, v86
	v_or3_b32 v98, v98, v87, v86
.LBB6_7103:                             ;   in Loop: Header=BB6_5548 Depth=3
	s_or_b32 exec_lo, exec_lo, s22
	v_cmp_gt_i16_sdwa s22, v18, v61 src0_sel:BYTE_3 src1_sel:DWORD
	s_mov_b32 s16, 0
	s_and_saveexec_b32 s23, s22
	s_xor_b32 s22, exec_lo, s23
	s_cbranch_execz .LBB6_8196
; %bb.7104:                             ;   in Loop: Header=BB6_5548 Depth=3
	v_cmp_eq_u16_sdwa s73, v18, v62 src0_sel:BYTE_3 src1_sel:DWORD
	s_mov_b32 s16, -1
	s_and_saveexec_b32 s23, s73
; %bb.7105:                             ;   in Loop: Header=BB6_5548 Depth=3
	s_xor_b32 s16, exec_lo, -1
; %bb.7106:                             ;   in Loop: Header=BB6_5548 Depth=3
	s_or_b32 exec_lo, exec_lo, s23
	s_and_b32 s16, s16, exec_lo
	s_or_saveexec_b32 s22, s22
	v_mov_b32_e32 v86, 0x7f800001
	s_xor_b32 exec_lo, exec_lo, s22
	s_cbranch_execnz .LBB6_8197
.LBB6_7107:                             ;   in Loop: Header=BB6_5548 Depth=3
	s_or_b32 exec_lo, exec_lo, s22
	s_and_saveexec_b32 s22, s16
	s_cbranch_execz .LBB6_7109
.LBB6_7108:                             ;   in Loop: Header=BB6_5548 Depth=3
	v_bfe_u32 v86, v18, 24, 3
	v_bfe_u32 v112, v18, 27, 4
	v_ffbh_u32_e32 v87, v86
	v_cmp_eq_u32_e32 vcc_lo, 0, v112
	v_min_u32_e32 v87, 32, v87
	v_subrev_nc_u32_e32 v99, 28, v87
	v_sub_nc_u32_e32 v87, 29, v87
	v_lshlrev_b32_sdwa v99, v99, v18 dst_sel:DWORD dst_unused:UNUSED_PAD src0_sel:DWORD src1_sel:BYTE_3
	v_cndmask_b32_e32 v87, v112, v87, vcc_lo
	v_and_b32_e32 v99, 7, v99
	v_lshl_add_u32 v87, v87, 23, 0x3b800000
	v_cndmask_b32_e32 v86, v86, v99, vcc_lo
	v_and_b32_e32 v99, 0x80000000, v18
	v_lshlrev_b32_e32 v86, 20, v86
	v_or3_b32 v86, v99, v87, v86
.LBB6_7109:                             ;   in Loop: Header=BB6_5548 Depth=3
	s_or_b32 exec_lo, exec_lo, s22
	v_max_f32_e32 v86, v86, v86
	v_max_f32_e32 v87, v98, v98
	s_mov_b32 s16, 0
	v_max_f32_e32 v98, v87, v86
.LBB6_7110:                             ;   in Loop: Header=BB6_5548 Depth=3
	s_and_b32 vcc_lo, exec_lo, s16
	s_cbranch_vccz .LBB6_7124
; %bb.7111:                             ;   in Loop: Header=BB6_5548 Depth=3
	v_cmp_gt_i16_sdwa s22, v22, v61 src0_sel:BYTE_3 src1_sel:DWORD
	s_mov_b32 s16, 0
	s_and_saveexec_b32 s23, s22
	s_xor_b32 s22, exec_lo, s23
	s_cbranch_execz .LBB6_8198
; %bb.7112:                             ;   in Loop: Header=BB6_5548 Depth=3
	v_cmp_eq_u16_sdwa s73, v22, v62 src0_sel:BYTE_3 src1_sel:DWORD
	s_mov_b32 s16, -1
	s_and_saveexec_b32 s23, s73
; %bb.7113:                             ;   in Loop: Header=BB6_5548 Depth=3
	s_xor_b32 s16, exec_lo, -1
; %bb.7114:                             ;   in Loop: Header=BB6_5548 Depth=3
	s_or_b32 exec_lo, exec_lo, s23
	s_and_b32 s16, s16, exec_lo
	s_or_saveexec_b32 s22, s22
	v_mov_b32_e32 v98, 0x7f800001
	s_xor_b32 exec_lo, exec_lo, s22
	s_cbranch_execnz .LBB6_8199
.LBB6_7115:                             ;   in Loop: Header=BB6_5548 Depth=3
	s_or_b32 exec_lo, exec_lo, s22
	s_and_saveexec_b32 s22, s16
	s_cbranch_execz .LBB6_7117
.LBB6_7116:                             ;   in Loop: Header=BB6_5548 Depth=3
	v_bfe_u32 v86, v22, 24, 3
	v_bfe_u32 v99, v22, 27, 4
	v_ffbh_u32_e32 v87, v86
	v_cmp_eq_u32_e32 vcc_lo, 0, v99
	v_min_u32_e32 v87, 32, v87
	v_subrev_nc_u32_e32 v98, 28, v87
	v_sub_nc_u32_e32 v87, 29, v87
	v_lshlrev_b32_sdwa v98, v98, v22 dst_sel:DWORD dst_unused:UNUSED_PAD src0_sel:DWORD src1_sel:BYTE_3
	v_cndmask_b32_e32 v87, v99, v87, vcc_lo
	v_and_b32_e32 v22, 0x80000000, v22
	v_and_b32_e32 v98, 7, v98
	v_lshl_add_u32 v87, v87, 23, 0x3b800000
	v_cndmask_b32_e32 v86, v86, v98, vcc_lo
	v_lshlrev_b32_e32 v86, 20, v86
	v_or3_b32 v98, v22, v87, v86
.LBB6_7117:                             ;   in Loop: Header=BB6_5548 Depth=3
	s_or_b32 exec_lo, exec_lo, s22
	v_cmp_gt_i16_sdwa s22, v18, v61 src0_sel:BYTE_3 src1_sel:DWORD
	s_mov_b32 s16, 0
	s_and_saveexec_b32 s23, s22
	s_xor_b32 s22, exec_lo, s23
	s_cbranch_execz .LBB6_8200
; %bb.7118:                             ;   in Loop: Header=BB6_5548 Depth=3
	v_cmp_eq_u16_sdwa s73, v18, v62 src0_sel:BYTE_3 src1_sel:DWORD
	s_mov_b32 s16, -1
	s_and_saveexec_b32 s23, s73
; %bb.7119:                             ;   in Loop: Header=BB6_5548 Depth=3
	s_xor_b32 s16, exec_lo, -1
; %bb.7120:                             ;   in Loop: Header=BB6_5548 Depth=3
	s_or_b32 exec_lo, exec_lo, s23
	s_and_b32 s16, s16, exec_lo
	s_or_saveexec_b32 s22, s22
	v_mov_b32_e32 v22, 0x7f800001
	s_xor_b32 exec_lo, exec_lo, s22
	s_cbranch_execnz .LBB6_8201
.LBB6_7121:                             ;   in Loop: Header=BB6_5548 Depth=3
	s_or_b32 exec_lo, exec_lo, s22
	s_and_saveexec_b32 s22, s16
	s_cbranch_execz .LBB6_7123
.LBB6_7122:                             ;   in Loop: Header=BB6_5548 Depth=3
	v_bfe_u32 v22, v18, 24, 3
	v_bfe_u32 v99, v18, 27, 4
	v_ffbh_u32_e32 v86, v22
	v_cmp_eq_u32_e32 vcc_lo, 0, v99
	v_min_u32_e32 v86, 32, v86
	v_subrev_nc_u32_e32 v87, 28, v86
	v_sub_nc_u32_e32 v86, 29, v86
	v_lshlrev_b32_sdwa v87, v87, v18 dst_sel:DWORD dst_unused:UNUSED_PAD src0_sel:DWORD src1_sel:BYTE_3
	v_cndmask_b32_e32 v86, v99, v86, vcc_lo
	v_and_b32_e32 v18, 0x80000000, v18
	v_and_b32_e32 v87, 7, v87
	v_lshl_add_u32 v86, v86, 23, 0x3b800000
	v_cndmask_b32_e32 v22, v22, v87, vcc_lo
	v_lshlrev_b32_e32 v22, 20, v22
	v_or3_b32 v22, v18, v86, v22
.LBB6_7123:                             ;   in Loop: Header=BB6_5548 Depth=3
	s_or_b32 exec_lo, exec_lo, s22
	v_max_f32_e32 v18, v22, v22
	v_max_f32_e32 v22, v98, v98
	v_min_f32_e32 v98, v22, v18
.LBB6_7124:                             ;   in Loop: Header=BB6_5548 Depth=3
	v_and_b32_e32 v18, 0x7f800000, v98
	v_cmp_ne_u32_e32 vcc_lo, 0x7f800000, v18
	v_mov_b32_e32 v18, 0x8000
	s_and_saveexec_b32 s22, vcc_lo
	s_cbranch_execz .LBB6_7132
; %bb.7125:                             ;   in Loop: Header=BB6_5548 Depth=3
	v_mov_b32_e32 v18, 0
	s_mov_b32 s23, exec_lo
	v_cmpx_ne_u32_e32 0, v98
	s_cbranch_execz .LBB6_7131
; %bb.7126:                             ;   in Loop: Header=BB6_5548 Depth=3
	v_bfe_u32 v22, v98, 23, 8
	v_and_b32_e32 v18, 0x7fffff, v98
                                        ; implicit-def: $vgpr112
	v_cmp_gt_u32_e64 s16, 0x79, v22
	v_sub_nc_u32_e32 v86, 0x78, v22
	v_cmp_eq_u32_e32 vcc_lo, 0, v22
	v_or_b32_e32 v87, 0x800000, v18
	v_cndmask_b32_e64 v86, 0, v86, s16
	v_cndmask_b32_e32 v18, v87, v18, vcc_lo
	v_cndmask_b32_e64 v86, v86, 0x77, vcc_lo
	v_lshl_add_u32 v87, 0x100000, v86, -1
	v_lshlrev_b32_e64 v99, v86, 0x80000
	v_and_b32_e32 v87, v87, v18
	v_cmp_eq_u32_e64 s16, v87, v99
	v_lshrrev_b32_e32 v87, v86, v18
	v_add_nc_u32_e32 v18, 0xffffff89, v22
	v_lshrrev_b32_e32 v22, 23, v87
	v_cndmask_b32_e64 v18, v18, 0xffffff8a, vcc_lo
	v_xor_b32_e32 v22, 1, v22
	v_add_nc_u32_e32 v18, v86, v18
	v_bfe_u32 v86, v87, 20, 1
	v_add_nc_u32_e32 v86, -1, v86
	v_cndmask_b32_e64 v86, 0, v86, s16
	s_mov_b32 s16, exec_lo
	v_add_nc_u32_e32 v86, v86, v87
	v_and_b32_e32 v86, 0xfffff, v86
	v_add_nc_u32_e32 v99, v86, v87
	v_cmpx_ne_u32_e64 v18, v22
	s_xor_b32 s16, exec_lo, s16
; %bb.7127:                             ;   in Loop: Header=BB6_5548 Depth=3
	v_cmp_lt_u32_e32 vcc_lo, 0xffffff, v99
	v_sub_nc_u32_e32 v18, v18, v22
	v_cndmask_b32_e64 v22, 0, 1, vcc_lo
	v_add_co_ci_u32_e64 v112, null, 0, v18, vcc_lo
	v_lshrrev_b32_e32 v99, v22, v99
; %bb.7128:                             ;   in Loop: Header=BB6_5548 Depth=3
	s_andn2_saveexec_b32 s16, s16
; %bb.7129:                             ;   in Loop: Header=BB6_5548 Depth=3
	v_bfe_u32 v112, v99, 23, 1
; %bb.7130:                             ;   in Loop: Header=BB6_5548 Depth=3
	s_or_b32 exec_lo, exec_lo, s16
	v_lshrrev_b32_e32 v22, 20, v99
	v_min_i32_e32 v86, 15, v112
	v_cmp_gt_i32_e32 vcc_lo, 16, v112
	v_and_b32_sdwa v18, v98, v62 dst_sel:DWORD dst_unused:UNUSED_PAD src0_sel:BYTE_3 src1_sel:DWORD
	v_lshlrev_b32_e32 v86, 3, v86
	v_cndmask_b32_e32 v22, 7, v22, vcc_lo
	v_and_b32_e32 v86, 0xf8, v86
	v_or_b32_e32 v87, v112, v22
	v_and_b32_e32 v22, 7, v22
	v_cmp_ne_u32_e32 vcc_lo, 0, v87
	v_or3_b32 v18, v18, v86, v22
	v_lshlrev_b32_e32 v18, 8, v18
	v_cndmask_b32_e32 v18, 0, v18, vcc_lo
.LBB6_7131:                             ;   in Loop: Header=BB6_5548 Depth=3
	s_or_b32 exec_lo, exec_lo, s23
.LBB6_7132:                             ;   in Loop: Header=BB6_5548 Depth=3
	s_or_b32 exec_lo, exec_lo, s22
	v_cmp_gt_i16_sdwa s23, v23, v61 src0_sel:BYTE_0 src1_sel:DWORD
	s_andn2_b32 vcc_lo, exec_lo, s19
	s_mov_b32 s16, -1
                                        ; implicit-def: $vgpr98
	s_cbranch_vccnz .LBB6_7146
; %bb.7133:                             ;   in Loop: Header=BB6_5548 Depth=3
	s_mov_b32 s22, 0
	s_and_saveexec_b32 s16, s23
	s_xor_b32 s16, exec_lo, s16
	s_cbranch_execz .LBB6_8202
; %bb.7134:                             ;   in Loop: Header=BB6_5548 Depth=3
	v_cmp_eq_u16_sdwa s73, v23, v62 src0_sel:BYTE_0 src1_sel:DWORD
	s_mov_b32 s22, -1
	s_and_saveexec_b32 s23, s73
; %bb.7135:                             ;   in Loop: Header=BB6_5548 Depth=3
	s_xor_b32 s22, exec_lo, -1
; %bb.7136:                             ;   in Loop: Header=BB6_5548 Depth=3
	s_or_b32 exec_lo, exec_lo, s23
	s_and_b32 s22, s22, exec_lo
	s_or_saveexec_b32 s16, s16
	v_mov_b32_e32 v22, 0x7f800001
	s_xor_b32 exec_lo, exec_lo, s16
	s_cbranch_execnz .LBB6_8203
.LBB6_7137:                             ;   in Loop: Header=BB6_5548 Depth=3
	s_or_b32 exec_lo, exec_lo, s16
	s_and_saveexec_b32 s16, s22
	s_cbranch_execz .LBB6_7139
.LBB6_7138:                             ;   in Loop: Header=BB6_5548 Depth=3
	v_and_b32_e32 v22, 7, v23
	v_bfe_u32 v86, v23, 3, 4
	v_ffbh_u32_e32 v87, v22
	v_cmp_eq_u32_e32 vcc_lo, 0, v86
	v_min_u32_e32 v87, 32, v87
	v_subrev_nc_u32_e32 v98, 28, v87
	v_sub_nc_u32_e32 v87, 29, v87
	v_lshlrev_b32_e32 v98, v98, v23
	v_cndmask_b32_e32 v86, v86, v87, vcc_lo
	v_lshlrev_b32_e32 v87, 24, v23
	v_and_b32_e32 v98, 7, v98
	v_lshl_add_u32 v86, v86, 23, 0x3b800000
	v_and_b32_e32 v87, 0x80000000, v87
	v_cndmask_b32_e32 v22, v22, v98, vcc_lo
	v_lshlrev_b32_e32 v22, 20, v22
	v_or3_b32 v22, v87, v86, v22
.LBB6_7139:                             ;   in Loop: Header=BB6_5548 Depth=3
	s_or_b32 exec_lo, exec_lo, s16
	v_cmp_gt_i16_sdwa s16, v19, v61 src0_sel:BYTE_0 src1_sel:DWORD
	s_mov_b32 s22, 0
	s_and_saveexec_b32 s23, s16
	s_xor_b32 s16, exec_lo, s23
	s_cbranch_execz .LBB6_8204
; %bb.7140:                             ;   in Loop: Header=BB6_5548 Depth=3
	v_cmp_eq_u16_sdwa s73, v19, v62 src0_sel:BYTE_0 src1_sel:DWORD
	s_mov_b32 s22, -1
	s_and_saveexec_b32 s23, s73
; %bb.7141:                             ;   in Loop: Header=BB6_5548 Depth=3
	s_xor_b32 s22, exec_lo, -1
; %bb.7142:                             ;   in Loop: Header=BB6_5548 Depth=3
	s_or_b32 exec_lo, exec_lo, s23
	s_and_b32 s22, s22, exec_lo
	s_or_saveexec_b32 s16, s16
	v_mov_b32_e32 v86, 0x7f800001
	s_xor_b32 exec_lo, exec_lo, s16
	s_cbranch_execnz .LBB6_8205
.LBB6_7143:                             ;   in Loop: Header=BB6_5548 Depth=3
	s_or_b32 exec_lo, exec_lo, s16
	s_and_saveexec_b32 s16, s22
	s_cbranch_execz .LBB6_7145
.LBB6_7144:                             ;   in Loop: Header=BB6_5548 Depth=3
	v_and_b32_e32 v86, 7, v19
	v_bfe_u32 v87, v19, 3, 4
	v_ffbh_u32_e32 v98, v86
	v_cmp_eq_u32_e32 vcc_lo, 0, v87
	v_min_u32_e32 v98, 32, v98
	v_subrev_nc_u32_e32 v99, 28, v98
	v_sub_nc_u32_e32 v98, 29, v98
	v_lshlrev_b32_e32 v99, v99, v19
	v_cndmask_b32_e32 v87, v87, v98, vcc_lo
	v_lshlrev_b32_e32 v98, 24, v19
	v_and_b32_e32 v99, 7, v99
	v_lshl_add_u32 v87, v87, 23, 0x3b800000
	v_and_b32_e32 v98, 0x80000000, v98
	v_cndmask_b32_e32 v86, v86, v99, vcc_lo
	v_lshlrev_b32_e32 v86, 20, v86
	v_or3_b32 v86, v98, v87, v86
.LBB6_7145:                             ;   in Loop: Header=BB6_5548 Depth=3
	s_or_b32 exec_lo, exec_lo, s16
	v_max_f32_e32 v86, v86, v86
	v_max_f32_e32 v22, v22, v22
	s_mov_b32 s16, 0
	v_max_f32_e32 v98, v22, v86
.LBB6_7146:                             ;   in Loop: Header=BB6_5548 Depth=3
	s_and_b32 vcc_lo, exec_lo, s16
	s_cbranch_vccz .LBB6_7160
; %bb.7147:                             ;   in Loop: Header=BB6_5548 Depth=3
	v_cmp_gt_i16_sdwa s16, v23, v61 src0_sel:BYTE_0 src1_sel:DWORD
	s_mov_b32 s22, 0
	s_and_saveexec_b32 s23, s16
	s_xor_b32 s16, exec_lo, s23
	s_cbranch_execz .LBB6_8206
; %bb.7148:                             ;   in Loop: Header=BB6_5548 Depth=3
	v_cmp_eq_u16_sdwa s73, v23, v62 src0_sel:BYTE_0 src1_sel:DWORD
	s_mov_b32 s22, -1
	s_and_saveexec_b32 s23, s73
; %bb.7149:                             ;   in Loop: Header=BB6_5548 Depth=3
	s_xor_b32 s22, exec_lo, -1
; %bb.7150:                             ;   in Loop: Header=BB6_5548 Depth=3
	s_or_b32 exec_lo, exec_lo, s23
	s_and_b32 s22, s22, exec_lo
	s_or_saveexec_b32 s16, s16
	v_mov_b32_e32 v22, 0x7f800001
	s_xor_b32 exec_lo, exec_lo, s16
	s_cbranch_execnz .LBB6_8207
.LBB6_7151:                             ;   in Loop: Header=BB6_5548 Depth=3
	s_or_b32 exec_lo, exec_lo, s16
	s_and_saveexec_b32 s16, s22
	s_cbranch_execz .LBB6_7153
.LBB6_7152:                             ;   in Loop: Header=BB6_5548 Depth=3
	v_and_b32_e32 v22, 7, v23
	v_bfe_u32 v86, v23, 3, 4
	v_ffbh_u32_e32 v87, v22
	v_cmp_eq_u32_e32 vcc_lo, 0, v86
	v_min_u32_e32 v87, 32, v87
	v_subrev_nc_u32_e32 v98, 28, v87
	v_sub_nc_u32_e32 v87, 29, v87
	v_lshlrev_b32_e32 v98, v98, v23
	v_cndmask_b32_e32 v86, v86, v87, vcc_lo
	v_lshlrev_b32_e32 v87, 24, v23
	v_and_b32_e32 v98, 7, v98
	v_lshl_add_u32 v86, v86, 23, 0x3b800000
	v_and_b32_e32 v87, 0x80000000, v87
	v_cndmask_b32_e32 v22, v22, v98, vcc_lo
	v_lshlrev_b32_e32 v22, 20, v22
	v_or3_b32 v22, v87, v86, v22
.LBB6_7153:                             ;   in Loop: Header=BB6_5548 Depth=3
	s_or_b32 exec_lo, exec_lo, s16
	v_cmp_gt_i16_sdwa s16, v19, v61 src0_sel:BYTE_0 src1_sel:DWORD
	s_mov_b32 s22, 0
	s_and_saveexec_b32 s23, s16
	s_xor_b32 s16, exec_lo, s23
	s_cbranch_execz .LBB6_8208
; %bb.7154:                             ;   in Loop: Header=BB6_5548 Depth=3
	v_cmp_eq_u16_sdwa s73, v19, v62 src0_sel:BYTE_0 src1_sel:DWORD
	s_mov_b32 s22, -1
	s_and_saveexec_b32 s23, s73
; %bb.7155:                             ;   in Loop: Header=BB6_5548 Depth=3
	s_xor_b32 s22, exec_lo, -1
; %bb.7156:                             ;   in Loop: Header=BB6_5548 Depth=3
	s_or_b32 exec_lo, exec_lo, s23
	s_and_b32 s22, s22, exec_lo
	s_or_saveexec_b32 s16, s16
	v_mov_b32_e32 v86, 0x7f800001
	s_xor_b32 exec_lo, exec_lo, s16
	s_cbranch_execnz .LBB6_8209
.LBB6_7157:                             ;   in Loop: Header=BB6_5548 Depth=3
	s_or_b32 exec_lo, exec_lo, s16
	s_and_saveexec_b32 s16, s22
	s_cbranch_execz .LBB6_7159
.LBB6_7158:                             ;   in Loop: Header=BB6_5548 Depth=3
	v_and_b32_e32 v86, 7, v19
	v_bfe_u32 v87, v19, 3, 4
	v_ffbh_u32_e32 v98, v86
	v_cmp_eq_u32_e32 vcc_lo, 0, v87
	v_min_u32_e32 v98, 32, v98
	v_subrev_nc_u32_e32 v99, 28, v98
	v_sub_nc_u32_e32 v98, 29, v98
	v_lshlrev_b32_e32 v99, v99, v19
	v_cndmask_b32_e32 v87, v87, v98, vcc_lo
	v_lshlrev_b32_e32 v98, 24, v19
	v_and_b32_e32 v99, 7, v99
	v_lshl_add_u32 v87, v87, 23, 0x3b800000
	v_and_b32_e32 v98, 0x80000000, v98
	v_cndmask_b32_e32 v86, v86, v99, vcc_lo
	v_lshlrev_b32_e32 v86, 20, v86
	v_or3_b32 v86, v98, v87, v86
.LBB6_7159:                             ;   in Loop: Header=BB6_5548 Depth=3
	s_or_b32 exec_lo, exec_lo, s16
	v_max_f32_e32 v86, v86, v86
	v_max_f32_e32 v22, v22, v22
	v_min_f32_e32 v98, v22, v86
.LBB6_7160:                             ;   in Loop: Header=BB6_5548 Depth=3
	v_and_b32_e32 v22, 0x7f800000, v98
	v_cmp_ne_u32_e32 vcc_lo, 0x7f800000, v22
	v_mov_b32_e32 v22, 0x80
	s_and_saveexec_b32 s22, vcc_lo
	s_cbranch_execz .LBB6_7168
; %bb.7161:                             ;   in Loop: Header=BB6_5548 Depth=3
	v_mov_b32_e32 v22, 0
	s_mov_b32 s23, exec_lo
	v_cmpx_ne_u32_e32 0, v98
	s_cbranch_execz .LBB6_7167
; %bb.7162:                             ;   in Loop: Header=BB6_5548 Depth=3
	v_bfe_u32 v86, v98, 23, 8
	v_and_b32_e32 v22, 0x7fffff, v98
                                        ; implicit-def: $vgpr113
	v_cmp_gt_u32_e64 s16, 0x79, v86
	v_sub_nc_u32_e32 v87, 0x78, v86
	v_cmp_eq_u32_e32 vcc_lo, 0, v86
	v_or_b32_e32 v99, 0x800000, v22
	v_cndmask_b32_e64 v87, 0, v87, s16
	v_cndmask_b32_e32 v22, v99, v22, vcc_lo
	v_cndmask_b32_e64 v87, v87, 0x77, vcc_lo
	v_lshl_add_u32 v99, 0x100000, v87, -1
	v_lshlrev_b32_e64 v112, v87, 0x80000
	v_and_b32_e32 v99, v99, v22
	v_cmp_eq_u32_e64 s16, v99, v112
	v_lshrrev_b32_e32 v112, v87, v22
	v_add_nc_u32_e32 v22, 0xffffff89, v86
	v_lshrrev_b32_e32 v86, 23, v112
	v_cndmask_b32_e64 v22, v22, 0xffffff8a, vcc_lo
	v_xor_b32_e32 v99, 1, v86
	v_bfe_u32 v86, v112, 20, 1
	v_add_nc_u32_e32 v22, v87, v22
	v_add_nc_u32_e32 v86, -1, v86
	v_cndmask_b32_e64 v86, 0, v86, s16
	s_mov_b32 s16, exec_lo
	v_add_nc_u32_e32 v86, v86, v112
	v_and_b32_e32 v86, 0xfffff, v86
	v_add_nc_u32_e32 v112, v86, v112
	v_cmpx_ne_u32_e64 v22, v99
	s_xor_b32 s16, exec_lo, s16
; %bb.7163:                             ;   in Loop: Header=BB6_5548 Depth=3
	v_cmp_lt_u32_e32 vcc_lo, 0xffffff, v112
	v_sub_nc_u32_e32 v22, v22, v99
	v_cndmask_b32_e64 v86, 0, 1, vcc_lo
	v_add_co_ci_u32_e64 v113, null, 0, v22, vcc_lo
	v_lshrrev_b32_e32 v112, v86, v112
; %bb.7164:                             ;   in Loop: Header=BB6_5548 Depth=3
	s_andn2_saveexec_b32 s16, s16
; %bb.7165:                             ;   in Loop: Header=BB6_5548 Depth=3
	v_bfe_u32 v113, v112, 23, 1
; %bb.7166:                             ;   in Loop: Header=BB6_5548 Depth=3
	s_or_b32 exec_lo, exec_lo, s16
	v_lshrrev_b32_e32 v86, 20, v112
	v_min_i32_e32 v87, 15, v113
	v_cmp_gt_i32_e32 vcc_lo, 16, v113
	v_and_b32_sdwa v22, v98, v62 dst_sel:DWORD dst_unused:UNUSED_PAD src0_sel:BYTE_3 src1_sel:DWORD
	v_lshlrev_b32_e32 v87, 3, v87
	v_cndmask_b32_e32 v86, 7, v86, vcc_lo
	v_and_b32_e32 v87, 0xf8, v87
	v_or_b32_e32 v98, v113, v86
	v_and_b32_e32 v86, 7, v86
	v_cmp_ne_u32_e32 vcc_lo, 0, v98
	v_or3_b32 v22, v87, v22, v86
	v_cndmask_b32_e32 v22, 0, v22, vcc_lo
.LBB6_7167:                             ;   in Loop: Header=BB6_5548 Depth=3
	s_or_b32 exec_lo, exec_lo, s23
.LBB6_7168:                             ;   in Loop: Header=BB6_5548 Depth=3
	s_or_b32 exec_lo, exec_lo, s22
	v_cmp_gt_i16_sdwa s22, v23, v61 src0_sel:BYTE_1 src1_sel:DWORD
	s_andn2_b32 vcc_lo, exec_lo, s19
	s_mov_b32 s16, -1
                                        ; implicit-def: $vgpr98
	s_cbranch_vccnz .LBB6_7182
; %bb.7169:                             ;   in Loop: Header=BB6_5548 Depth=3
	s_mov_b32 s16, 0
	s_and_saveexec_b32 s23, s22
	s_xor_b32 s22, exec_lo, s23
	s_cbranch_execz .LBB6_8210
; %bb.7170:                             ;   in Loop: Header=BB6_5548 Depth=3
	v_cmp_eq_u16_sdwa s73, v23, v62 src0_sel:BYTE_1 src1_sel:DWORD
	s_mov_b32 s16, -1
	s_and_saveexec_b32 s23, s73
; %bb.7171:                             ;   in Loop: Header=BB6_5548 Depth=3
	s_xor_b32 s16, exec_lo, -1
; %bb.7172:                             ;   in Loop: Header=BB6_5548 Depth=3
	s_or_b32 exec_lo, exec_lo, s23
	s_and_b32 s16, s16, exec_lo
	s_or_saveexec_b32 s22, s22
	v_mov_b32_e32 v98, 0x7f800001
	s_xor_b32 exec_lo, exec_lo, s22
	s_cbranch_execnz .LBB6_8211
.LBB6_7173:                             ;   in Loop: Header=BB6_5548 Depth=3
	s_or_b32 exec_lo, exec_lo, s22
	s_and_saveexec_b32 s22, s16
	s_cbranch_execz .LBB6_7175
.LBB6_7174:                             ;   in Loop: Header=BB6_5548 Depth=3
	v_and_b32_sdwa v86, v63, v23 dst_sel:DWORD dst_unused:UNUSED_PAD src0_sel:DWORD src1_sel:BYTE_1
	v_and_b32_e32 v87, 7, v86
	v_bfe_u32 v112, v86, 3, 4
	v_ffbh_u32_e32 v98, v87
	v_cmp_eq_u32_e32 vcc_lo, 0, v112
	v_min_u32_e32 v98, 32, v98
	v_subrev_nc_u32_e32 v99, 28, v98
	v_sub_nc_u32_e32 v98, 29, v98
	v_lshlrev_b32_e32 v86, v99, v86
	v_lshlrev_b32_e32 v99, 16, v23
	v_cndmask_b32_e32 v98, v112, v98, vcc_lo
	v_and_b32_e32 v86, 7, v86
	v_lshl_add_u32 v98, v98, 23, 0x3b800000
	v_cndmask_b32_e32 v86, v87, v86, vcc_lo
	v_and_b32_e32 v87, 0x80000000, v99
	v_lshlrev_b32_e32 v86, 20, v86
	v_or3_b32 v98, v87, v98, v86
.LBB6_7175:                             ;   in Loop: Header=BB6_5548 Depth=3
	s_or_b32 exec_lo, exec_lo, s22
	v_cmp_gt_i16_sdwa s22, v19, v61 src0_sel:BYTE_1 src1_sel:DWORD
	s_mov_b32 s16, 0
	s_and_saveexec_b32 s23, s22
	s_xor_b32 s22, exec_lo, s23
	s_cbranch_execz .LBB6_8212
; %bb.7176:                             ;   in Loop: Header=BB6_5548 Depth=3
	v_cmp_eq_u16_sdwa s73, v19, v62 src0_sel:BYTE_1 src1_sel:DWORD
	s_mov_b32 s16, -1
	s_and_saveexec_b32 s23, s73
; %bb.7177:                             ;   in Loop: Header=BB6_5548 Depth=3
	s_xor_b32 s16, exec_lo, -1
; %bb.7178:                             ;   in Loop: Header=BB6_5548 Depth=3
	s_or_b32 exec_lo, exec_lo, s23
	s_and_b32 s16, s16, exec_lo
	s_or_saveexec_b32 s22, s22
	v_mov_b32_e32 v86, 0x7f800001
	s_xor_b32 exec_lo, exec_lo, s22
	s_cbranch_execnz .LBB6_8213
.LBB6_7179:                             ;   in Loop: Header=BB6_5548 Depth=3
	s_or_b32 exec_lo, exec_lo, s22
	s_and_saveexec_b32 s22, s16
	s_cbranch_execz .LBB6_7181
.LBB6_7180:                             ;   in Loop: Header=BB6_5548 Depth=3
	v_and_b32_sdwa v86, v63, v19 dst_sel:DWORD dst_unused:UNUSED_PAD src0_sel:DWORD src1_sel:BYTE_1
	v_and_b32_e32 v87, 7, v86
	v_bfe_u32 v113, v86, 3, 4
	v_ffbh_u32_e32 v99, v87
	v_cmp_eq_u32_e32 vcc_lo, 0, v113
	v_min_u32_e32 v99, 32, v99
	v_subrev_nc_u32_e32 v112, 28, v99
	v_sub_nc_u32_e32 v99, 29, v99
	v_lshlrev_b32_e32 v86, v112, v86
	v_lshlrev_b32_e32 v112, 16, v19
	v_cndmask_b32_e32 v99, v113, v99, vcc_lo
	v_and_b32_e32 v86, 7, v86
	v_lshl_add_u32 v99, v99, 23, 0x3b800000
	v_cndmask_b32_e32 v86, v87, v86, vcc_lo
	v_and_b32_e32 v87, 0x80000000, v112
	v_lshlrev_b32_e32 v86, 20, v86
	v_or3_b32 v86, v87, v99, v86
.LBB6_7181:                             ;   in Loop: Header=BB6_5548 Depth=3
	s_or_b32 exec_lo, exec_lo, s22
	v_max_f32_e32 v86, v86, v86
	v_max_f32_e32 v87, v98, v98
	s_mov_b32 s16, 0
	v_max_f32_e32 v98, v87, v86
.LBB6_7182:                             ;   in Loop: Header=BB6_5548 Depth=3
	s_and_b32 vcc_lo, exec_lo, s16
	s_cbranch_vccz .LBB6_7196
; %bb.7183:                             ;   in Loop: Header=BB6_5548 Depth=3
	v_cmp_gt_i16_sdwa s22, v23, v61 src0_sel:BYTE_1 src1_sel:DWORD
	s_mov_b32 s16, 0
	s_and_saveexec_b32 s23, s22
	s_xor_b32 s22, exec_lo, s23
	s_cbranch_execz .LBB6_8214
; %bb.7184:                             ;   in Loop: Header=BB6_5548 Depth=3
	v_cmp_eq_u16_sdwa s73, v23, v62 src0_sel:BYTE_1 src1_sel:DWORD
	s_mov_b32 s16, -1
	s_and_saveexec_b32 s23, s73
; %bb.7185:                             ;   in Loop: Header=BB6_5548 Depth=3
	s_xor_b32 s16, exec_lo, -1
; %bb.7186:                             ;   in Loop: Header=BB6_5548 Depth=3
	s_or_b32 exec_lo, exec_lo, s23
	s_and_b32 s16, s16, exec_lo
	s_or_saveexec_b32 s22, s22
	v_mov_b32_e32 v98, 0x7f800001
	s_xor_b32 exec_lo, exec_lo, s22
	s_cbranch_execnz .LBB6_8215
.LBB6_7187:                             ;   in Loop: Header=BB6_5548 Depth=3
	s_or_b32 exec_lo, exec_lo, s22
	s_and_saveexec_b32 s22, s16
	s_cbranch_execz .LBB6_7189
.LBB6_7188:                             ;   in Loop: Header=BB6_5548 Depth=3
	v_and_b32_sdwa v86, v63, v23 dst_sel:DWORD dst_unused:UNUSED_PAD src0_sel:DWORD src1_sel:BYTE_1
	v_and_b32_e32 v87, 7, v86
	v_bfe_u32 v112, v86, 3, 4
	v_ffbh_u32_e32 v98, v87
	v_cmp_eq_u32_e32 vcc_lo, 0, v112
	v_min_u32_e32 v98, 32, v98
	v_subrev_nc_u32_e32 v99, 28, v98
	v_sub_nc_u32_e32 v98, 29, v98
	v_lshlrev_b32_e32 v86, v99, v86
	v_lshlrev_b32_e32 v99, 16, v23
	v_cndmask_b32_e32 v98, v112, v98, vcc_lo
	v_and_b32_e32 v86, 7, v86
	v_lshl_add_u32 v98, v98, 23, 0x3b800000
	v_cndmask_b32_e32 v86, v87, v86, vcc_lo
	v_and_b32_e32 v87, 0x80000000, v99
	v_lshlrev_b32_e32 v86, 20, v86
	v_or3_b32 v98, v87, v98, v86
.LBB6_7189:                             ;   in Loop: Header=BB6_5548 Depth=3
	s_or_b32 exec_lo, exec_lo, s22
	v_cmp_gt_i16_sdwa s22, v19, v61 src0_sel:BYTE_1 src1_sel:DWORD
	s_mov_b32 s16, 0
	s_and_saveexec_b32 s23, s22
	s_xor_b32 s22, exec_lo, s23
	s_cbranch_execz .LBB6_8216
; %bb.7190:                             ;   in Loop: Header=BB6_5548 Depth=3
	v_cmp_eq_u16_sdwa s73, v19, v62 src0_sel:BYTE_1 src1_sel:DWORD
	s_mov_b32 s16, -1
	s_and_saveexec_b32 s23, s73
; %bb.7191:                             ;   in Loop: Header=BB6_5548 Depth=3
	s_xor_b32 s16, exec_lo, -1
; %bb.7192:                             ;   in Loop: Header=BB6_5548 Depth=3
	s_or_b32 exec_lo, exec_lo, s23
	s_and_b32 s16, s16, exec_lo
	s_or_saveexec_b32 s22, s22
	v_mov_b32_e32 v86, 0x7f800001
	s_xor_b32 exec_lo, exec_lo, s22
	s_cbranch_execnz .LBB6_8217
.LBB6_7193:                             ;   in Loop: Header=BB6_5548 Depth=3
	s_or_b32 exec_lo, exec_lo, s22
	s_and_saveexec_b32 s22, s16
	s_cbranch_execz .LBB6_7195
.LBB6_7194:                             ;   in Loop: Header=BB6_5548 Depth=3
	v_and_b32_sdwa v86, v63, v19 dst_sel:DWORD dst_unused:UNUSED_PAD src0_sel:DWORD src1_sel:BYTE_1
	v_and_b32_e32 v87, 7, v86
	v_bfe_u32 v113, v86, 3, 4
	v_ffbh_u32_e32 v99, v87
	v_cmp_eq_u32_e32 vcc_lo, 0, v113
	v_min_u32_e32 v99, 32, v99
	v_subrev_nc_u32_e32 v112, 28, v99
	v_sub_nc_u32_e32 v99, 29, v99
	v_lshlrev_b32_e32 v86, v112, v86
	v_lshlrev_b32_e32 v112, 16, v19
	v_cndmask_b32_e32 v99, v113, v99, vcc_lo
	v_and_b32_e32 v86, 7, v86
	v_lshl_add_u32 v99, v99, 23, 0x3b800000
	v_cndmask_b32_e32 v86, v87, v86, vcc_lo
	v_and_b32_e32 v87, 0x80000000, v112
	v_lshlrev_b32_e32 v86, 20, v86
	v_or3_b32 v86, v87, v99, v86
.LBB6_7195:                             ;   in Loop: Header=BB6_5548 Depth=3
	s_or_b32 exec_lo, exec_lo, s22
	v_max_f32_e32 v86, v86, v86
	v_max_f32_e32 v87, v98, v98
	v_min_f32_e32 v98, v87, v86
.LBB6_7196:                             ;   in Loop: Header=BB6_5548 Depth=3
	v_and_b32_e32 v86, 0x7f800000, v98
	v_mov_b32_e32 v111, 0x8000
	s_mov_b32 s22, exec_lo
	v_cmpx_ne_u32_e32 0x7f800000, v86
	s_cbranch_execz .LBB6_7204
; %bb.7197:                             ;   in Loop: Header=BB6_5548 Depth=3
	v_mov_b32_e32 v111, 0
	s_mov_b32 s23, exec_lo
	v_cmpx_ne_u32_e32 0, v98
	s_cbranch_execz .LBB6_7203
; %bb.7198:                             ;   in Loop: Header=BB6_5548 Depth=3
	v_bfe_u32 v87, v98, 23, 8
	v_and_b32_e32 v86, 0x7fffff, v98
                                        ; implicit-def: $vgpr46
	v_cmp_gt_u32_e64 s16, 0x79, v87
	v_sub_nc_u32_e32 v99, 0x78, v87
	v_cmp_eq_u32_e32 vcc_lo, 0, v87
	v_or_b32_e32 v112, 0x800000, v86
	v_add_nc_u32_e32 v87, 0xffffff89, v87
	v_cndmask_b32_e64 v99, 0, v99, s16
	v_cndmask_b32_e32 v86, v112, v86, vcc_lo
	v_cndmask_b32_e64 v87, v87, 0xffffff8a, vcc_lo
	v_cndmask_b32_e64 v99, v99, 0x77, vcc_lo
	v_lshl_add_u32 v112, 0x100000, v99, -1
	v_lshlrev_b32_e64 v113, v99, 0x80000
	v_and_b32_e32 v112, v112, v86
	v_lshrrev_b32_e32 v86, v99, v86
	v_add_nc_u32_e32 v99, v99, v87
	v_cmp_eq_u32_e64 s16, v112, v113
	v_lshrrev_b32_e32 v87, 23, v86
	v_xor_b32_e32 v112, 1, v87
	v_bfe_u32 v87, v86, 20, 1
	v_add_nc_u32_e32 v87, -1, v87
	v_cndmask_b32_e64 v87, 0, v87, s16
	s_mov_b32 s16, exec_lo
	v_add_nc_u32_e32 v87, v87, v86
	v_and_b32_e32 v87, 0xfffff, v87
	v_add_nc_u32_e32 v113, v87, v86
	v_cmpx_ne_u32_e64 v99, v112
	s_xor_b32 s16, exec_lo, s16
; %bb.7199:                             ;   in Loop: Header=BB6_5548 Depth=3
	v_cmp_lt_u32_e32 vcc_lo, 0xffffff, v113
	v_sub_nc_u32_e32 v86, v99, v112
	v_cndmask_b32_e64 v87, 0, 1, vcc_lo
	v_add_co_ci_u32_e64 v46, null, 0, v86, vcc_lo
	v_lshrrev_b32_e32 v113, v87, v113
; %bb.7200:                             ;   in Loop: Header=BB6_5548 Depth=3
	s_andn2_saveexec_b32 s16, s16
; %bb.7201:                             ;   in Loop: Header=BB6_5548 Depth=3
	v_bfe_u32 v46, v113, 23, 1
; %bb.7202:                             ;   in Loop: Header=BB6_5548 Depth=3
	s_or_b32 exec_lo, exec_lo, s16
	v_and_b32_sdwa v86, v98, v62 dst_sel:DWORD dst_unused:UNUSED_PAD src0_sel:BYTE_3 src1_sel:DWORD
	v_lshrrev_b32_e32 v87, 20, v113
	v_min_i32_e32 v98, 15, v46
	v_cmp_gt_i32_e32 vcc_lo, 16, v46
	v_lshlrev_b32_e32 v98, 3, v98
	v_cndmask_b32_e32 v87, 7, v87, vcc_lo
	v_and_b32_e32 v98, 0xf8, v98
	v_or_b32_e32 v99, v46, v87
	v_and_b32_e32 v87, 7, v87
	v_cmp_ne_u32_e32 vcc_lo, 0, v99
	v_or3_b32 v86, v86, v98, v87
	v_lshlrev_b32_e32 v86, 8, v86
	v_cndmask_b32_e32 v111, 0, v86, vcc_lo
.LBB6_7203:                             ;   in Loop: Header=BB6_5548 Depth=3
	s_or_b32 exec_lo, exec_lo, s23
.LBB6_7204:                             ;   in Loop: Header=BB6_5548 Depth=3
	s_or_b32 exec_lo, exec_lo, s22
	v_and_b32_sdwa v98, v23, v72 dst_sel:DWORD dst_unused:UNUSED_PAD src0_sel:WORD_1 src1_sel:DWORD
	s_andn2_b32 vcc_lo, exec_lo, s19
	s_mov_b32 s22, -1
                                        ; implicit-def: $vgpr99
	v_cmp_lt_i16_e64 s16, 0x7f, v98
	s_cbranch_vccnz .LBB6_7218
; %bb.7205:                             ;   in Loop: Header=BB6_5548 Depth=3
	s_mov_b32 s22, 0
	s_and_saveexec_b32 s23, s16
	s_xor_b32 s16, exec_lo, s23
	s_cbranch_execz .LBB6_8218
; %bb.7206:                             ;   in Loop: Header=BB6_5548 Depth=3
	s_mov_b32 s22, -1
	s_mov_b32 s23, exec_lo
	v_cmpx_eq_u16_e32 0x80, v98
; %bb.7207:                             ;   in Loop: Header=BB6_5548 Depth=3
	s_xor_b32 s22, exec_lo, -1
; %bb.7208:                             ;   in Loop: Header=BB6_5548 Depth=3
	s_or_b32 exec_lo, exec_lo, s23
	s_and_b32 s22, s22, exec_lo
	s_or_saveexec_b32 s16, s16
	v_mov_b32_e32 v99, 0x7f800001
	s_xor_b32 exec_lo, exec_lo, s16
	s_cbranch_execnz .LBB6_8219
.LBB6_7209:                             ;   in Loop: Header=BB6_5548 Depth=3
	s_or_b32 exec_lo, exec_lo, s16
	s_and_saveexec_b32 s16, s22
	s_cbranch_execz .LBB6_7211
.LBB6_7210:                             ;   in Loop: Header=BB6_5548 Depth=3
	v_bfe_u32 v86, v23, 16, 3
	v_bfe_u32 v87, v23, 19, 4
	v_ffbh_u32_e32 v99, v86
	v_cmp_eq_u32_e32 vcc_lo, 0, v87
	v_min_u32_e32 v99, 32, v99
	v_subrev_nc_u32_e32 v112, 28, v99
	v_sub_nc_u32_e32 v99, 29, v99
	v_lshlrev_b32_sdwa v112, v112, v23 dst_sel:DWORD dst_unused:UNUSED_PAD src0_sel:DWORD src1_sel:WORD_1
	v_cndmask_b32_e32 v87, v87, v99, vcc_lo
	v_lshlrev_b32_sdwa v99, v73, v23 dst_sel:DWORD dst_unused:UNUSED_PAD src0_sel:DWORD src1_sel:WORD_1
	v_and_b32_e32 v112, 7, v112
	v_lshl_add_u32 v87, v87, 23, 0x3b800000
	v_and_b32_e32 v99, 0x80000000, v99
	v_cndmask_b32_e32 v86, v86, v112, vcc_lo
	v_lshlrev_b32_e32 v86, 20, v86
	v_or3_b32 v99, v99, v87, v86
.LBB6_7211:                             ;   in Loop: Header=BB6_5548 Depth=3
	s_or_b32 exec_lo, exec_lo, s16
	v_and_b32_sdwa v87, v19, v72 dst_sel:DWORD dst_unused:UNUSED_PAD src0_sel:WORD_1 src1_sel:DWORD
	s_mov_b32 s22, 0
	s_mov_b32 s16, exec_lo
	v_cmpx_lt_i16_e32 0x7f, v87
	s_xor_b32 s16, exec_lo, s16
	s_cbranch_execz .LBB6_8220
; %bb.7212:                             ;   in Loop: Header=BB6_5548 Depth=3
	s_mov_b32 s22, -1
	s_mov_b32 s23, exec_lo
	v_cmpx_eq_u16_e32 0x80, v87
; %bb.7213:                             ;   in Loop: Header=BB6_5548 Depth=3
	s_xor_b32 s22, exec_lo, -1
; %bb.7214:                             ;   in Loop: Header=BB6_5548 Depth=3
	s_or_b32 exec_lo, exec_lo, s23
	s_and_b32 s22, s22, exec_lo
                                        ; implicit-def: $vgpr87
	s_or_saveexec_b32 s16, s16
	v_mov_b32_e32 v86, 0x7f800001
	s_xor_b32 exec_lo, exec_lo, s16
	s_cbranch_execnz .LBB6_8221
.LBB6_7215:                             ;   in Loop: Header=BB6_5548 Depth=3
	s_or_b32 exec_lo, exec_lo, s16
	s_and_saveexec_b32 s16, s22
	s_cbranch_execz .LBB6_7217
.LBB6_7216:                             ;   in Loop: Header=BB6_5548 Depth=3
	v_bfe_u32 v86, v19, 16, 3
	v_bfe_u32 v87, v19, 19, 4
	v_ffbh_u32_e32 v112, v86
	v_cmp_eq_u32_e32 vcc_lo, 0, v87
	v_min_u32_e32 v112, 32, v112
	v_subrev_nc_u32_e32 v113, 28, v112
	v_sub_nc_u32_e32 v112, 29, v112
	v_lshlrev_b32_sdwa v113, v113, v19 dst_sel:DWORD dst_unused:UNUSED_PAD src0_sel:DWORD src1_sel:WORD_1
	v_cndmask_b32_e32 v87, v87, v112, vcc_lo
	v_lshlrev_b32_sdwa v112, v73, v19 dst_sel:DWORD dst_unused:UNUSED_PAD src0_sel:DWORD src1_sel:WORD_1
	v_and_b32_e32 v113, 7, v113
	v_lshl_add_u32 v87, v87, 23, 0x3b800000
	v_and_b32_e32 v112, 0x80000000, v112
	v_cndmask_b32_e32 v86, v86, v113, vcc_lo
	v_lshlrev_b32_e32 v86, 20, v86
	v_or3_b32 v86, v112, v87, v86
.LBB6_7217:                             ;   in Loop: Header=BB6_5548 Depth=3
	s_or_b32 exec_lo, exec_lo, s16
	v_max_f32_e32 v86, v86, v86
	v_max_f32_e32 v87, v99, v99
	s_mov_b32 s22, 0
	v_max_f32_e32 v99, v87, v86
.LBB6_7218:                             ;   in Loop: Header=BB6_5548 Depth=3
	s_and_b32 vcc_lo, exec_lo, s22
	s_cbranch_vccz .LBB6_7232
; %bb.7219:                             ;   in Loop: Header=BB6_5548 Depth=3
	s_mov_b32 s22, 0
	s_mov_b32 s16, exec_lo
	v_cmpx_lt_i16_e32 0x7f, v98
	s_xor_b32 s16, exec_lo, s16
	s_cbranch_execz .LBB6_8222
; %bb.7220:                             ;   in Loop: Header=BB6_5548 Depth=3
	s_mov_b32 s22, -1
	s_mov_b32 s23, exec_lo
	v_cmpx_eq_u16_e32 0x80, v98
; %bb.7221:                             ;   in Loop: Header=BB6_5548 Depth=3
	s_xor_b32 s22, exec_lo, -1
; %bb.7222:                             ;   in Loop: Header=BB6_5548 Depth=3
	s_or_b32 exec_lo, exec_lo, s23
	s_and_b32 s22, s22, exec_lo
                                        ; implicit-def: $vgpr98
	s_or_saveexec_b32 s16, s16
	v_mov_b32_e32 v99, 0x7f800001
	s_xor_b32 exec_lo, exec_lo, s16
	s_cbranch_execnz .LBB6_8223
.LBB6_7223:                             ;   in Loop: Header=BB6_5548 Depth=3
	s_or_b32 exec_lo, exec_lo, s16
	s_and_saveexec_b32 s16, s22
	s_cbranch_execz .LBB6_7225
.LBB6_7224:                             ;   in Loop: Header=BB6_5548 Depth=3
	v_bfe_u32 v86, v23, 16, 3
	v_bfe_u32 v87, v23, 19, 4
	v_ffbh_u32_e32 v98, v86
	v_cmp_eq_u32_e32 vcc_lo, 0, v87
	v_min_u32_e32 v98, 32, v98
	v_subrev_nc_u32_e32 v99, 28, v98
	v_sub_nc_u32_e32 v98, 29, v98
	v_lshlrev_b32_sdwa v99, v99, v23 dst_sel:DWORD dst_unused:UNUSED_PAD src0_sel:DWORD src1_sel:WORD_1
	v_cndmask_b32_e32 v87, v87, v98, vcc_lo
	v_lshlrev_b32_sdwa v98, v73, v23 dst_sel:DWORD dst_unused:UNUSED_PAD src0_sel:DWORD src1_sel:WORD_1
	v_and_b32_e32 v99, 7, v99
	v_lshl_add_u32 v87, v87, 23, 0x3b800000
	v_and_b32_e32 v98, 0x80000000, v98
	v_cndmask_b32_e32 v86, v86, v99, vcc_lo
	v_lshlrev_b32_e32 v86, 20, v86
	v_or3_b32 v99, v98, v87, v86
.LBB6_7225:                             ;   in Loop: Header=BB6_5548 Depth=3
	s_or_b32 exec_lo, exec_lo, s16
	v_and_b32_sdwa v87, v19, v72 dst_sel:DWORD dst_unused:UNUSED_PAD src0_sel:WORD_1 src1_sel:DWORD
	s_mov_b32 s22, 0
	s_mov_b32 s16, exec_lo
	v_cmpx_lt_i16_e32 0x7f, v87
	s_xor_b32 s16, exec_lo, s16
	s_cbranch_execz .LBB6_8224
; %bb.7226:                             ;   in Loop: Header=BB6_5548 Depth=3
	s_mov_b32 s22, -1
	s_mov_b32 s23, exec_lo
	v_cmpx_eq_u16_e32 0x80, v87
; %bb.7227:                             ;   in Loop: Header=BB6_5548 Depth=3
	s_xor_b32 s22, exec_lo, -1
; %bb.7228:                             ;   in Loop: Header=BB6_5548 Depth=3
	s_or_b32 exec_lo, exec_lo, s23
	s_and_b32 s22, s22, exec_lo
                                        ; implicit-def: $vgpr87
	s_or_saveexec_b32 s16, s16
	v_mov_b32_e32 v86, 0x7f800001
	s_xor_b32 exec_lo, exec_lo, s16
	s_cbranch_execnz .LBB6_8225
.LBB6_7229:                             ;   in Loop: Header=BB6_5548 Depth=3
	s_or_b32 exec_lo, exec_lo, s16
	s_and_saveexec_b32 s16, s22
	s_cbranch_execz .LBB6_7231
.LBB6_7230:                             ;   in Loop: Header=BB6_5548 Depth=3
	v_bfe_u32 v86, v19, 16, 3
	v_bfe_u32 v87, v19, 19, 4
	v_ffbh_u32_e32 v98, v86
	v_cmp_eq_u32_e32 vcc_lo, 0, v87
	v_min_u32_e32 v98, 32, v98
	v_subrev_nc_u32_e32 v112, 28, v98
	v_sub_nc_u32_e32 v98, 29, v98
	v_lshlrev_b32_sdwa v112, v112, v19 dst_sel:DWORD dst_unused:UNUSED_PAD src0_sel:DWORD src1_sel:WORD_1
	v_cndmask_b32_e32 v87, v87, v98, vcc_lo
	v_lshlrev_b32_sdwa v98, v73, v19 dst_sel:DWORD dst_unused:UNUSED_PAD src0_sel:DWORD src1_sel:WORD_1
	v_and_b32_e32 v112, 7, v112
	v_lshl_add_u32 v87, v87, 23, 0x3b800000
	v_and_b32_e32 v98, 0x80000000, v98
	v_cndmask_b32_e32 v86, v86, v112, vcc_lo
	v_lshlrev_b32_e32 v86, 20, v86
	v_or3_b32 v86, v98, v87, v86
.LBB6_7231:                             ;   in Loop: Header=BB6_5548 Depth=3
	s_or_b32 exec_lo, exec_lo, s16
	v_max_f32_e32 v86, v86, v86
	v_max_f32_e32 v87, v99, v99
	v_min_f32_e32 v99, v87, v86
.LBB6_7232:                             ;   in Loop: Header=BB6_5548 Depth=3
	v_and_b32_e32 v86, 0x7f800000, v99
	v_mov_b32_e32 v107, 0x80
	s_mov_b32 s22, exec_lo
	v_cmpx_ne_u32_e32 0x7f800000, v86
	s_cbranch_execz .LBB6_7240
; %bb.7233:                             ;   in Loop: Header=BB6_5548 Depth=3
	v_mov_b32_e32 v107, 0
	s_mov_b32 s23, exec_lo
	v_cmpx_ne_u32_e32 0, v99
	s_cbranch_execz .LBB6_7239
; %bb.7234:                             ;   in Loop: Header=BB6_5548 Depth=3
	v_bfe_u32 v87, v99, 23, 8
	v_and_b32_e32 v86, 0x7fffff, v99
                                        ; implicit-def: $vgpr46
	v_cmp_gt_u32_e64 s16, 0x79, v87
	v_sub_nc_u32_e32 v98, 0x78, v87
	v_cmp_eq_u32_e32 vcc_lo, 0, v87
	v_or_b32_e32 v112, 0x800000, v86
	v_add_nc_u32_e32 v87, 0xffffff89, v87
	v_cndmask_b32_e64 v98, 0, v98, s16
	v_cndmask_b32_e32 v86, v112, v86, vcc_lo
	v_cndmask_b32_e64 v87, v87, 0xffffff8a, vcc_lo
	v_cndmask_b32_e64 v98, v98, 0x77, vcc_lo
	v_lshl_add_u32 v112, 0x100000, v98, -1
	v_lshlrev_b32_e64 v113, v98, 0x80000
	v_and_b32_e32 v112, v112, v86
	v_lshrrev_b32_e32 v86, v98, v86
	v_add_nc_u32_e32 v98, v98, v87
	v_cmp_eq_u32_e64 s16, v112, v113
	v_lshrrev_b32_e32 v87, 23, v86
	v_xor_b32_e32 v112, 1, v87
	v_bfe_u32 v87, v86, 20, 1
	v_add_nc_u32_e32 v87, -1, v87
	v_cndmask_b32_e64 v87, 0, v87, s16
	s_mov_b32 s16, exec_lo
	v_add_nc_u32_e32 v87, v87, v86
	v_and_b32_e32 v87, 0xfffff, v87
	v_add_nc_u32_e32 v113, v87, v86
	v_cmpx_ne_u32_e64 v98, v112
	s_xor_b32 s16, exec_lo, s16
; %bb.7235:                             ;   in Loop: Header=BB6_5548 Depth=3
	v_cmp_lt_u32_e32 vcc_lo, 0xffffff, v113
	v_sub_nc_u32_e32 v86, v98, v112
	v_cndmask_b32_e64 v87, 0, 1, vcc_lo
	v_add_co_ci_u32_e64 v46, null, 0, v86, vcc_lo
	v_lshrrev_b32_e32 v113, v87, v113
; %bb.7236:                             ;   in Loop: Header=BB6_5548 Depth=3
	s_andn2_saveexec_b32 s16, s16
; %bb.7237:                             ;   in Loop: Header=BB6_5548 Depth=3
	v_bfe_u32 v46, v113, 23, 1
; %bb.7238:                             ;   in Loop: Header=BB6_5548 Depth=3
	s_or_b32 exec_lo, exec_lo, s16
	v_lshrrev_b32_e32 v87, 20, v113
	v_min_i32_e32 v98, 15, v46
	v_cmp_gt_i32_e32 vcc_lo, 16, v46
	v_and_b32_sdwa v86, v99, v62 dst_sel:DWORD dst_unused:UNUSED_PAD src0_sel:BYTE_3 src1_sel:DWORD
	v_lshlrev_b32_e32 v98, 3, v98
	v_cndmask_b32_e32 v87, 7, v87, vcc_lo
	v_and_b32_e32 v98, 0xf8, v98
	v_or_b32_e32 v99, v46, v87
	v_and_b32_e32 v87, 7, v87
	v_cmp_ne_u32_e32 vcc_lo, 0, v99
	v_or3_b32 v86, v98, v86, v87
	v_cndmask_b32_e32 v107, 0, v86, vcc_lo
.LBB6_7239:                             ;   in Loop: Header=BB6_5548 Depth=3
	s_or_b32 exec_lo, exec_lo, s23
.LBB6_7240:                             ;   in Loop: Header=BB6_5548 Depth=3
	s_or_b32 exec_lo, exec_lo, s22
	v_cmp_gt_i16_sdwa s22, v23, v61 src0_sel:BYTE_3 src1_sel:DWORD
	s_andn2_b32 vcc_lo, exec_lo, s19
	s_mov_b32 s16, -1
                                        ; implicit-def: $vgpr98
	s_cbranch_vccnz .LBB6_7254
; %bb.7241:                             ;   in Loop: Header=BB6_5548 Depth=3
	s_mov_b32 s16, 0
	s_and_saveexec_b32 s23, s22
	s_xor_b32 s22, exec_lo, s23
	s_cbranch_execz .LBB6_8226
; %bb.7242:                             ;   in Loop: Header=BB6_5548 Depth=3
	v_cmp_eq_u16_sdwa s73, v23, v62 src0_sel:BYTE_3 src1_sel:DWORD
	s_mov_b32 s16, -1
	s_and_saveexec_b32 s23, s73
; %bb.7243:                             ;   in Loop: Header=BB6_5548 Depth=3
	s_xor_b32 s16, exec_lo, -1
; %bb.7244:                             ;   in Loop: Header=BB6_5548 Depth=3
	s_or_b32 exec_lo, exec_lo, s23
	s_and_b32 s16, s16, exec_lo
	s_or_saveexec_b32 s22, s22
	v_mov_b32_e32 v98, 0x7f800001
	s_xor_b32 exec_lo, exec_lo, s22
	s_cbranch_execnz .LBB6_8227
.LBB6_7245:                             ;   in Loop: Header=BB6_5548 Depth=3
	s_or_b32 exec_lo, exec_lo, s22
	s_and_saveexec_b32 s22, s16
	s_cbranch_execz .LBB6_7247
.LBB6_7246:                             ;   in Loop: Header=BB6_5548 Depth=3
	v_bfe_u32 v86, v23, 24, 3
	v_bfe_u32 v99, v23, 27, 4
	v_ffbh_u32_e32 v87, v86
	v_cmp_eq_u32_e32 vcc_lo, 0, v99
	v_min_u32_e32 v87, 32, v87
	v_subrev_nc_u32_e32 v98, 28, v87
	v_sub_nc_u32_e32 v87, 29, v87
	v_lshlrev_b32_sdwa v98, v98, v23 dst_sel:DWORD dst_unused:UNUSED_PAD src0_sel:DWORD src1_sel:BYTE_3
	v_cndmask_b32_e32 v87, v99, v87, vcc_lo
	v_and_b32_e32 v98, 7, v98
	v_lshl_add_u32 v87, v87, 23, 0x3b800000
	v_cndmask_b32_e32 v86, v86, v98, vcc_lo
	v_and_b32_e32 v98, 0x80000000, v23
	v_lshlrev_b32_e32 v86, 20, v86
	v_or3_b32 v98, v98, v87, v86
.LBB6_7247:                             ;   in Loop: Header=BB6_5548 Depth=3
	s_or_b32 exec_lo, exec_lo, s22
	v_cmp_gt_i16_sdwa s22, v19, v61 src0_sel:BYTE_3 src1_sel:DWORD
	s_mov_b32 s16, 0
	s_and_saveexec_b32 s23, s22
	s_xor_b32 s22, exec_lo, s23
	s_cbranch_execz .LBB6_8228
; %bb.7248:                             ;   in Loop: Header=BB6_5548 Depth=3
	v_cmp_eq_u16_sdwa s73, v19, v62 src0_sel:BYTE_3 src1_sel:DWORD
	s_mov_b32 s16, -1
	s_and_saveexec_b32 s23, s73
; %bb.7249:                             ;   in Loop: Header=BB6_5548 Depth=3
	s_xor_b32 s16, exec_lo, -1
; %bb.7250:                             ;   in Loop: Header=BB6_5548 Depth=3
	s_or_b32 exec_lo, exec_lo, s23
	s_and_b32 s16, s16, exec_lo
	s_or_saveexec_b32 s22, s22
	v_mov_b32_e32 v86, 0x7f800001
	s_xor_b32 exec_lo, exec_lo, s22
	s_cbranch_execnz .LBB6_8229
.LBB6_7251:                             ;   in Loop: Header=BB6_5548 Depth=3
	s_or_b32 exec_lo, exec_lo, s22
	s_and_saveexec_b32 s22, s16
	s_cbranch_execz .LBB6_7253
.LBB6_7252:                             ;   in Loop: Header=BB6_5548 Depth=3
	v_bfe_u32 v86, v19, 24, 3
	v_bfe_u32 v112, v19, 27, 4
	v_ffbh_u32_e32 v87, v86
	v_cmp_eq_u32_e32 vcc_lo, 0, v112
	v_min_u32_e32 v87, 32, v87
	v_subrev_nc_u32_e32 v99, 28, v87
	v_sub_nc_u32_e32 v87, 29, v87
	v_lshlrev_b32_sdwa v99, v99, v19 dst_sel:DWORD dst_unused:UNUSED_PAD src0_sel:DWORD src1_sel:BYTE_3
	v_cndmask_b32_e32 v87, v112, v87, vcc_lo
	v_and_b32_e32 v99, 7, v99
	v_lshl_add_u32 v87, v87, 23, 0x3b800000
	v_cndmask_b32_e32 v86, v86, v99, vcc_lo
	v_and_b32_e32 v99, 0x80000000, v19
	v_lshlrev_b32_e32 v86, 20, v86
	v_or3_b32 v86, v99, v87, v86
.LBB6_7253:                             ;   in Loop: Header=BB6_5548 Depth=3
	s_or_b32 exec_lo, exec_lo, s22
	v_max_f32_e32 v86, v86, v86
	v_max_f32_e32 v87, v98, v98
	s_mov_b32 s16, 0
	v_max_f32_e32 v98, v87, v86
.LBB6_7254:                             ;   in Loop: Header=BB6_5548 Depth=3
	s_and_b32 vcc_lo, exec_lo, s16
	s_cbranch_vccz .LBB6_7268
; %bb.7255:                             ;   in Loop: Header=BB6_5548 Depth=3
	v_cmp_gt_i16_sdwa s22, v23, v61 src0_sel:BYTE_3 src1_sel:DWORD
	s_mov_b32 s16, 0
	s_and_saveexec_b32 s23, s22
	s_xor_b32 s22, exec_lo, s23
	s_cbranch_execz .LBB6_8230
; %bb.7256:                             ;   in Loop: Header=BB6_5548 Depth=3
	v_cmp_eq_u16_sdwa s73, v23, v62 src0_sel:BYTE_3 src1_sel:DWORD
	s_mov_b32 s16, -1
	s_and_saveexec_b32 s23, s73
; %bb.7257:                             ;   in Loop: Header=BB6_5548 Depth=3
	s_xor_b32 s16, exec_lo, -1
; %bb.7258:                             ;   in Loop: Header=BB6_5548 Depth=3
	s_or_b32 exec_lo, exec_lo, s23
	s_and_b32 s16, s16, exec_lo
	s_or_saveexec_b32 s22, s22
	v_mov_b32_e32 v98, 0x7f800001
	s_xor_b32 exec_lo, exec_lo, s22
	s_cbranch_execnz .LBB6_8231
.LBB6_7259:                             ;   in Loop: Header=BB6_5548 Depth=3
	s_or_b32 exec_lo, exec_lo, s22
	s_and_saveexec_b32 s22, s16
	s_cbranch_execz .LBB6_7261
.LBB6_7260:                             ;   in Loop: Header=BB6_5548 Depth=3
	v_bfe_u32 v86, v23, 24, 3
	v_bfe_u32 v99, v23, 27, 4
	v_ffbh_u32_e32 v87, v86
	v_cmp_eq_u32_e32 vcc_lo, 0, v99
	v_min_u32_e32 v87, 32, v87
	v_subrev_nc_u32_e32 v98, 28, v87
	v_sub_nc_u32_e32 v87, 29, v87
	v_lshlrev_b32_sdwa v98, v98, v23 dst_sel:DWORD dst_unused:UNUSED_PAD src0_sel:DWORD src1_sel:BYTE_3
	v_cndmask_b32_e32 v87, v99, v87, vcc_lo
	v_and_b32_e32 v23, 0x80000000, v23
	v_and_b32_e32 v98, 7, v98
	v_lshl_add_u32 v87, v87, 23, 0x3b800000
	v_cndmask_b32_e32 v86, v86, v98, vcc_lo
	v_lshlrev_b32_e32 v86, 20, v86
	v_or3_b32 v98, v23, v87, v86
.LBB6_7261:                             ;   in Loop: Header=BB6_5548 Depth=3
	s_or_b32 exec_lo, exec_lo, s22
	v_cmp_gt_i16_sdwa s22, v19, v61 src0_sel:BYTE_3 src1_sel:DWORD
	s_mov_b32 s16, 0
	s_and_saveexec_b32 s23, s22
	s_xor_b32 s22, exec_lo, s23
	s_cbranch_execz .LBB6_8232
; %bb.7262:                             ;   in Loop: Header=BB6_5548 Depth=3
	v_cmp_eq_u16_sdwa s73, v19, v62 src0_sel:BYTE_3 src1_sel:DWORD
	s_mov_b32 s16, -1
	s_and_saveexec_b32 s23, s73
; %bb.7263:                             ;   in Loop: Header=BB6_5548 Depth=3
	s_xor_b32 s16, exec_lo, -1
; %bb.7264:                             ;   in Loop: Header=BB6_5548 Depth=3
	s_or_b32 exec_lo, exec_lo, s23
	s_and_b32 s16, s16, exec_lo
	s_or_saveexec_b32 s22, s22
	v_mov_b32_e32 v23, 0x7f800001
	s_xor_b32 exec_lo, exec_lo, s22
	s_cbranch_execnz .LBB6_8233
.LBB6_7265:                             ;   in Loop: Header=BB6_5548 Depth=3
	s_or_b32 exec_lo, exec_lo, s22
	s_and_saveexec_b32 s22, s16
	s_cbranch_execz .LBB6_7267
.LBB6_7266:                             ;   in Loop: Header=BB6_5548 Depth=3
	v_bfe_u32 v23, v19, 24, 3
	v_bfe_u32 v99, v19, 27, 4
	v_ffbh_u32_e32 v86, v23
	v_cmp_eq_u32_e32 vcc_lo, 0, v99
	v_min_u32_e32 v86, 32, v86
	v_subrev_nc_u32_e32 v87, 28, v86
	v_sub_nc_u32_e32 v86, 29, v86
	v_lshlrev_b32_sdwa v87, v87, v19 dst_sel:DWORD dst_unused:UNUSED_PAD src0_sel:DWORD src1_sel:BYTE_3
	v_cndmask_b32_e32 v86, v99, v86, vcc_lo
	v_and_b32_e32 v19, 0x80000000, v19
	v_and_b32_e32 v87, 7, v87
	v_lshl_add_u32 v86, v86, 23, 0x3b800000
	v_cndmask_b32_e32 v23, v23, v87, vcc_lo
	v_lshlrev_b32_e32 v23, 20, v23
	v_or3_b32 v23, v19, v86, v23
.LBB6_7267:                             ;   in Loop: Header=BB6_5548 Depth=3
	s_or_b32 exec_lo, exec_lo, s22
	v_max_f32_e32 v19, v23, v23
	v_max_f32_e32 v23, v98, v98
	v_min_f32_e32 v98, v23, v19
.LBB6_7268:                             ;   in Loop: Header=BB6_5548 Depth=3
	v_and_b32_e32 v19, 0x7f800000, v98
	v_cmp_ne_u32_e32 vcc_lo, 0x7f800000, v19
	v_mov_b32_e32 v19, 0x8000
	s_and_saveexec_b32 s22, vcc_lo
	s_cbranch_execz .LBB6_7276
; %bb.7269:                             ;   in Loop: Header=BB6_5548 Depth=3
	v_mov_b32_e32 v19, 0
	s_mov_b32 s23, exec_lo
	v_cmpx_ne_u32_e32 0, v98
	s_cbranch_execz .LBB6_7275
; %bb.7270:                             ;   in Loop: Header=BB6_5548 Depth=3
	v_bfe_u32 v23, v98, 23, 8
	v_and_b32_e32 v19, 0x7fffff, v98
                                        ; implicit-def: $vgpr112
	v_cmp_gt_u32_e64 s16, 0x79, v23
	v_sub_nc_u32_e32 v86, 0x78, v23
	v_cmp_eq_u32_e32 vcc_lo, 0, v23
	v_or_b32_e32 v87, 0x800000, v19
	v_cndmask_b32_e64 v86, 0, v86, s16
	v_cndmask_b32_e32 v19, v87, v19, vcc_lo
	v_cndmask_b32_e64 v86, v86, 0x77, vcc_lo
	v_lshl_add_u32 v87, 0x100000, v86, -1
	v_lshlrev_b32_e64 v99, v86, 0x80000
	v_and_b32_e32 v87, v87, v19
	v_cmp_eq_u32_e64 s16, v87, v99
	v_lshrrev_b32_e32 v87, v86, v19
	v_add_nc_u32_e32 v19, 0xffffff89, v23
	v_lshrrev_b32_e32 v23, 23, v87
	v_cndmask_b32_e64 v19, v19, 0xffffff8a, vcc_lo
	v_xor_b32_e32 v23, 1, v23
	v_add_nc_u32_e32 v19, v86, v19
	v_bfe_u32 v86, v87, 20, 1
	v_add_nc_u32_e32 v86, -1, v86
	v_cndmask_b32_e64 v86, 0, v86, s16
	s_mov_b32 s16, exec_lo
	v_add_nc_u32_e32 v86, v86, v87
	v_and_b32_e32 v86, 0xfffff, v86
	v_add_nc_u32_e32 v99, v86, v87
	v_cmpx_ne_u32_e64 v19, v23
	s_xor_b32 s16, exec_lo, s16
; %bb.7271:                             ;   in Loop: Header=BB6_5548 Depth=3
	v_cmp_lt_u32_e32 vcc_lo, 0xffffff, v99
	v_sub_nc_u32_e32 v19, v19, v23
	v_cndmask_b32_e64 v23, 0, 1, vcc_lo
	v_add_co_ci_u32_e64 v112, null, 0, v19, vcc_lo
	v_lshrrev_b32_e32 v99, v23, v99
; %bb.7272:                             ;   in Loop: Header=BB6_5548 Depth=3
	s_andn2_saveexec_b32 s16, s16
; %bb.7273:                             ;   in Loop: Header=BB6_5548 Depth=3
	v_bfe_u32 v112, v99, 23, 1
; %bb.7274:                             ;   in Loop: Header=BB6_5548 Depth=3
	s_or_b32 exec_lo, exec_lo, s16
	v_lshrrev_b32_e32 v23, 20, v99
	v_min_i32_e32 v86, 15, v112
	v_cmp_gt_i32_e32 vcc_lo, 16, v112
	v_and_b32_sdwa v19, v98, v62 dst_sel:DWORD dst_unused:UNUSED_PAD src0_sel:BYTE_3 src1_sel:DWORD
	v_lshlrev_b32_e32 v86, 3, v86
	v_cndmask_b32_e32 v23, 7, v23, vcc_lo
	v_and_b32_e32 v86, 0xf8, v86
	v_or_b32_e32 v87, v112, v23
	v_and_b32_e32 v23, 7, v23
	v_cmp_ne_u32_e32 vcc_lo, 0, v87
	v_or3_b32 v19, v19, v86, v23
	v_lshlrev_b32_e32 v19, 8, v19
	v_cndmask_b32_e32 v19, 0, v19, vcc_lo
.LBB6_7275:                             ;   in Loop: Header=BB6_5548 Depth=3
	s_or_b32 exec_lo, exec_lo, s23
.LBB6_7276:                             ;   in Loop: Header=BB6_5548 Depth=3
	s_or_b32 exec_lo, exec_lo, s22
	v_cmp_gt_i16_sdwa s23, v12, v61 src0_sel:BYTE_0 src1_sel:DWORD
	s_andn2_b32 vcc_lo, exec_lo, s19
	s_mov_b32 s16, -1
                                        ; implicit-def: $vgpr98
	s_cbranch_vccnz .LBB6_7290
; %bb.7277:                             ;   in Loop: Header=BB6_5548 Depth=3
	s_mov_b32 s22, 0
	s_and_saveexec_b32 s16, s23
	s_xor_b32 s16, exec_lo, s16
	s_cbranch_execz .LBB6_8234
; %bb.7278:                             ;   in Loop: Header=BB6_5548 Depth=3
	v_cmp_eq_u16_sdwa s73, v12, v62 src0_sel:BYTE_0 src1_sel:DWORD
	s_mov_b32 s22, -1
	s_and_saveexec_b32 s23, s73
; %bb.7279:                             ;   in Loop: Header=BB6_5548 Depth=3
	s_xor_b32 s22, exec_lo, -1
; %bb.7280:                             ;   in Loop: Header=BB6_5548 Depth=3
	s_or_b32 exec_lo, exec_lo, s23
	s_and_b32 s22, s22, exec_lo
	s_or_saveexec_b32 s16, s16
	v_mov_b32_e32 v23, 0x7f800001
	s_xor_b32 exec_lo, exec_lo, s16
	s_cbranch_execnz .LBB6_8235
.LBB6_7281:                             ;   in Loop: Header=BB6_5548 Depth=3
	s_or_b32 exec_lo, exec_lo, s16
	s_and_saveexec_b32 s16, s22
	s_cbranch_execz .LBB6_7283
.LBB6_7282:                             ;   in Loop: Header=BB6_5548 Depth=3
	v_and_b32_e32 v23, 7, v12
	v_bfe_u32 v86, v12, 3, 4
	v_ffbh_u32_e32 v87, v23
	v_cmp_eq_u32_e32 vcc_lo, 0, v86
	v_min_u32_e32 v87, 32, v87
	v_subrev_nc_u32_e32 v98, 28, v87
	v_sub_nc_u32_e32 v87, 29, v87
	v_lshlrev_b32_e32 v98, v98, v12
	v_cndmask_b32_e32 v86, v86, v87, vcc_lo
	v_lshlrev_b32_e32 v87, 24, v12
	v_and_b32_e32 v98, 7, v98
	v_lshl_add_u32 v86, v86, 23, 0x3b800000
	v_and_b32_e32 v87, 0x80000000, v87
	v_cndmask_b32_e32 v23, v23, v98, vcc_lo
	v_lshlrev_b32_e32 v23, 20, v23
	v_or3_b32 v23, v87, v86, v23
.LBB6_7283:                             ;   in Loop: Header=BB6_5548 Depth=3
	s_or_b32 exec_lo, exec_lo, s16
	s_waitcnt vmcnt(0)
	v_cmp_gt_i16_sdwa s16, v8, v61 src0_sel:BYTE_0 src1_sel:DWORD
	s_mov_b32 s22, 0
	s_and_saveexec_b32 s23, s16
	s_xor_b32 s16, exec_lo, s23
	s_cbranch_execz .LBB6_8236
; %bb.7284:                             ;   in Loop: Header=BB6_5548 Depth=3
	v_cmp_eq_u16_sdwa s73, v8, v62 src0_sel:BYTE_0 src1_sel:DWORD
	s_mov_b32 s22, -1
	s_and_saveexec_b32 s23, s73
; %bb.7285:                             ;   in Loop: Header=BB6_5548 Depth=3
	s_xor_b32 s22, exec_lo, -1
; %bb.7286:                             ;   in Loop: Header=BB6_5548 Depth=3
	s_or_b32 exec_lo, exec_lo, s23
	s_and_b32 s22, s22, exec_lo
	s_or_saveexec_b32 s16, s16
	v_mov_b32_e32 v86, 0x7f800001
	s_xor_b32 exec_lo, exec_lo, s16
	s_cbranch_execnz .LBB6_8237
.LBB6_7287:                             ;   in Loop: Header=BB6_5548 Depth=3
	s_or_b32 exec_lo, exec_lo, s16
	s_and_saveexec_b32 s16, s22
	s_cbranch_execz .LBB6_7289
.LBB6_7288:                             ;   in Loop: Header=BB6_5548 Depth=3
	v_and_b32_e32 v86, 7, v8
	v_bfe_u32 v87, v8, 3, 4
	v_ffbh_u32_e32 v98, v86
	v_cmp_eq_u32_e32 vcc_lo, 0, v87
	v_min_u32_e32 v98, 32, v98
	v_subrev_nc_u32_e32 v99, 28, v98
	v_sub_nc_u32_e32 v98, 29, v98
	v_lshlrev_b32_e32 v99, v99, v8
	v_cndmask_b32_e32 v87, v87, v98, vcc_lo
	v_lshlrev_b32_e32 v98, 24, v8
	v_and_b32_e32 v99, 7, v99
	v_lshl_add_u32 v87, v87, 23, 0x3b800000
	v_and_b32_e32 v98, 0x80000000, v98
	v_cndmask_b32_e32 v86, v86, v99, vcc_lo
	v_lshlrev_b32_e32 v86, 20, v86
	v_or3_b32 v86, v98, v87, v86
.LBB6_7289:                             ;   in Loop: Header=BB6_5548 Depth=3
	s_or_b32 exec_lo, exec_lo, s16
	v_max_f32_e32 v86, v86, v86
	v_max_f32_e32 v23, v23, v23
	s_mov_b32 s16, 0
	v_max_f32_e32 v98, v23, v86
.LBB6_7290:                             ;   in Loop: Header=BB6_5548 Depth=3
	s_and_b32 vcc_lo, exec_lo, s16
	s_cbranch_vccz .LBB6_7304
; %bb.7291:                             ;   in Loop: Header=BB6_5548 Depth=3
	v_cmp_gt_i16_sdwa s16, v12, v61 src0_sel:BYTE_0 src1_sel:DWORD
	s_mov_b32 s22, 0
	s_and_saveexec_b32 s23, s16
	s_xor_b32 s16, exec_lo, s23
	s_cbranch_execz .LBB6_8238
; %bb.7292:                             ;   in Loop: Header=BB6_5548 Depth=3
	v_cmp_eq_u16_sdwa s73, v12, v62 src0_sel:BYTE_0 src1_sel:DWORD
	s_mov_b32 s22, -1
	s_and_saveexec_b32 s23, s73
; %bb.7293:                             ;   in Loop: Header=BB6_5548 Depth=3
	s_xor_b32 s22, exec_lo, -1
; %bb.7294:                             ;   in Loop: Header=BB6_5548 Depth=3
	s_or_b32 exec_lo, exec_lo, s23
	s_and_b32 s22, s22, exec_lo
	s_or_saveexec_b32 s16, s16
	v_mov_b32_e32 v23, 0x7f800001
	s_xor_b32 exec_lo, exec_lo, s16
	s_cbranch_execnz .LBB6_8239
.LBB6_7295:                             ;   in Loop: Header=BB6_5548 Depth=3
	s_or_b32 exec_lo, exec_lo, s16
	s_and_saveexec_b32 s16, s22
	s_cbranch_execz .LBB6_7297
.LBB6_7296:                             ;   in Loop: Header=BB6_5548 Depth=3
	v_and_b32_e32 v23, 7, v12
	v_bfe_u32 v86, v12, 3, 4
	v_ffbh_u32_e32 v87, v23
	v_cmp_eq_u32_e32 vcc_lo, 0, v86
	v_min_u32_e32 v87, 32, v87
	v_subrev_nc_u32_e32 v98, 28, v87
	v_sub_nc_u32_e32 v87, 29, v87
	v_lshlrev_b32_e32 v98, v98, v12
	v_cndmask_b32_e32 v86, v86, v87, vcc_lo
	v_lshlrev_b32_e32 v87, 24, v12
	v_and_b32_e32 v98, 7, v98
	v_lshl_add_u32 v86, v86, 23, 0x3b800000
	v_and_b32_e32 v87, 0x80000000, v87
	v_cndmask_b32_e32 v23, v23, v98, vcc_lo
	v_lshlrev_b32_e32 v23, 20, v23
	v_or3_b32 v23, v87, v86, v23
.LBB6_7297:                             ;   in Loop: Header=BB6_5548 Depth=3
	s_or_b32 exec_lo, exec_lo, s16
	s_waitcnt vmcnt(0)
	v_cmp_gt_i16_sdwa s16, v8, v61 src0_sel:BYTE_0 src1_sel:DWORD
	s_mov_b32 s22, 0
	s_and_saveexec_b32 s23, s16
	s_xor_b32 s16, exec_lo, s23
	s_cbranch_execz .LBB6_8240
; %bb.7298:                             ;   in Loop: Header=BB6_5548 Depth=3
	v_cmp_eq_u16_sdwa s73, v8, v62 src0_sel:BYTE_0 src1_sel:DWORD
	s_mov_b32 s22, -1
	s_and_saveexec_b32 s23, s73
; %bb.7299:                             ;   in Loop: Header=BB6_5548 Depth=3
	s_xor_b32 s22, exec_lo, -1
; %bb.7300:                             ;   in Loop: Header=BB6_5548 Depth=3
	s_or_b32 exec_lo, exec_lo, s23
	s_and_b32 s22, s22, exec_lo
	s_or_saveexec_b32 s16, s16
	v_mov_b32_e32 v86, 0x7f800001
	s_xor_b32 exec_lo, exec_lo, s16
	s_cbranch_execnz .LBB6_8241
.LBB6_7301:                             ;   in Loop: Header=BB6_5548 Depth=3
	s_or_b32 exec_lo, exec_lo, s16
	s_and_saveexec_b32 s16, s22
	s_cbranch_execz .LBB6_7303
.LBB6_7302:                             ;   in Loop: Header=BB6_5548 Depth=3
	v_and_b32_e32 v86, 7, v8
	v_bfe_u32 v87, v8, 3, 4
	v_ffbh_u32_e32 v98, v86
	v_cmp_eq_u32_e32 vcc_lo, 0, v87
	v_min_u32_e32 v98, 32, v98
	v_subrev_nc_u32_e32 v99, 28, v98
	v_sub_nc_u32_e32 v98, 29, v98
	v_lshlrev_b32_e32 v99, v99, v8
	v_cndmask_b32_e32 v87, v87, v98, vcc_lo
	v_lshlrev_b32_e32 v98, 24, v8
	v_and_b32_e32 v99, 7, v99
	v_lshl_add_u32 v87, v87, 23, 0x3b800000
	v_and_b32_e32 v98, 0x80000000, v98
	v_cndmask_b32_e32 v86, v86, v99, vcc_lo
	v_lshlrev_b32_e32 v86, 20, v86
	v_or3_b32 v86, v98, v87, v86
.LBB6_7303:                             ;   in Loop: Header=BB6_5548 Depth=3
	s_or_b32 exec_lo, exec_lo, s16
	v_max_f32_e32 v86, v86, v86
	v_max_f32_e32 v23, v23, v23
	v_min_f32_e32 v98, v23, v86
.LBB6_7304:                             ;   in Loop: Header=BB6_5548 Depth=3
	v_and_b32_e32 v23, 0x7f800000, v98
	v_cmp_ne_u32_e32 vcc_lo, 0x7f800000, v23
	v_mov_b32_e32 v23, 0x80
	s_and_saveexec_b32 s22, vcc_lo
	s_cbranch_execz .LBB6_7312
; %bb.7305:                             ;   in Loop: Header=BB6_5548 Depth=3
	v_mov_b32_e32 v23, 0
	s_mov_b32 s23, exec_lo
	v_cmpx_ne_u32_e32 0, v98
	s_cbranch_execz .LBB6_7311
; %bb.7306:                             ;   in Loop: Header=BB6_5548 Depth=3
	v_bfe_u32 v86, v98, 23, 8
	v_and_b32_e32 v23, 0x7fffff, v98
                                        ; implicit-def: $vgpr113
	v_cmp_gt_u32_e64 s16, 0x79, v86
	v_sub_nc_u32_e32 v87, 0x78, v86
	v_cmp_eq_u32_e32 vcc_lo, 0, v86
	v_or_b32_e32 v99, 0x800000, v23
	v_cndmask_b32_e64 v87, 0, v87, s16
	v_cndmask_b32_e32 v23, v99, v23, vcc_lo
	v_cndmask_b32_e64 v87, v87, 0x77, vcc_lo
	v_lshl_add_u32 v99, 0x100000, v87, -1
	v_lshlrev_b32_e64 v112, v87, 0x80000
	v_and_b32_e32 v99, v99, v23
	v_cmp_eq_u32_e64 s16, v99, v112
	v_lshrrev_b32_e32 v112, v87, v23
	v_add_nc_u32_e32 v23, 0xffffff89, v86
	v_lshrrev_b32_e32 v86, 23, v112
	v_cndmask_b32_e64 v23, v23, 0xffffff8a, vcc_lo
	v_xor_b32_e32 v99, 1, v86
	v_bfe_u32 v86, v112, 20, 1
	v_add_nc_u32_e32 v23, v87, v23
	v_add_nc_u32_e32 v86, -1, v86
	v_cndmask_b32_e64 v86, 0, v86, s16
	s_mov_b32 s16, exec_lo
	v_add_nc_u32_e32 v86, v86, v112
	v_and_b32_e32 v86, 0xfffff, v86
	v_add_nc_u32_e32 v112, v86, v112
	v_cmpx_ne_u32_e64 v23, v99
	s_xor_b32 s16, exec_lo, s16
; %bb.7307:                             ;   in Loop: Header=BB6_5548 Depth=3
	v_cmp_lt_u32_e32 vcc_lo, 0xffffff, v112
	v_sub_nc_u32_e32 v23, v23, v99
	v_cndmask_b32_e64 v86, 0, 1, vcc_lo
	v_add_co_ci_u32_e64 v113, null, 0, v23, vcc_lo
	v_lshrrev_b32_e32 v112, v86, v112
; %bb.7308:                             ;   in Loop: Header=BB6_5548 Depth=3
	s_andn2_saveexec_b32 s16, s16
; %bb.7309:                             ;   in Loop: Header=BB6_5548 Depth=3
	v_bfe_u32 v113, v112, 23, 1
; %bb.7310:                             ;   in Loop: Header=BB6_5548 Depth=3
	s_or_b32 exec_lo, exec_lo, s16
	v_lshrrev_b32_e32 v86, 20, v112
	v_min_i32_e32 v87, 15, v113
	v_cmp_gt_i32_e32 vcc_lo, 16, v113
	v_and_b32_sdwa v23, v98, v62 dst_sel:DWORD dst_unused:UNUSED_PAD src0_sel:BYTE_3 src1_sel:DWORD
	v_lshlrev_b32_e32 v87, 3, v87
	v_cndmask_b32_e32 v86, 7, v86, vcc_lo
	v_and_b32_e32 v87, 0xf8, v87
	v_or_b32_e32 v98, v113, v86
	v_and_b32_e32 v86, 7, v86
	v_cmp_ne_u32_e32 vcc_lo, 0, v98
	v_or3_b32 v23, v87, v23, v86
	v_cndmask_b32_e32 v23, 0, v23, vcc_lo
.LBB6_7311:                             ;   in Loop: Header=BB6_5548 Depth=3
	s_or_b32 exec_lo, exec_lo, s23
.LBB6_7312:                             ;   in Loop: Header=BB6_5548 Depth=3
	s_or_b32 exec_lo, exec_lo, s22
	v_cmp_gt_i16_sdwa s22, v12, v61 src0_sel:BYTE_1 src1_sel:DWORD
	s_andn2_b32 vcc_lo, exec_lo, s19
	s_mov_b32 s16, -1
                                        ; implicit-def: $vgpr98
	s_cbranch_vccnz .LBB6_7326
; %bb.7313:                             ;   in Loop: Header=BB6_5548 Depth=3
	s_mov_b32 s16, 0
	s_and_saveexec_b32 s23, s22
	s_xor_b32 s22, exec_lo, s23
	s_cbranch_execz .LBB6_8242
; %bb.7314:                             ;   in Loop: Header=BB6_5548 Depth=3
	v_cmp_eq_u16_sdwa s73, v12, v62 src0_sel:BYTE_1 src1_sel:DWORD
	s_mov_b32 s16, -1
	s_and_saveexec_b32 s23, s73
; %bb.7315:                             ;   in Loop: Header=BB6_5548 Depth=3
	s_xor_b32 s16, exec_lo, -1
; %bb.7316:                             ;   in Loop: Header=BB6_5548 Depth=3
	s_or_b32 exec_lo, exec_lo, s23
	s_and_b32 s16, s16, exec_lo
	s_or_saveexec_b32 s22, s22
	v_mov_b32_e32 v98, 0x7f800001
	s_xor_b32 exec_lo, exec_lo, s22
	s_cbranch_execnz .LBB6_8243
.LBB6_7317:                             ;   in Loop: Header=BB6_5548 Depth=3
	s_or_b32 exec_lo, exec_lo, s22
	s_and_saveexec_b32 s22, s16
	s_cbranch_execz .LBB6_7319
.LBB6_7318:                             ;   in Loop: Header=BB6_5548 Depth=3
	v_and_b32_sdwa v86, v63, v12 dst_sel:DWORD dst_unused:UNUSED_PAD src0_sel:DWORD src1_sel:BYTE_1
	v_and_b32_e32 v87, 7, v86
	v_bfe_u32 v112, v86, 3, 4
	v_ffbh_u32_e32 v98, v87
	v_cmp_eq_u32_e32 vcc_lo, 0, v112
	v_min_u32_e32 v98, 32, v98
	v_subrev_nc_u32_e32 v99, 28, v98
	v_sub_nc_u32_e32 v98, 29, v98
	v_lshlrev_b32_e32 v86, v99, v86
	v_lshlrev_b32_e32 v99, 16, v12
	v_cndmask_b32_e32 v98, v112, v98, vcc_lo
	v_and_b32_e32 v86, 7, v86
	v_lshl_add_u32 v98, v98, 23, 0x3b800000
	v_cndmask_b32_e32 v86, v87, v86, vcc_lo
	v_and_b32_e32 v87, 0x80000000, v99
	v_lshlrev_b32_e32 v86, 20, v86
	v_or3_b32 v98, v87, v98, v86
.LBB6_7319:                             ;   in Loop: Header=BB6_5548 Depth=3
	s_or_b32 exec_lo, exec_lo, s22
	s_waitcnt vmcnt(0)
	v_cmp_gt_i16_sdwa s22, v8, v61 src0_sel:BYTE_1 src1_sel:DWORD
	s_mov_b32 s16, 0
	s_and_saveexec_b32 s23, s22
	s_xor_b32 s22, exec_lo, s23
	s_cbranch_execz .LBB6_8244
; %bb.7320:                             ;   in Loop: Header=BB6_5548 Depth=3
	v_cmp_eq_u16_sdwa s73, v8, v62 src0_sel:BYTE_1 src1_sel:DWORD
	s_mov_b32 s16, -1
	s_and_saveexec_b32 s23, s73
; %bb.7321:                             ;   in Loop: Header=BB6_5548 Depth=3
	s_xor_b32 s16, exec_lo, -1
; %bb.7322:                             ;   in Loop: Header=BB6_5548 Depth=3
	s_or_b32 exec_lo, exec_lo, s23
	s_and_b32 s16, s16, exec_lo
	s_or_saveexec_b32 s22, s22
	v_mov_b32_e32 v86, 0x7f800001
	s_xor_b32 exec_lo, exec_lo, s22
	s_cbranch_execnz .LBB6_8245
.LBB6_7323:                             ;   in Loop: Header=BB6_5548 Depth=3
	s_or_b32 exec_lo, exec_lo, s22
	s_and_saveexec_b32 s22, s16
	s_cbranch_execz .LBB6_7325
.LBB6_7324:                             ;   in Loop: Header=BB6_5548 Depth=3
	v_and_b32_sdwa v86, v63, v8 dst_sel:DWORD dst_unused:UNUSED_PAD src0_sel:DWORD src1_sel:BYTE_1
	v_and_b32_e32 v87, 7, v86
	v_bfe_u32 v113, v86, 3, 4
	v_ffbh_u32_e32 v99, v87
	v_cmp_eq_u32_e32 vcc_lo, 0, v113
	v_min_u32_e32 v99, 32, v99
	v_subrev_nc_u32_e32 v112, 28, v99
	v_sub_nc_u32_e32 v99, 29, v99
	v_lshlrev_b32_e32 v86, v112, v86
	v_lshlrev_b32_e32 v112, 16, v8
	v_cndmask_b32_e32 v99, v113, v99, vcc_lo
	v_and_b32_e32 v86, 7, v86
	v_lshl_add_u32 v99, v99, 23, 0x3b800000
	v_cndmask_b32_e32 v86, v87, v86, vcc_lo
	v_and_b32_e32 v87, 0x80000000, v112
	v_lshlrev_b32_e32 v86, 20, v86
	v_or3_b32 v86, v87, v99, v86
.LBB6_7325:                             ;   in Loop: Header=BB6_5548 Depth=3
	s_or_b32 exec_lo, exec_lo, s22
	v_max_f32_e32 v86, v86, v86
	v_max_f32_e32 v87, v98, v98
	s_mov_b32 s16, 0
	v_max_f32_e32 v98, v87, v86
.LBB6_7326:                             ;   in Loop: Header=BB6_5548 Depth=3
	s_and_b32 vcc_lo, exec_lo, s16
	s_cbranch_vccz .LBB6_7340
; %bb.7327:                             ;   in Loop: Header=BB6_5548 Depth=3
	v_cmp_gt_i16_sdwa s22, v12, v61 src0_sel:BYTE_1 src1_sel:DWORD
	s_mov_b32 s16, 0
	s_and_saveexec_b32 s23, s22
	s_xor_b32 s22, exec_lo, s23
	s_cbranch_execz .LBB6_8246
; %bb.7328:                             ;   in Loop: Header=BB6_5548 Depth=3
	v_cmp_eq_u16_sdwa s73, v12, v62 src0_sel:BYTE_1 src1_sel:DWORD
	s_mov_b32 s16, -1
	s_and_saveexec_b32 s23, s73
; %bb.7329:                             ;   in Loop: Header=BB6_5548 Depth=3
	s_xor_b32 s16, exec_lo, -1
; %bb.7330:                             ;   in Loop: Header=BB6_5548 Depth=3
	s_or_b32 exec_lo, exec_lo, s23
	s_and_b32 s16, s16, exec_lo
	s_or_saveexec_b32 s22, s22
	v_mov_b32_e32 v98, 0x7f800001
	s_xor_b32 exec_lo, exec_lo, s22
	s_cbranch_execnz .LBB6_8247
.LBB6_7331:                             ;   in Loop: Header=BB6_5548 Depth=3
	s_or_b32 exec_lo, exec_lo, s22
	s_and_saveexec_b32 s22, s16
	s_cbranch_execz .LBB6_7333
.LBB6_7332:                             ;   in Loop: Header=BB6_5548 Depth=3
	v_and_b32_sdwa v86, v63, v12 dst_sel:DWORD dst_unused:UNUSED_PAD src0_sel:DWORD src1_sel:BYTE_1
	v_and_b32_e32 v87, 7, v86
	v_bfe_u32 v112, v86, 3, 4
	v_ffbh_u32_e32 v98, v87
	v_cmp_eq_u32_e32 vcc_lo, 0, v112
	v_min_u32_e32 v98, 32, v98
	v_subrev_nc_u32_e32 v99, 28, v98
	v_sub_nc_u32_e32 v98, 29, v98
	v_lshlrev_b32_e32 v86, v99, v86
	v_lshlrev_b32_e32 v99, 16, v12
	v_cndmask_b32_e32 v98, v112, v98, vcc_lo
	v_and_b32_e32 v86, 7, v86
	v_lshl_add_u32 v98, v98, 23, 0x3b800000
	v_cndmask_b32_e32 v86, v87, v86, vcc_lo
	v_and_b32_e32 v87, 0x80000000, v99
	v_lshlrev_b32_e32 v86, 20, v86
	v_or3_b32 v98, v87, v98, v86
.LBB6_7333:                             ;   in Loop: Header=BB6_5548 Depth=3
	s_or_b32 exec_lo, exec_lo, s22
	s_waitcnt vmcnt(0)
	v_cmp_gt_i16_sdwa s22, v8, v61 src0_sel:BYTE_1 src1_sel:DWORD
	s_mov_b32 s16, 0
	s_and_saveexec_b32 s23, s22
	s_xor_b32 s22, exec_lo, s23
	s_cbranch_execz .LBB6_8248
; %bb.7334:                             ;   in Loop: Header=BB6_5548 Depth=3
	v_cmp_eq_u16_sdwa s73, v8, v62 src0_sel:BYTE_1 src1_sel:DWORD
	s_mov_b32 s16, -1
	s_and_saveexec_b32 s23, s73
; %bb.7335:                             ;   in Loop: Header=BB6_5548 Depth=3
	s_xor_b32 s16, exec_lo, -1
; %bb.7336:                             ;   in Loop: Header=BB6_5548 Depth=3
	s_or_b32 exec_lo, exec_lo, s23
	s_and_b32 s16, s16, exec_lo
	s_or_saveexec_b32 s22, s22
	v_mov_b32_e32 v86, 0x7f800001
	s_xor_b32 exec_lo, exec_lo, s22
	s_cbranch_execnz .LBB6_8249
.LBB6_7337:                             ;   in Loop: Header=BB6_5548 Depth=3
	s_or_b32 exec_lo, exec_lo, s22
	s_and_saveexec_b32 s22, s16
	s_cbranch_execz .LBB6_7339
.LBB6_7338:                             ;   in Loop: Header=BB6_5548 Depth=3
	v_and_b32_sdwa v86, v63, v8 dst_sel:DWORD dst_unused:UNUSED_PAD src0_sel:DWORD src1_sel:BYTE_1
	v_and_b32_e32 v87, 7, v86
	v_bfe_u32 v113, v86, 3, 4
	v_ffbh_u32_e32 v99, v87
	v_cmp_eq_u32_e32 vcc_lo, 0, v113
	v_min_u32_e32 v99, 32, v99
	v_subrev_nc_u32_e32 v112, 28, v99
	v_sub_nc_u32_e32 v99, 29, v99
	v_lshlrev_b32_e32 v86, v112, v86
	v_lshlrev_b32_e32 v112, 16, v8
	v_cndmask_b32_e32 v99, v113, v99, vcc_lo
	v_and_b32_e32 v86, 7, v86
	v_lshl_add_u32 v99, v99, 23, 0x3b800000
	v_cndmask_b32_e32 v86, v87, v86, vcc_lo
	v_and_b32_e32 v87, 0x80000000, v112
	v_lshlrev_b32_e32 v86, 20, v86
	v_or3_b32 v86, v87, v99, v86
.LBB6_7339:                             ;   in Loop: Header=BB6_5548 Depth=3
	s_or_b32 exec_lo, exec_lo, s22
	v_max_f32_e32 v86, v86, v86
	v_max_f32_e32 v87, v98, v98
	v_min_f32_e32 v98, v87, v86
.LBB6_7340:                             ;   in Loop: Header=BB6_5548 Depth=3
	v_and_b32_e32 v86, 0x7f800000, v98
	v_mov_b32_e32 v108, 0x8000
	s_mov_b32 s22, exec_lo
	v_cmpx_ne_u32_e32 0x7f800000, v86
	s_cbranch_execz .LBB6_7348
; %bb.7341:                             ;   in Loop: Header=BB6_5548 Depth=3
	v_mov_b32_e32 v108, 0
	s_mov_b32 s23, exec_lo
	v_cmpx_ne_u32_e32 0, v98
	s_cbranch_execz .LBB6_7347
; %bb.7342:                             ;   in Loop: Header=BB6_5548 Depth=3
	v_bfe_u32 v87, v98, 23, 8
	v_and_b32_e32 v86, 0x7fffff, v98
                                        ; implicit-def: $vgpr46
	v_cmp_gt_u32_e64 s16, 0x79, v87
	v_sub_nc_u32_e32 v99, 0x78, v87
	v_cmp_eq_u32_e32 vcc_lo, 0, v87
	v_or_b32_e32 v112, 0x800000, v86
	v_add_nc_u32_e32 v87, 0xffffff89, v87
	v_cndmask_b32_e64 v99, 0, v99, s16
	v_cndmask_b32_e32 v86, v112, v86, vcc_lo
	v_cndmask_b32_e64 v87, v87, 0xffffff8a, vcc_lo
	v_cndmask_b32_e64 v99, v99, 0x77, vcc_lo
	v_lshl_add_u32 v112, 0x100000, v99, -1
	v_lshlrev_b32_e64 v113, v99, 0x80000
	v_and_b32_e32 v112, v112, v86
	v_lshrrev_b32_e32 v86, v99, v86
	v_add_nc_u32_e32 v99, v99, v87
	v_cmp_eq_u32_e64 s16, v112, v113
	v_lshrrev_b32_e32 v87, 23, v86
	v_xor_b32_e32 v112, 1, v87
	v_bfe_u32 v87, v86, 20, 1
	v_add_nc_u32_e32 v87, -1, v87
	v_cndmask_b32_e64 v87, 0, v87, s16
	s_mov_b32 s16, exec_lo
	v_add_nc_u32_e32 v87, v87, v86
	v_and_b32_e32 v87, 0xfffff, v87
	v_add_nc_u32_e32 v113, v87, v86
	v_cmpx_ne_u32_e64 v99, v112
	s_xor_b32 s16, exec_lo, s16
; %bb.7343:                             ;   in Loop: Header=BB6_5548 Depth=3
	v_cmp_lt_u32_e32 vcc_lo, 0xffffff, v113
	v_sub_nc_u32_e32 v86, v99, v112
	v_cndmask_b32_e64 v87, 0, 1, vcc_lo
	v_add_co_ci_u32_e64 v46, null, 0, v86, vcc_lo
	v_lshrrev_b32_e32 v113, v87, v113
; %bb.7344:                             ;   in Loop: Header=BB6_5548 Depth=3
	s_andn2_saveexec_b32 s16, s16
; %bb.7345:                             ;   in Loop: Header=BB6_5548 Depth=3
	v_bfe_u32 v46, v113, 23, 1
; %bb.7346:                             ;   in Loop: Header=BB6_5548 Depth=3
	s_or_b32 exec_lo, exec_lo, s16
	v_and_b32_sdwa v86, v98, v62 dst_sel:DWORD dst_unused:UNUSED_PAD src0_sel:BYTE_3 src1_sel:DWORD
	v_lshrrev_b32_e32 v87, 20, v113
	v_min_i32_e32 v98, 15, v46
	v_cmp_gt_i32_e32 vcc_lo, 16, v46
	v_lshlrev_b32_e32 v98, 3, v98
	v_cndmask_b32_e32 v87, 7, v87, vcc_lo
	v_and_b32_e32 v98, 0xf8, v98
	v_or_b32_e32 v99, v46, v87
	v_and_b32_e32 v87, 7, v87
	v_cmp_ne_u32_e32 vcc_lo, 0, v99
	v_or3_b32 v86, v86, v98, v87
	v_lshlrev_b32_e32 v86, 8, v86
	v_cndmask_b32_e32 v108, 0, v86, vcc_lo
.LBB6_7347:                             ;   in Loop: Header=BB6_5548 Depth=3
	s_or_b32 exec_lo, exec_lo, s23
.LBB6_7348:                             ;   in Loop: Header=BB6_5548 Depth=3
	s_or_b32 exec_lo, exec_lo, s22
	v_and_b32_sdwa v98, v12, v72 dst_sel:DWORD dst_unused:UNUSED_PAD src0_sel:WORD_1 src1_sel:DWORD
	s_andn2_b32 vcc_lo, exec_lo, s19
	s_mov_b32 s22, -1
                                        ; implicit-def: $vgpr99
	v_cmp_lt_i16_e64 s16, 0x7f, v98
	s_cbranch_vccnz .LBB6_7362
; %bb.7349:                             ;   in Loop: Header=BB6_5548 Depth=3
	s_mov_b32 s22, 0
	s_and_saveexec_b32 s23, s16
	s_xor_b32 s16, exec_lo, s23
	s_cbranch_execz .LBB6_8250
; %bb.7350:                             ;   in Loop: Header=BB6_5548 Depth=3
	s_mov_b32 s22, -1
	s_mov_b32 s23, exec_lo
	v_cmpx_eq_u16_e32 0x80, v98
; %bb.7351:                             ;   in Loop: Header=BB6_5548 Depth=3
	s_xor_b32 s22, exec_lo, -1
; %bb.7352:                             ;   in Loop: Header=BB6_5548 Depth=3
	s_or_b32 exec_lo, exec_lo, s23
	s_and_b32 s22, s22, exec_lo
	s_or_saveexec_b32 s16, s16
	v_mov_b32_e32 v99, 0x7f800001
	s_xor_b32 exec_lo, exec_lo, s16
	s_cbranch_execnz .LBB6_8251
.LBB6_7353:                             ;   in Loop: Header=BB6_5548 Depth=3
	s_or_b32 exec_lo, exec_lo, s16
	s_and_saveexec_b32 s16, s22
	s_cbranch_execz .LBB6_7355
.LBB6_7354:                             ;   in Loop: Header=BB6_5548 Depth=3
	v_bfe_u32 v86, v12, 16, 3
	v_bfe_u32 v87, v12, 19, 4
	v_ffbh_u32_e32 v99, v86
	v_cmp_eq_u32_e32 vcc_lo, 0, v87
	v_min_u32_e32 v99, 32, v99
	v_subrev_nc_u32_e32 v112, 28, v99
	v_sub_nc_u32_e32 v99, 29, v99
	v_lshlrev_b32_sdwa v112, v112, v12 dst_sel:DWORD dst_unused:UNUSED_PAD src0_sel:DWORD src1_sel:WORD_1
	v_cndmask_b32_e32 v87, v87, v99, vcc_lo
	v_lshlrev_b32_sdwa v99, v73, v12 dst_sel:DWORD dst_unused:UNUSED_PAD src0_sel:DWORD src1_sel:WORD_1
	v_and_b32_e32 v112, 7, v112
	v_lshl_add_u32 v87, v87, 23, 0x3b800000
	v_and_b32_e32 v99, 0x80000000, v99
	v_cndmask_b32_e32 v86, v86, v112, vcc_lo
	v_lshlrev_b32_e32 v86, 20, v86
	v_or3_b32 v99, v99, v87, v86
.LBB6_7355:                             ;   in Loop: Header=BB6_5548 Depth=3
	s_or_b32 exec_lo, exec_lo, s16
	s_waitcnt vmcnt(0)
	v_and_b32_sdwa v87, v8, v72 dst_sel:DWORD dst_unused:UNUSED_PAD src0_sel:WORD_1 src1_sel:DWORD
	s_mov_b32 s22, 0
	s_mov_b32 s16, exec_lo
	v_cmpx_lt_i16_e32 0x7f, v87
	s_xor_b32 s16, exec_lo, s16
	s_cbranch_execz .LBB6_8252
; %bb.7356:                             ;   in Loop: Header=BB6_5548 Depth=3
	s_mov_b32 s22, -1
	s_mov_b32 s23, exec_lo
	v_cmpx_eq_u16_e32 0x80, v87
; %bb.7357:                             ;   in Loop: Header=BB6_5548 Depth=3
	s_xor_b32 s22, exec_lo, -1
; %bb.7358:                             ;   in Loop: Header=BB6_5548 Depth=3
	s_or_b32 exec_lo, exec_lo, s23
	s_and_b32 s22, s22, exec_lo
                                        ; implicit-def: $vgpr87
	s_or_saveexec_b32 s16, s16
	v_mov_b32_e32 v86, 0x7f800001
	s_xor_b32 exec_lo, exec_lo, s16
	s_cbranch_execnz .LBB6_8253
.LBB6_7359:                             ;   in Loop: Header=BB6_5548 Depth=3
	s_or_b32 exec_lo, exec_lo, s16
	s_and_saveexec_b32 s16, s22
	s_cbranch_execz .LBB6_7361
.LBB6_7360:                             ;   in Loop: Header=BB6_5548 Depth=3
	v_bfe_u32 v86, v8, 16, 3
	v_bfe_u32 v87, v8, 19, 4
	v_ffbh_u32_e32 v112, v86
	v_cmp_eq_u32_e32 vcc_lo, 0, v87
	v_min_u32_e32 v112, 32, v112
	v_subrev_nc_u32_e32 v113, 28, v112
	v_sub_nc_u32_e32 v112, 29, v112
	v_lshlrev_b32_sdwa v113, v113, v8 dst_sel:DWORD dst_unused:UNUSED_PAD src0_sel:DWORD src1_sel:WORD_1
	v_cndmask_b32_e32 v87, v87, v112, vcc_lo
	v_lshlrev_b32_sdwa v112, v73, v8 dst_sel:DWORD dst_unused:UNUSED_PAD src0_sel:DWORD src1_sel:WORD_1
	v_and_b32_e32 v113, 7, v113
	v_lshl_add_u32 v87, v87, 23, 0x3b800000
	v_and_b32_e32 v112, 0x80000000, v112
	v_cndmask_b32_e32 v86, v86, v113, vcc_lo
	v_lshlrev_b32_e32 v86, 20, v86
	v_or3_b32 v86, v112, v87, v86
.LBB6_7361:                             ;   in Loop: Header=BB6_5548 Depth=3
	s_or_b32 exec_lo, exec_lo, s16
	v_max_f32_e32 v86, v86, v86
	v_max_f32_e32 v87, v99, v99
	s_mov_b32 s22, 0
	v_max_f32_e32 v99, v87, v86
.LBB6_7362:                             ;   in Loop: Header=BB6_5548 Depth=3
	s_and_b32 vcc_lo, exec_lo, s22
	s_cbranch_vccz .LBB6_7376
; %bb.7363:                             ;   in Loop: Header=BB6_5548 Depth=3
	s_mov_b32 s22, 0
	s_mov_b32 s16, exec_lo
	v_cmpx_lt_i16_e32 0x7f, v98
	s_xor_b32 s16, exec_lo, s16
	s_cbranch_execz .LBB6_8254
; %bb.7364:                             ;   in Loop: Header=BB6_5548 Depth=3
	s_mov_b32 s22, -1
	s_mov_b32 s23, exec_lo
	v_cmpx_eq_u16_e32 0x80, v98
; %bb.7365:                             ;   in Loop: Header=BB6_5548 Depth=3
	s_xor_b32 s22, exec_lo, -1
; %bb.7366:                             ;   in Loop: Header=BB6_5548 Depth=3
	s_or_b32 exec_lo, exec_lo, s23
	s_and_b32 s22, s22, exec_lo
                                        ; implicit-def: $vgpr98
	s_or_saveexec_b32 s16, s16
	v_mov_b32_e32 v99, 0x7f800001
	s_xor_b32 exec_lo, exec_lo, s16
	s_cbranch_execnz .LBB6_8255
.LBB6_7367:                             ;   in Loop: Header=BB6_5548 Depth=3
	s_or_b32 exec_lo, exec_lo, s16
	s_and_saveexec_b32 s16, s22
	s_cbranch_execz .LBB6_7369
.LBB6_7368:                             ;   in Loop: Header=BB6_5548 Depth=3
	v_bfe_u32 v86, v12, 16, 3
	v_bfe_u32 v87, v12, 19, 4
	v_ffbh_u32_e32 v98, v86
	v_cmp_eq_u32_e32 vcc_lo, 0, v87
	v_min_u32_e32 v98, 32, v98
	v_subrev_nc_u32_e32 v99, 28, v98
	v_sub_nc_u32_e32 v98, 29, v98
	v_lshlrev_b32_sdwa v99, v99, v12 dst_sel:DWORD dst_unused:UNUSED_PAD src0_sel:DWORD src1_sel:WORD_1
	v_cndmask_b32_e32 v87, v87, v98, vcc_lo
	v_lshlrev_b32_sdwa v98, v73, v12 dst_sel:DWORD dst_unused:UNUSED_PAD src0_sel:DWORD src1_sel:WORD_1
	v_and_b32_e32 v99, 7, v99
	v_lshl_add_u32 v87, v87, 23, 0x3b800000
	v_and_b32_e32 v98, 0x80000000, v98
	v_cndmask_b32_e32 v86, v86, v99, vcc_lo
	v_lshlrev_b32_e32 v86, 20, v86
	v_or3_b32 v99, v98, v87, v86
.LBB6_7369:                             ;   in Loop: Header=BB6_5548 Depth=3
	s_or_b32 exec_lo, exec_lo, s16
	s_waitcnt vmcnt(0)
	v_and_b32_sdwa v87, v8, v72 dst_sel:DWORD dst_unused:UNUSED_PAD src0_sel:WORD_1 src1_sel:DWORD
	s_mov_b32 s22, 0
	s_mov_b32 s16, exec_lo
	v_cmpx_lt_i16_e32 0x7f, v87
	s_xor_b32 s16, exec_lo, s16
	s_cbranch_execz .LBB6_8256
; %bb.7370:                             ;   in Loop: Header=BB6_5548 Depth=3
	s_mov_b32 s22, -1
	s_mov_b32 s23, exec_lo
	v_cmpx_eq_u16_e32 0x80, v87
; %bb.7371:                             ;   in Loop: Header=BB6_5548 Depth=3
	s_xor_b32 s22, exec_lo, -1
; %bb.7372:                             ;   in Loop: Header=BB6_5548 Depth=3
	s_or_b32 exec_lo, exec_lo, s23
	s_and_b32 s22, s22, exec_lo
                                        ; implicit-def: $vgpr87
	s_or_saveexec_b32 s16, s16
	v_mov_b32_e32 v86, 0x7f800001
	s_xor_b32 exec_lo, exec_lo, s16
	s_cbranch_execnz .LBB6_8257
.LBB6_7373:                             ;   in Loop: Header=BB6_5548 Depth=3
	s_or_b32 exec_lo, exec_lo, s16
	s_and_saveexec_b32 s16, s22
	s_cbranch_execz .LBB6_7375
.LBB6_7374:                             ;   in Loop: Header=BB6_5548 Depth=3
	v_bfe_u32 v86, v8, 16, 3
	v_bfe_u32 v87, v8, 19, 4
	v_ffbh_u32_e32 v98, v86
	v_cmp_eq_u32_e32 vcc_lo, 0, v87
	v_min_u32_e32 v98, 32, v98
	v_subrev_nc_u32_e32 v112, 28, v98
	v_sub_nc_u32_e32 v98, 29, v98
	v_lshlrev_b32_sdwa v112, v112, v8 dst_sel:DWORD dst_unused:UNUSED_PAD src0_sel:DWORD src1_sel:WORD_1
	v_cndmask_b32_e32 v87, v87, v98, vcc_lo
	v_lshlrev_b32_sdwa v98, v73, v8 dst_sel:DWORD dst_unused:UNUSED_PAD src0_sel:DWORD src1_sel:WORD_1
	v_and_b32_e32 v112, 7, v112
	v_lshl_add_u32 v87, v87, 23, 0x3b800000
	v_and_b32_e32 v98, 0x80000000, v98
	v_cndmask_b32_e32 v86, v86, v112, vcc_lo
	v_lshlrev_b32_e32 v86, 20, v86
	v_or3_b32 v86, v98, v87, v86
.LBB6_7375:                             ;   in Loop: Header=BB6_5548 Depth=3
	s_or_b32 exec_lo, exec_lo, s16
	v_max_f32_e32 v86, v86, v86
	v_max_f32_e32 v87, v99, v99
	v_min_f32_e32 v99, v87, v86
.LBB6_7376:                             ;   in Loop: Header=BB6_5548 Depth=3
	v_and_b32_e32 v86, 0x7f800000, v99
	v_mov_b32_e32 v57, 0x80
	s_mov_b32 s22, exec_lo
	v_cmpx_ne_u32_e32 0x7f800000, v86
	s_cbranch_execz .LBB6_7384
; %bb.7377:                             ;   in Loop: Header=BB6_5548 Depth=3
	v_mov_b32_e32 v57, 0
	s_mov_b32 s23, exec_lo
	v_cmpx_ne_u32_e32 0, v99
	s_cbranch_execz .LBB6_7383
; %bb.7378:                             ;   in Loop: Header=BB6_5548 Depth=3
	v_bfe_u32 v87, v99, 23, 8
	v_and_b32_e32 v86, 0x7fffff, v99
                                        ; implicit-def: $vgpr46
	v_cmp_gt_u32_e64 s16, 0x79, v87
	v_sub_nc_u32_e32 v98, 0x78, v87
	v_cmp_eq_u32_e32 vcc_lo, 0, v87
	v_or_b32_e32 v112, 0x800000, v86
	v_add_nc_u32_e32 v87, 0xffffff89, v87
	v_cndmask_b32_e64 v98, 0, v98, s16
	v_cndmask_b32_e32 v86, v112, v86, vcc_lo
	v_cndmask_b32_e64 v87, v87, 0xffffff8a, vcc_lo
	v_cndmask_b32_e64 v98, v98, 0x77, vcc_lo
	v_lshl_add_u32 v112, 0x100000, v98, -1
	v_lshlrev_b32_e64 v113, v98, 0x80000
	v_and_b32_e32 v112, v112, v86
	v_lshrrev_b32_e32 v86, v98, v86
	v_add_nc_u32_e32 v98, v98, v87
	v_cmp_eq_u32_e64 s16, v112, v113
	v_lshrrev_b32_e32 v87, 23, v86
	v_xor_b32_e32 v112, 1, v87
	v_bfe_u32 v87, v86, 20, 1
	v_add_nc_u32_e32 v87, -1, v87
	v_cndmask_b32_e64 v87, 0, v87, s16
	s_mov_b32 s16, exec_lo
	v_add_nc_u32_e32 v87, v87, v86
	v_and_b32_e32 v87, 0xfffff, v87
	v_add_nc_u32_e32 v113, v87, v86
	v_cmpx_ne_u32_e64 v98, v112
	s_xor_b32 s16, exec_lo, s16
; %bb.7379:                             ;   in Loop: Header=BB6_5548 Depth=3
	v_cmp_lt_u32_e32 vcc_lo, 0xffffff, v113
	v_sub_nc_u32_e32 v86, v98, v112
	v_cndmask_b32_e64 v87, 0, 1, vcc_lo
	v_add_co_ci_u32_e64 v46, null, 0, v86, vcc_lo
	v_lshrrev_b32_e32 v113, v87, v113
; %bb.7380:                             ;   in Loop: Header=BB6_5548 Depth=3
	s_andn2_saveexec_b32 s16, s16
; %bb.7381:                             ;   in Loop: Header=BB6_5548 Depth=3
	v_bfe_u32 v46, v113, 23, 1
; %bb.7382:                             ;   in Loop: Header=BB6_5548 Depth=3
	s_or_b32 exec_lo, exec_lo, s16
	v_lshrrev_b32_e32 v87, 20, v113
	v_min_i32_e32 v98, 15, v46
	v_cmp_gt_i32_e32 vcc_lo, 16, v46
	v_and_b32_sdwa v86, v99, v62 dst_sel:DWORD dst_unused:UNUSED_PAD src0_sel:BYTE_3 src1_sel:DWORD
	v_lshlrev_b32_e32 v98, 3, v98
	v_cndmask_b32_e32 v87, 7, v87, vcc_lo
	v_and_b32_e32 v98, 0xf8, v98
	v_or_b32_e32 v99, v46, v87
	v_and_b32_e32 v87, 7, v87
	v_cmp_ne_u32_e32 vcc_lo, 0, v99
	v_or3_b32 v86, v98, v86, v87
	v_cndmask_b32_e32 v57, 0, v86, vcc_lo
.LBB6_7383:                             ;   in Loop: Header=BB6_5548 Depth=3
	s_or_b32 exec_lo, exec_lo, s23
.LBB6_7384:                             ;   in Loop: Header=BB6_5548 Depth=3
	s_or_b32 exec_lo, exec_lo, s22
	v_cmp_gt_i16_sdwa s22, v12, v61 src0_sel:BYTE_3 src1_sel:DWORD
	s_andn2_b32 vcc_lo, exec_lo, s19
	s_mov_b32 s16, -1
                                        ; implicit-def: $vgpr98
	s_cbranch_vccnz .LBB6_7398
; %bb.7385:                             ;   in Loop: Header=BB6_5548 Depth=3
	s_mov_b32 s16, 0
	s_and_saveexec_b32 s23, s22
	s_xor_b32 s22, exec_lo, s23
	s_cbranch_execz .LBB6_8258
; %bb.7386:                             ;   in Loop: Header=BB6_5548 Depth=3
	v_cmp_eq_u16_sdwa s73, v12, v62 src0_sel:BYTE_3 src1_sel:DWORD
	s_mov_b32 s16, -1
	s_and_saveexec_b32 s23, s73
; %bb.7387:                             ;   in Loop: Header=BB6_5548 Depth=3
	s_xor_b32 s16, exec_lo, -1
; %bb.7388:                             ;   in Loop: Header=BB6_5548 Depth=3
	s_or_b32 exec_lo, exec_lo, s23
	s_and_b32 s16, s16, exec_lo
	s_or_saveexec_b32 s22, s22
	v_mov_b32_e32 v98, 0x7f800001
	s_xor_b32 exec_lo, exec_lo, s22
	s_cbranch_execnz .LBB6_8259
.LBB6_7389:                             ;   in Loop: Header=BB6_5548 Depth=3
	s_or_b32 exec_lo, exec_lo, s22
	s_and_saveexec_b32 s22, s16
	s_cbranch_execz .LBB6_7391
.LBB6_7390:                             ;   in Loop: Header=BB6_5548 Depth=3
	v_bfe_u32 v86, v12, 24, 3
	v_bfe_u32 v99, v12, 27, 4
	v_ffbh_u32_e32 v87, v86
	v_cmp_eq_u32_e32 vcc_lo, 0, v99
	v_min_u32_e32 v87, 32, v87
	v_subrev_nc_u32_e32 v98, 28, v87
	v_sub_nc_u32_e32 v87, 29, v87
	v_lshlrev_b32_sdwa v98, v98, v12 dst_sel:DWORD dst_unused:UNUSED_PAD src0_sel:DWORD src1_sel:BYTE_3
	v_cndmask_b32_e32 v87, v99, v87, vcc_lo
	v_and_b32_e32 v98, 7, v98
	v_lshl_add_u32 v87, v87, 23, 0x3b800000
	v_cndmask_b32_e32 v86, v86, v98, vcc_lo
	v_and_b32_e32 v98, 0x80000000, v12
	v_lshlrev_b32_e32 v86, 20, v86
	v_or3_b32 v98, v98, v87, v86
.LBB6_7391:                             ;   in Loop: Header=BB6_5548 Depth=3
	s_or_b32 exec_lo, exec_lo, s22
	s_waitcnt vmcnt(0)
	v_cmp_gt_i16_sdwa s22, v8, v61 src0_sel:BYTE_3 src1_sel:DWORD
	s_mov_b32 s16, 0
	s_and_saveexec_b32 s23, s22
	s_xor_b32 s22, exec_lo, s23
	s_cbranch_execz .LBB6_8260
; %bb.7392:                             ;   in Loop: Header=BB6_5548 Depth=3
	v_cmp_eq_u16_sdwa s73, v8, v62 src0_sel:BYTE_3 src1_sel:DWORD
	s_mov_b32 s16, -1
	s_and_saveexec_b32 s23, s73
; %bb.7393:                             ;   in Loop: Header=BB6_5548 Depth=3
	s_xor_b32 s16, exec_lo, -1
; %bb.7394:                             ;   in Loop: Header=BB6_5548 Depth=3
	s_or_b32 exec_lo, exec_lo, s23
	s_and_b32 s16, s16, exec_lo
	s_or_saveexec_b32 s22, s22
	v_mov_b32_e32 v86, 0x7f800001
	s_xor_b32 exec_lo, exec_lo, s22
	s_cbranch_execnz .LBB6_8261
.LBB6_7395:                             ;   in Loop: Header=BB6_5548 Depth=3
	s_or_b32 exec_lo, exec_lo, s22
	s_and_saveexec_b32 s22, s16
	s_cbranch_execz .LBB6_7397
.LBB6_7396:                             ;   in Loop: Header=BB6_5548 Depth=3
	v_bfe_u32 v86, v8, 24, 3
	v_bfe_u32 v112, v8, 27, 4
	v_ffbh_u32_e32 v87, v86
	v_cmp_eq_u32_e32 vcc_lo, 0, v112
	v_min_u32_e32 v87, 32, v87
	v_subrev_nc_u32_e32 v99, 28, v87
	v_sub_nc_u32_e32 v87, 29, v87
	v_lshlrev_b32_sdwa v99, v99, v8 dst_sel:DWORD dst_unused:UNUSED_PAD src0_sel:DWORD src1_sel:BYTE_3
	v_cndmask_b32_e32 v87, v112, v87, vcc_lo
	v_and_b32_e32 v99, 7, v99
	v_lshl_add_u32 v87, v87, 23, 0x3b800000
	v_cndmask_b32_e32 v86, v86, v99, vcc_lo
	v_and_b32_e32 v99, 0x80000000, v8
	v_lshlrev_b32_e32 v86, 20, v86
	v_or3_b32 v86, v99, v87, v86
.LBB6_7397:                             ;   in Loop: Header=BB6_5548 Depth=3
	s_or_b32 exec_lo, exec_lo, s22
	v_max_f32_e32 v86, v86, v86
	v_max_f32_e32 v87, v98, v98
	s_mov_b32 s16, 0
	v_max_f32_e32 v98, v87, v86
.LBB6_7398:                             ;   in Loop: Header=BB6_5548 Depth=3
	s_and_b32 vcc_lo, exec_lo, s16
	s_cbranch_vccz .LBB6_7412
; %bb.7399:                             ;   in Loop: Header=BB6_5548 Depth=3
	v_cmp_gt_i16_sdwa s22, v12, v61 src0_sel:BYTE_3 src1_sel:DWORD
	s_mov_b32 s16, 0
	s_and_saveexec_b32 s23, s22
	s_xor_b32 s22, exec_lo, s23
	s_cbranch_execz .LBB6_8262
; %bb.7400:                             ;   in Loop: Header=BB6_5548 Depth=3
	v_cmp_eq_u16_sdwa s73, v12, v62 src0_sel:BYTE_3 src1_sel:DWORD
	s_mov_b32 s16, -1
	s_and_saveexec_b32 s23, s73
; %bb.7401:                             ;   in Loop: Header=BB6_5548 Depth=3
	s_xor_b32 s16, exec_lo, -1
; %bb.7402:                             ;   in Loop: Header=BB6_5548 Depth=3
	s_or_b32 exec_lo, exec_lo, s23
	s_and_b32 s16, s16, exec_lo
	s_or_saveexec_b32 s22, s22
	v_mov_b32_e32 v98, 0x7f800001
	s_xor_b32 exec_lo, exec_lo, s22
	s_cbranch_execnz .LBB6_8263
.LBB6_7403:                             ;   in Loop: Header=BB6_5548 Depth=3
	s_or_b32 exec_lo, exec_lo, s22
	s_and_saveexec_b32 s22, s16
	s_cbranch_execz .LBB6_7405
.LBB6_7404:                             ;   in Loop: Header=BB6_5548 Depth=3
	v_bfe_u32 v86, v12, 24, 3
	v_bfe_u32 v99, v12, 27, 4
	v_ffbh_u32_e32 v87, v86
	v_cmp_eq_u32_e32 vcc_lo, 0, v99
	v_min_u32_e32 v87, 32, v87
	v_subrev_nc_u32_e32 v98, 28, v87
	v_sub_nc_u32_e32 v87, 29, v87
	v_lshlrev_b32_sdwa v98, v98, v12 dst_sel:DWORD dst_unused:UNUSED_PAD src0_sel:DWORD src1_sel:BYTE_3
	v_cndmask_b32_e32 v87, v99, v87, vcc_lo
	v_and_b32_e32 v12, 0x80000000, v12
	v_and_b32_e32 v98, 7, v98
	v_lshl_add_u32 v87, v87, 23, 0x3b800000
	v_cndmask_b32_e32 v86, v86, v98, vcc_lo
	v_lshlrev_b32_e32 v86, 20, v86
	v_or3_b32 v98, v12, v87, v86
.LBB6_7405:                             ;   in Loop: Header=BB6_5548 Depth=3
	s_or_b32 exec_lo, exec_lo, s22
	s_waitcnt vmcnt(0)
	v_cmp_gt_i16_sdwa s22, v8, v61 src0_sel:BYTE_3 src1_sel:DWORD
	s_mov_b32 s16, 0
	s_and_saveexec_b32 s23, s22
	s_xor_b32 s22, exec_lo, s23
	s_cbranch_execz .LBB6_8264
; %bb.7406:                             ;   in Loop: Header=BB6_5548 Depth=3
	v_cmp_eq_u16_sdwa s73, v8, v62 src0_sel:BYTE_3 src1_sel:DWORD
	s_mov_b32 s16, -1
	s_and_saveexec_b32 s23, s73
; %bb.7407:                             ;   in Loop: Header=BB6_5548 Depth=3
	s_xor_b32 s16, exec_lo, -1
; %bb.7408:                             ;   in Loop: Header=BB6_5548 Depth=3
	s_or_b32 exec_lo, exec_lo, s23
	s_and_b32 s16, s16, exec_lo
	s_or_saveexec_b32 s22, s22
	v_mov_b32_e32 v12, 0x7f800001
	s_xor_b32 exec_lo, exec_lo, s22
	s_cbranch_execnz .LBB6_8265
.LBB6_7409:                             ;   in Loop: Header=BB6_5548 Depth=3
	s_or_b32 exec_lo, exec_lo, s22
	s_and_saveexec_b32 s22, s16
	s_cbranch_execz .LBB6_7411
.LBB6_7410:                             ;   in Loop: Header=BB6_5548 Depth=3
	v_bfe_u32 v12, v8, 24, 3
	v_bfe_u32 v99, v8, 27, 4
	v_ffbh_u32_e32 v86, v12
	v_cmp_eq_u32_e32 vcc_lo, 0, v99
	v_min_u32_e32 v86, 32, v86
	v_subrev_nc_u32_e32 v87, 28, v86
	v_sub_nc_u32_e32 v86, 29, v86
	v_lshlrev_b32_sdwa v87, v87, v8 dst_sel:DWORD dst_unused:UNUSED_PAD src0_sel:DWORD src1_sel:BYTE_3
	v_cndmask_b32_e32 v86, v99, v86, vcc_lo
	v_and_b32_e32 v8, 0x80000000, v8
	v_and_b32_e32 v87, 7, v87
	v_lshl_add_u32 v86, v86, 23, 0x3b800000
	v_cndmask_b32_e32 v12, v12, v87, vcc_lo
	v_lshlrev_b32_e32 v12, 20, v12
	v_or3_b32 v12, v8, v86, v12
.LBB6_7411:                             ;   in Loop: Header=BB6_5548 Depth=3
	s_or_b32 exec_lo, exec_lo, s22
	v_max_f32_e32 v8, v12, v12
	v_max_f32_e32 v12, v98, v98
	v_min_f32_e32 v98, v12, v8
.LBB6_7412:                             ;   in Loop: Header=BB6_5548 Depth=3
	s_waitcnt vmcnt(0)
	v_and_b32_e32 v8, 0x7f800000, v98
	v_cmp_ne_u32_e32 vcc_lo, 0x7f800000, v8
	v_mov_b32_e32 v8, 0x8000
	s_and_saveexec_b32 s22, vcc_lo
	s_cbranch_execz .LBB6_7420
; %bb.7413:                             ;   in Loop: Header=BB6_5548 Depth=3
	v_mov_b32_e32 v8, 0
	s_mov_b32 s23, exec_lo
	v_cmpx_ne_u32_e32 0, v98
	s_cbranch_execz .LBB6_7419
; %bb.7414:                             ;   in Loop: Header=BB6_5548 Depth=3
	v_bfe_u32 v12, v98, 23, 8
	v_and_b32_e32 v8, 0x7fffff, v98
                                        ; implicit-def: $vgpr112
	v_cmp_gt_u32_e64 s16, 0x79, v12
	v_sub_nc_u32_e32 v86, 0x78, v12
	v_cmp_eq_u32_e32 vcc_lo, 0, v12
	v_or_b32_e32 v87, 0x800000, v8
	v_cndmask_b32_e64 v86, 0, v86, s16
	v_cndmask_b32_e32 v8, v87, v8, vcc_lo
	v_cndmask_b32_e64 v86, v86, 0x77, vcc_lo
	v_lshl_add_u32 v87, 0x100000, v86, -1
	v_lshlrev_b32_e64 v99, v86, 0x80000
	v_and_b32_e32 v87, v87, v8
	v_cmp_eq_u32_e64 s16, v87, v99
	v_lshrrev_b32_e32 v87, v86, v8
	v_add_nc_u32_e32 v8, 0xffffff89, v12
	v_lshrrev_b32_e32 v12, 23, v87
	v_cndmask_b32_e64 v8, v8, 0xffffff8a, vcc_lo
	v_xor_b32_e32 v12, 1, v12
	v_add_nc_u32_e32 v8, v86, v8
	v_bfe_u32 v86, v87, 20, 1
	v_add_nc_u32_e32 v86, -1, v86
	v_cndmask_b32_e64 v86, 0, v86, s16
	s_mov_b32 s16, exec_lo
	v_add_nc_u32_e32 v86, v86, v87
	v_and_b32_e32 v86, 0xfffff, v86
	v_add_nc_u32_e32 v99, v86, v87
	v_cmpx_ne_u32_e64 v8, v12
	s_xor_b32 s16, exec_lo, s16
; %bb.7415:                             ;   in Loop: Header=BB6_5548 Depth=3
	v_cmp_lt_u32_e32 vcc_lo, 0xffffff, v99
	v_sub_nc_u32_e32 v8, v8, v12
	v_cndmask_b32_e64 v12, 0, 1, vcc_lo
	v_add_co_ci_u32_e64 v112, null, 0, v8, vcc_lo
	v_lshrrev_b32_e32 v99, v12, v99
; %bb.7416:                             ;   in Loop: Header=BB6_5548 Depth=3
	s_andn2_saveexec_b32 s16, s16
; %bb.7417:                             ;   in Loop: Header=BB6_5548 Depth=3
	v_bfe_u32 v112, v99, 23, 1
; %bb.7418:                             ;   in Loop: Header=BB6_5548 Depth=3
	s_or_b32 exec_lo, exec_lo, s16
	v_lshrrev_b32_e32 v12, 20, v99
	v_min_i32_e32 v86, 15, v112
	v_cmp_gt_i32_e32 vcc_lo, 16, v112
	v_and_b32_sdwa v8, v98, v62 dst_sel:DWORD dst_unused:UNUSED_PAD src0_sel:BYTE_3 src1_sel:DWORD
	v_lshlrev_b32_e32 v86, 3, v86
	v_cndmask_b32_e32 v12, 7, v12, vcc_lo
	v_and_b32_e32 v86, 0xf8, v86
	v_or_b32_e32 v87, v112, v12
	v_and_b32_e32 v12, 7, v12
	v_cmp_ne_u32_e32 vcc_lo, 0, v87
	v_or3_b32 v8, v8, v86, v12
	v_lshlrev_b32_e32 v8, 8, v8
	v_cndmask_b32_e32 v8, 0, v8, vcc_lo
.LBB6_7419:                             ;   in Loop: Header=BB6_5548 Depth=3
	s_or_b32 exec_lo, exec_lo, s23
.LBB6_7420:                             ;   in Loop: Header=BB6_5548 Depth=3
	s_or_b32 exec_lo, exec_lo, s22
	v_cmp_gt_i16_sdwa s23, v13, v61 src0_sel:BYTE_0 src1_sel:DWORD
	s_andn2_b32 vcc_lo, exec_lo, s19
	s_mov_b32 s16, -1
                                        ; implicit-def: $vgpr98
	s_cbranch_vccnz .LBB6_7434
; %bb.7421:                             ;   in Loop: Header=BB6_5548 Depth=3
	s_mov_b32 s22, 0
	s_and_saveexec_b32 s16, s23
	s_xor_b32 s16, exec_lo, s16
	s_cbranch_execz .LBB6_8266
; %bb.7422:                             ;   in Loop: Header=BB6_5548 Depth=3
	v_cmp_eq_u16_sdwa s73, v13, v62 src0_sel:BYTE_0 src1_sel:DWORD
	s_mov_b32 s22, -1
	s_and_saveexec_b32 s23, s73
; %bb.7423:                             ;   in Loop: Header=BB6_5548 Depth=3
	s_xor_b32 s22, exec_lo, -1
; %bb.7424:                             ;   in Loop: Header=BB6_5548 Depth=3
	s_or_b32 exec_lo, exec_lo, s23
	s_and_b32 s22, s22, exec_lo
	s_or_saveexec_b32 s16, s16
	v_mov_b32_e32 v12, 0x7f800001
	s_xor_b32 exec_lo, exec_lo, s16
	s_cbranch_execnz .LBB6_8267
.LBB6_7425:                             ;   in Loop: Header=BB6_5548 Depth=3
	s_or_b32 exec_lo, exec_lo, s16
	s_and_saveexec_b32 s16, s22
	s_cbranch_execz .LBB6_7427
.LBB6_7426:                             ;   in Loop: Header=BB6_5548 Depth=3
	v_and_b32_e32 v12, 7, v13
	v_bfe_u32 v86, v13, 3, 4
	v_ffbh_u32_e32 v87, v12
	v_cmp_eq_u32_e32 vcc_lo, 0, v86
	v_min_u32_e32 v87, 32, v87
	v_subrev_nc_u32_e32 v98, 28, v87
	v_sub_nc_u32_e32 v87, 29, v87
	v_lshlrev_b32_e32 v98, v98, v13
	v_cndmask_b32_e32 v86, v86, v87, vcc_lo
	v_lshlrev_b32_e32 v87, 24, v13
	v_and_b32_e32 v98, 7, v98
	v_lshl_add_u32 v86, v86, 23, 0x3b800000
	v_and_b32_e32 v87, 0x80000000, v87
	v_cndmask_b32_e32 v12, v12, v98, vcc_lo
	v_lshlrev_b32_e32 v12, 20, v12
	v_or3_b32 v12, v87, v86, v12
.LBB6_7427:                             ;   in Loop: Header=BB6_5548 Depth=3
	s_or_b32 exec_lo, exec_lo, s16
	v_cmp_gt_i16_sdwa s16, v9, v61 src0_sel:BYTE_0 src1_sel:DWORD
	s_mov_b32 s22, 0
	s_and_saveexec_b32 s23, s16
	s_xor_b32 s16, exec_lo, s23
	s_cbranch_execz .LBB6_8268
; %bb.7428:                             ;   in Loop: Header=BB6_5548 Depth=3
	v_cmp_eq_u16_sdwa s73, v9, v62 src0_sel:BYTE_0 src1_sel:DWORD
	s_mov_b32 s22, -1
	s_and_saveexec_b32 s23, s73
; %bb.7429:                             ;   in Loop: Header=BB6_5548 Depth=3
	s_xor_b32 s22, exec_lo, -1
; %bb.7430:                             ;   in Loop: Header=BB6_5548 Depth=3
	s_or_b32 exec_lo, exec_lo, s23
	s_and_b32 s22, s22, exec_lo
	s_or_saveexec_b32 s16, s16
	v_mov_b32_e32 v86, 0x7f800001
	s_xor_b32 exec_lo, exec_lo, s16
	s_cbranch_execnz .LBB6_8269
.LBB6_7431:                             ;   in Loop: Header=BB6_5548 Depth=3
	s_or_b32 exec_lo, exec_lo, s16
	s_and_saveexec_b32 s16, s22
	s_cbranch_execz .LBB6_7433
.LBB6_7432:                             ;   in Loop: Header=BB6_5548 Depth=3
	v_and_b32_e32 v86, 7, v9
	v_bfe_u32 v87, v9, 3, 4
	v_ffbh_u32_e32 v98, v86
	v_cmp_eq_u32_e32 vcc_lo, 0, v87
	v_min_u32_e32 v98, 32, v98
	v_subrev_nc_u32_e32 v99, 28, v98
	v_sub_nc_u32_e32 v98, 29, v98
	v_lshlrev_b32_e32 v99, v99, v9
	v_cndmask_b32_e32 v87, v87, v98, vcc_lo
	v_lshlrev_b32_e32 v98, 24, v9
	v_and_b32_e32 v99, 7, v99
	v_lshl_add_u32 v87, v87, 23, 0x3b800000
	v_and_b32_e32 v98, 0x80000000, v98
	v_cndmask_b32_e32 v86, v86, v99, vcc_lo
	v_lshlrev_b32_e32 v86, 20, v86
	v_or3_b32 v86, v98, v87, v86
.LBB6_7433:                             ;   in Loop: Header=BB6_5548 Depth=3
	s_or_b32 exec_lo, exec_lo, s16
	v_max_f32_e32 v86, v86, v86
	v_max_f32_e32 v12, v12, v12
	s_mov_b32 s16, 0
	v_max_f32_e32 v98, v12, v86
.LBB6_7434:                             ;   in Loop: Header=BB6_5548 Depth=3
	s_and_b32 vcc_lo, exec_lo, s16
	s_cbranch_vccz .LBB6_7448
; %bb.7435:                             ;   in Loop: Header=BB6_5548 Depth=3
	v_cmp_gt_i16_sdwa s16, v13, v61 src0_sel:BYTE_0 src1_sel:DWORD
	s_mov_b32 s22, 0
	s_and_saveexec_b32 s23, s16
	s_xor_b32 s16, exec_lo, s23
	s_cbranch_execz .LBB6_8270
; %bb.7436:                             ;   in Loop: Header=BB6_5548 Depth=3
	v_cmp_eq_u16_sdwa s73, v13, v62 src0_sel:BYTE_0 src1_sel:DWORD
	s_mov_b32 s22, -1
	s_and_saveexec_b32 s23, s73
; %bb.7437:                             ;   in Loop: Header=BB6_5548 Depth=3
	s_xor_b32 s22, exec_lo, -1
; %bb.7438:                             ;   in Loop: Header=BB6_5548 Depth=3
	s_or_b32 exec_lo, exec_lo, s23
	s_and_b32 s22, s22, exec_lo
	s_or_saveexec_b32 s16, s16
	v_mov_b32_e32 v12, 0x7f800001
	s_xor_b32 exec_lo, exec_lo, s16
	s_cbranch_execnz .LBB6_8271
.LBB6_7439:                             ;   in Loop: Header=BB6_5548 Depth=3
	s_or_b32 exec_lo, exec_lo, s16
	s_and_saveexec_b32 s16, s22
	s_cbranch_execz .LBB6_7441
.LBB6_7440:                             ;   in Loop: Header=BB6_5548 Depth=3
	v_and_b32_e32 v12, 7, v13
	v_bfe_u32 v86, v13, 3, 4
	v_ffbh_u32_e32 v87, v12
	v_cmp_eq_u32_e32 vcc_lo, 0, v86
	v_min_u32_e32 v87, 32, v87
	v_subrev_nc_u32_e32 v98, 28, v87
	v_sub_nc_u32_e32 v87, 29, v87
	v_lshlrev_b32_e32 v98, v98, v13
	v_cndmask_b32_e32 v86, v86, v87, vcc_lo
	v_lshlrev_b32_e32 v87, 24, v13
	v_and_b32_e32 v98, 7, v98
	v_lshl_add_u32 v86, v86, 23, 0x3b800000
	v_and_b32_e32 v87, 0x80000000, v87
	v_cndmask_b32_e32 v12, v12, v98, vcc_lo
	v_lshlrev_b32_e32 v12, 20, v12
	v_or3_b32 v12, v87, v86, v12
.LBB6_7441:                             ;   in Loop: Header=BB6_5548 Depth=3
	s_or_b32 exec_lo, exec_lo, s16
	v_cmp_gt_i16_sdwa s16, v9, v61 src0_sel:BYTE_0 src1_sel:DWORD
	s_mov_b32 s22, 0
	s_and_saveexec_b32 s23, s16
	s_xor_b32 s16, exec_lo, s23
	s_cbranch_execz .LBB6_8272
; %bb.7442:                             ;   in Loop: Header=BB6_5548 Depth=3
	v_cmp_eq_u16_sdwa s73, v9, v62 src0_sel:BYTE_0 src1_sel:DWORD
	s_mov_b32 s22, -1
	s_and_saveexec_b32 s23, s73
; %bb.7443:                             ;   in Loop: Header=BB6_5548 Depth=3
	s_xor_b32 s22, exec_lo, -1
; %bb.7444:                             ;   in Loop: Header=BB6_5548 Depth=3
	s_or_b32 exec_lo, exec_lo, s23
	s_and_b32 s22, s22, exec_lo
	s_or_saveexec_b32 s16, s16
	v_mov_b32_e32 v86, 0x7f800001
	s_xor_b32 exec_lo, exec_lo, s16
	s_cbranch_execnz .LBB6_8273
.LBB6_7445:                             ;   in Loop: Header=BB6_5548 Depth=3
	s_or_b32 exec_lo, exec_lo, s16
	s_and_saveexec_b32 s16, s22
	s_cbranch_execz .LBB6_7447
.LBB6_7446:                             ;   in Loop: Header=BB6_5548 Depth=3
	v_and_b32_e32 v86, 7, v9
	v_bfe_u32 v87, v9, 3, 4
	v_ffbh_u32_e32 v98, v86
	v_cmp_eq_u32_e32 vcc_lo, 0, v87
	v_min_u32_e32 v98, 32, v98
	v_subrev_nc_u32_e32 v99, 28, v98
	v_sub_nc_u32_e32 v98, 29, v98
	v_lshlrev_b32_e32 v99, v99, v9
	v_cndmask_b32_e32 v87, v87, v98, vcc_lo
	v_lshlrev_b32_e32 v98, 24, v9
	v_and_b32_e32 v99, 7, v99
	v_lshl_add_u32 v87, v87, 23, 0x3b800000
	v_and_b32_e32 v98, 0x80000000, v98
	v_cndmask_b32_e32 v86, v86, v99, vcc_lo
	v_lshlrev_b32_e32 v86, 20, v86
	v_or3_b32 v86, v98, v87, v86
.LBB6_7447:                             ;   in Loop: Header=BB6_5548 Depth=3
	s_or_b32 exec_lo, exec_lo, s16
	v_max_f32_e32 v86, v86, v86
	v_max_f32_e32 v12, v12, v12
	v_min_f32_e32 v98, v12, v86
.LBB6_7448:                             ;   in Loop: Header=BB6_5548 Depth=3
	v_and_b32_e32 v12, 0x7f800000, v98
	v_cmp_ne_u32_e32 vcc_lo, 0x7f800000, v12
	v_mov_b32_e32 v12, 0x80
	s_and_saveexec_b32 s22, vcc_lo
	s_cbranch_execz .LBB6_7456
; %bb.7449:                             ;   in Loop: Header=BB6_5548 Depth=3
	v_mov_b32_e32 v12, 0
	s_mov_b32 s23, exec_lo
	v_cmpx_ne_u32_e32 0, v98
	s_cbranch_execz .LBB6_7455
; %bb.7450:                             ;   in Loop: Header=BB6_5548 Depth=3
	v_bfe_u32 v86, v98, 23, 8
	v_and_b32_e32 v12, 0x7fffff, v98
                                        ; implicit-def: $vgpr113
	v_cmp_gt_u32_e64 s16, 0x79, v86
	v_sub_nc_u32_e32 v87, 0x78, v86
	v_cmp_eq_u32_e32 vcc_lo, 0, v86
	v_or_b32_e32 v99, 0x800000, v12
	v_cndmask_b32_e64 v87, 0, v87, s16
	v_cndmask_b32_e32 v12, v99, v12, vcc_lo
	v_cndmask_b32_e64 v87, v87, 0x77, vcc_lo
	v_lshl_add_u32 v99, 0x100000, v87, -1
	v_lshlrev_b32_e64 v112, v87, 0x80000
	v_and_b32_e32 v99, v99, v12
	v_cmp_eq_u32_e64 s16, v99, v112
	v_lshrrev_b32_e32 v112, v87, v12
	v_add_nc_u32_e32 v12, 0xffffff89, v86
	v_lshrrev_b32_e32 v86, 23, v112
	v_cndmask_b32_e64 v12, v12, 0xffffff8a, vcc_lo
	v_xor_b32_e32 v99, 1, v86
	v_bfe_u32 v86, v112, 20, 1
	v_add_nc_u32_e32 v12, v87, v12
	v_add_nc_u32_e32 v86, -1, v86
	v_cndmask_b32_e64 v86, 0, v86, s16
	s_mov_b32 s16, exec_lo
	v_add_nc_u32_e32 v86, v86, v112
	v_and_b32_e32 v86, 0xfffff, v86
	v_add_nc_u32_e32 v112, v86, v112
	v_cmpx_ne_u32_e64 v12, v99
	s_xor_b32 s16, exec_lo, s16
; %bb.7451:                             ;   in Loop: Header=BB6_5548 Depth=3
	v_cmp_lt_u32_e32 vcc_lo, 0xffffff, v112
	v_sub_nc_u32_e32 v12, v12, v99
	v_cndmask_b32_e64 v86, 0, 1, vcc_lo
	v_add_co_ci_u32_e64 v113, null, 0, v12, vcc_lo
	v_lshrrev_b32_e32 v112, v86, v112
; %bb.7452:                             ;   in Loop: Header=BB6_5548 Depth=3
	s_andn2_saveexec_b32 s16, s16
; %bb.7453:                             ;   in Loop: Header=BB6_5548 Depth=3
	v_bfe_u32 v113, v112, 23, 1
; %bb.7454:                             ;   in Loop: Header=BB6_5548 Depth=3
	s_or_b32 exec_lo, exec_lo, s16
	v_lshrrev_b32_e32 v86, 20, v112
	v_min_i32_e32 v87, 15, v113
	v_cmp_gt_i32_e32 vcc_lo, 16, v113
	v_and_b32_sdwa v12, v98, v62 dst_sel:DWORD dst_unused:UNUSED_PAD src0_sel:BYTE_3 src1_sel:DWORD
	v_lshlrev_b32_e32 v87, 3, v87
	v_cndmask_b32_e32 v86, 7, v86, vcc_lo
	v_and_b32_e32 v87, 0xf8, v87
	v_or_b32_e32 v98, v113, v86
	v_and_b32_e32 v86, 7, v86
	v_cmp_ne_u32_e32 vcc_lo, 0, v98
	v_or3_b32 v12, v87, v12, v86
	v_cndmask_b32_e32 v12, 0, v12, vcc_lo
.LBB6_7455:                             ;   in Loop: Header=BB6_5548 Depth=3
	s_or_b32 exec_lo, exec_lo, s23
.LBB6_7456:                             ;   in Loop: Header=BB6_5548 Depth=3
	s_or_b32 exec_lo, exec_lo, s22
	v_cmp_gt_i16_sdwa s22, v13, v61 src0_sel:BYTE_1 src1_sel:DWORD
	s_andn2_b32 vcc_lo, exec_lo, s19
	s_mov_b32 s16, -1
                                        ; implicit-def: $vgpr98
	s_cbranch_vccnz .LBB6_7470
; %bb.7457:                             ;   in Loop: Header=BB6_5548 Depth=3
	s_mov_b32 s16, 0
	s_and_saveexec_b32 s23, s22
	s_xor_b32 s22, exec_lo, s23
	s_cbranch_execz .LBB6_8274
; %bb.7458:                             ;   in Loop: Header=BB6_5548 Depth=3
	v_cmp_eq_u16_sdwa s73, v13, v62 src0_sel:BYTE_1 src1_sel:DWORD
	s_mov_b32 s16, -1
	s_and_saveexec_b32 s23, s73
; %bb.7459:                             ;   in Loop: Header=BB6_5548 Depth=3
	s_xor_b32 s16, exec_lo, -1
; %bb.7460:                             ;   in Loop: Header=BB6_5548 Depth=3
	s_or_b32 exec_lo, exec_lo, s23
	s_and_b32 s16, s16, exec_lo
	s_or_saveexec_b32 s22, s22
	v_mov_b32_e32 v98, 0x7f800001
	s_xor_b32 exec_lo, exec_lo, s22
	s_cbranch_execnz .LBB6_8275
.LBB6_7461:                             ;   in Loop: Header=BB6_5548 Depth=3
	s_or_b32 exec_lo, exec_lo, s22
	s_and_saveexec_b32 s22, s16
	s_cbranch_execz .LBB6_7463
.LBB6_7462:                             ;   in Loop: Header=BB6_5548 Depth=3
	v_and_b32_sdwa v86, v63, v13 dst_sel:DWORD dst_unused:UNUSED_PAD src0_sel:DWORD src1_sel:BYTE_1
	v_and_b32_e32 v87, 7, v86
	v_bfe_u32 v112, v86, 3, 4
	v_ffbh_u32_e32 v98, v87
	v_cmp_eq_u32_e32 vcc_lo, 0, v112
	v_min_u32_e32 v98, 32, v98
	v_subrev_nc_u32_e32 v99, 28, v98
	v_sub_nc_u32_e32 v98, 29, v98
	v_lshlrev_b32_e32 v86, v99, v86
	v_lshlrev_b32_e32 v99, 16, v13
	v_cndmask_b32_e32 v98, v112, v98, vcc_lo
	v_and_b32_e32 v86, 7, v86
	v_lshl_add_u32 v98, v98, 23, 0x3b800000
	v_cndmask_b32_e32 v86, v87, v86, vcc_lo
	v_and_b32_e32 v87, 0x80000000, v99
	v_lshlrev_b32_e32 v86, 20, v86
	v_or3_b32 v98, v87, v98, v86
.LBB6_7463:                             ;   in Loop: Header=BB6_5548 Depth=3
	s_or_b32 exec_lo, exec_lo, s22
	v_cmp_gt_i16_sdwa s22, v9, v61 src0_sel:BYTE_1 src1_sel:DWORD
	s_mov_b32 s16, 0
	s_and_saveexec_b32 s23, s22
	s_xor_b32 s22, exec_lo, s23
	s_cbranch_execz .LBB6_8276
; %bb.7464:                             ;   in Loop: Header=BB6_5548 Depth=3
	v_cmp_eq_u16_sdwa s73, v9, v62 src0_sel:BYTE_1 src1_sel:DWORD
	s_mov_b32 s16, -1
	s_and_saveexec_b32 s23, s73
; %bb.7465:                             ;   in Loop: Header=BB6_5548 Depth=3
	s_xor_b32 s16, exec_lo, -1
; %bb.7466:                             ;   in Loop: Header=BB6_5548 Depth=3
	s_or_b32 exec_lo, exec_lo, s23
	s_and_b32 s16, s16, exec_lo
	s_or_saveexec_b32 s22, s22
	v_mov_b32_e32 v86, 0x7f800001
	s_xor_b32 exec_lo, exec_lo, s22
	s_cbranch_execnz .LBB6_8277
.LBB6_7467:                             ;   in Loop: Header=BB6_5548 Depth=3
	s_or_b32 exec_lo, exec_lo, s22
	s_and_saveexec_b32 s22, s16
	s_cbranch_execz .LBB6_7469
.LBB6_7468:                             ;   in Loop: Header=BB6_5548 Depth=3
	v_and_b32_sdwa v86, v63, v9 dst_sel:DWORD dst_unused:UNUSED_PAD src0_sel:DWORD src1_sel:BYTE_1
	v_and_b32_e32 v87, 7, v86
	v_bfe_u32 v113, v86, 3, 4
	v_ffbh_u32_e32 v99, v87
	v_cmp_eq_u32_e32 vcc_lo, 0, v113
	v_min_u32_e32 v99, 32, v99
	v_subrev_nc_u32_e32 v112, 28, v99
	v_sub_nc_u32_e32 v99, 29, v99
	v_lshlrev_b32_e32 v86, v112, v86
	v_lshlrev_b32_e32 v112, 16, v9
	v_cndmask_b32_e32 v99, v113, v99, vcc_lo
	v_and_b32_e32 v86, 7, v86
	v_lshl_add_u32 v99, v99, 23, 0x3b800000
	v_cndmask_b32_e32 v86, v87, v86, vcc_lo
	v_and_b32_e32 v87, 0x80000000, v112
	v_lshlrev_b32_e32 v86, 20, v86
	v_or3_b32 v86, v87, v99, v86
.LBB6_7469:                             ;   in Loop: Header=BB6_5548 Depth=3
	s_or_b32 exec_lo, exec_lo, s22
	v_max_f32_e32 v86, v86, v86
	v_max_f32_e32 v87, v98, v98
	s_mov_b32 s16, 0
	v_max_f32_e32 v98, v87, v86
.LBB6_7470:                             ;   in Loop: Header=BB6_5548 Depth=3
	s_and_b32 vcc_lo, exec_lo, s16
	s_cbranch_vccz .LBB6_7484
; %bb.7471:                             ;   in Loop: Header=BB6_5548 Depth=3
	v_cmp_gt_i16_sdwa s22, v13, v61 src0_sel:BYTE_1 src1_sel:DWORD
	s_mov_b32 s16, 0
	s_and_saveexec_b32 s23, s22
	s_xor_b32 s22, exec_lo, s23
	s_cbranch_execz .LBB6_8278
; %bb.7472:                             ;   in Loop: Header=BB6_5548 Depth=3
	v_cmp_eq_u16_sdwa s73, v13, v62 src0_sel:BYTE_1 src1_sel:DWORD
	s_mov_b32 s16, -1
	s_and_saveexec_b32 s23, s73
; %bb.7473:                             ;   in Loop: Header=BB6_5548 Depth=3
	s_xor_b32 s16, exec_lo, -1
; %bb.7474:                             ;   in Loop: Header=BB6_5548 Depth=3
	s_or_b32 exec_lo, exec_lo, s23
	s_and_b32 s16, s16, exec_lo
	s_or_saveexec_b32 s22, s22
	v_mov_b32_e32 v98, 0x7f800001
	s_xor_b32 exec_lo, exec_lo, s22
	s_cbranch_execnz .LBB6_8279
.LBB6_7475:                             ;   in Loop: Header=BB6_5548 Depth=3
	s_or_b32 exec_lo, exec_lo, s22
	s_and_saveexec_b32 s22, s16
	s_cbranch_execz .LBB6_7477
.LBB6_7476:                             ;   in Loop: Header=BB6_5548 Depth=3
	v_and_b32_sdwa v86, v63, v13 dst_sel:DWORD dst_unused:UNUSED_PAD src0_sel:DWORD src1_sel:BYTE_1
	v_and_b32_e32 v87, 7, v86
	v_bfe_u32 v112, v86, 3, 4
	v_ffbh_u32_e32 v98, v87
	v_cmp_eq_u32_e32 vcc_lo, 0, v112
	v_min_u32_e32 v98, 32, v98
	v_subrev_nc_u32_e32 v99, 28, v98
	v_sub_nc_u32_e32 v98, 29, v98
	v_lshlrev_b32_e32 v86, v99, v86
	v_lshlrev_b32_e32 v99, 16, v13
	v_cndmask_b32_e32 v98, v112, v98, vcc_lo
	v_and_b32_e32 v86, 7, v86
	v_lshl_add_u32 v98, v98, 23, 0x3b800000
	v_cndmask_b32_e32 v86, v87, v86, vcc_lo
	v_and_b32_e32 v87, 0x80000000, v99
	v_lshlrev_b32_e32 v86, 20, v86
	v_or3_b32 v98, v87, v98, v86
.LBB6_7477:                             ;   in Loop: Header=BB6_5548 Depth=3
	s_or_b32 exec_lo, exec_lo, s22
	v_cmp_gt_i16_sdwa s22, v9, v61 src0_sel:BYTE_1 src1_sel:DWORD
	s_mov_b32 s16, 0
	s_and_saveexec_b32 s23, s22
	s_xor_b32 s22, exec_lo, s23
	s_cbranch_execz .LBB6_8280
; %bb.7478:                             ;   in Loop: Header=BB6_5548 Depth=3
	v_cmp_eq_u16_sdwa s73, v9, v62 src0_sel:BYTE_1 src1_sel:DWORD
	s_mov_b32 s16, -1
	s_and_saveexec_b32 s23, s73
; %bb.7479:                             ;   in Loop: Header=BB6_5548 Depth=3
	s_xor_b32 s16, exec_lo, -1
; %bb.7480:                             ;   in Loop: Header=BB6_5548 Depth=3
	s_or_b32 exec_lo, exec_lo, s23
	s_and_b32 s16, s16, exec_lo
	s_or_saveexec_b32 s22, s22
	v_mov_b32_e32 v86, 0x7f800001
	s_xor_b32 exec_lo, exec_lo, s22
	s_cbranch_execnz .LBB6_8281
.LBB6_7481:                             ;   in Loop: Header=BB6_5548 Depth=3
	s_or_b32 exec_lo, exec_lo, s22
	s_and_saveexec_b32 s22, s16
	s_cbranch_execz .LBB6_7483
.LBB6_7482:                             ;   in Loop: Header=BB6_5548 Depth=3
	v_and_b32_sdwa v86, v63, v9 dst_sel:DWORD dst_unused:UNUSED_PAD src0_sel:DWORD src1_sel:BYTE_1
	v_and_b32_e32 v87, 7, v86
	v_bfe_u32 v113, v86, 3, 4
	v_ffbh_u32_e32 v99, v87
	v_cmp_eq_u32_e32 vcc_lo, 0, v113
	v_min_u32_e32 v99, 32, v99
	v_subrev_nc_u32_e32 v112, 28, v99
	v_sub_nc_u32_e32 v99, 29, v99
	v_lshlrev_b32_e32 v86, v112, v86
	v_lshlrev_b32_e32 v112, 16, v9
	v_cndmask_b32_e32 v99, v113, v99, vcc_lo
	v_and_b32_e32 v86, 7, v86
	v_lshl_add_u32 v99, v99, 23, 0x3b800000
	v_cndmask_b32_e32 v86, v87, v86, vcc_lo
	v_and_b32_e32 v87, 0x80000000, v112
	v_lshlrev_b32_e32 v86, 20, v86
	v_or3_b32 v86, v87, v99, v86
.LBB6_7483:                             ;   in Loop: Header=BB6_5548 Depth=3
	s_or_b32 exec_lo, exec_lo, s22
	v_max_f32_e32 v86, v86, v86
	v_max_f32_e32 v87, v98, v98
	v_min_f32_e32 v98, v87, v86
.LBB6_7484:                             ;   in Loop: Header=BB6_5548 Depth=3
	v_and_b32_e32 v86, 0x7f800000, v98
	v_mov_b32_e32 v109, 0x8000
	s_mov_b32 s22, exec_lo
	v_cmpx_ne_u32_e32 0x7f800000, v86
	s_cbranch_execz .LBB6_7492
; %bb.7485:                             ;   in Loop: Header=BB6_5548 Depth=3
	v_mov_b32_e32 v109, 0
	s_mov_b32 s23, exec_lo
	v_cmpx_ne_u32_e32 0, v98
	s_cbranch_execz .LBB6_7491
; %bb.7486:                             ;   in Loop: Header=BB6_5548 Depth=3
	v_bfe_u32 v87, v98, 23, 8
	v_and_b32_e32 v86, 0x7fffff, v98
                                        ; implicit-def: $vgpr46
	v_cmp_gt_u32_e64 s16, 0x79, v87
	v_sub_nc_u32_e32 v99, 0x78, v87
	v_cmp_eq_u32_e32 vcc_lo, 0, v87
	v_or_b32_e32 v112, 0x800000, v86
	v_add_nc_u32_e32 v87, 0xffffff89, v87
	v_cndmask_b32_e64 v99, 0, v99, s16
	v_cndmask_b32_e32 v86, v112, v86, vcc_lo
	v_cndmask_b32_e64 v87, v87, 0xffffff8a, vcc_lo
	v_cndmask_b32_e64 v99, v99, 0x77, vcc_lo
	v_lshl_add_u32 v112, 0x100000, v99, -1
	v_lshlrev_b32_e64 v113, v99, 0x80000
	v_and_b32_e32 v112, v112, v86
	v_lshrrev_b32_e32 v86, v99, v86
	v_add_nc_u32_e32 v99, v99, v87
	v_cmp_eq_u32_e64 s16, v112, v113
	v_lshrrev_b32_e32 v87, 23, v86
	v_xor_b32_e32 v112, 1, v87
	v_bfe_u32 v87, v86, 20, 1
	v_add_nc_u32_e32 v87, -1, v87
	v_cndmask_b32_e64 v87, 0, v87, s16
	s_mov_b32 s16, exec_lo
	v_add_nc_u32_e32 v87, v87, v86
	v_and_b32_e32 v87, 0xfffff, v87
	v_add_nc_u32_e32 v113, v87, v86
	v_cmpx_ne_u32_e64 v99, v112
	s_xor_b32 s16, exec_lo, s16
; %bb.7487:                             ;   in Loop: Header=BB6_5548 Depth=3
	v_cmp_lt_u32_e32 vcc_lo, 0xffffff, v113
	v_sub_nc_u32_e32 v86, v99, v112
	v_cndmask_b32_e64 v87, 0, 1, vcc_lo
	v_add_co_ci_u32_e64 v46, null, 0, v86, vcc_lo
	v_lshrrev_b32_e32 v113, v87, v113
; %bb.7488:                             ;   in Loop: Header=BB6_5548 Depth=3
	s_andn2_saveexec_b32 s16, s16
; %bb.7489:                             ;   in Loop: Header=BB6_5548 Depth=3
	v_bfe_u32 v46, v113, 23, 1
; %bb.7490:                             ;   in Loop: Header=BB6_5548 Depth=3
	s_or_b32 exec_lo, exec_lo, s16
	v_and_b32_sdwa v86, v98, v62 dst_sel:DWORD dst_unused:UNUSED_PAD src0_sel:BYTE_3 src1_sel:DWORD
	v_lshrrev_b32_e32 v87, 20, v113
	v_min_i32_e32 v98, 15, v46
	v_cmp_gt_i32_e32 vcc_lo, 16, v46
	v_lshlrev_b32_e32 v98, 3, v98
	v_cndmask_b32_e32 v87, 7, v87, vcc_lo
	v_and_b32_e32 v98, 0xf8, v98
	v_or_b32_e32 v99, v46, v87
	v_and_b32_e32 v87, 7, v87
	v_cmp_ne_u32_e32 vcc_lo, 0, v99
	v_or3_b32 v86, v86, v98, v87
	v_lshlrev_b32_e32 v86, 8, v86
	v_cndmask_b32_e32 v109, 0, v86, vcc_lo
.LBB6_7491:                             ;   in Loop: Header=BB6_5548 Depth=3
	s_or_b32 exec_lo, exec_lo, s23
.LBB6_7492:                             ;   in Loop: Header=BB6_5548 Depth=3
	s_or_b32 exec_lo, exec_lo, s22
	v_and_b32_sdwa v98, v13, v72 dst_sel:DWORD dst_unused:UNUSED_PAD src0_sel:WORD_1 src1_sel:DWORD
	s_andn2_b32 vcc_lo, exec_lo, s19
	s_mov_b32 s22, -1
                                        ; implicit-def: $vgpr99
	v_cmp_lt_i16_e64 s16, 0x7f, v98
	s_cbranch_vccnz .LBB6_7506
; %bb.7493:                             ;   in Loop: Header=BB6_5548 Depth=3
	s_mov_b32 s22, 0
	s_and_saveexec_b32 s23, s16
	s_xor_b32 s16, exec_lo, s23
	s_cbranch_execz .LBB6_8282
; %bb.7494:                             ;   in Loop: Header=BB6_5548 Depth=3
	s_mov_b32 s22, -1
	s_mov_b32 s23, exec_lo
	v_cmpx_eq_u16_e32 0x80, v98
; %bb.7495:                             ;   in Loop: Header=BB6_5548 Depth=3
	s_xor_b32 s22, exec_lo, -1
; %bb.7496:                             ;   in Loop: Header=BB6_5548 Depth=3
	s_or_b32 exec_lo, exec_lo, s23
	s_and_b32 s22, s22, exec_lo
	s_or_saveexec_b32 s16, s16
	v_mov_b32_e32 v99, 0x7f800001
	s_xor_b32 exec_lo, exec_lo, s16
	s_cbranch_execnz .LBB6_8283
.LBB6_7497:                             ;   in Loop: Header=BB6_5548 Depth=3
	s_or_b32 exec_lo, exec_lo, s16
	s_and_saveexec_b32 s16, s22
	s_cbranch_execz .LBB6_7499
.LBB6_7498:                             ;   in Loop: Header=BB6_5548 Depth=3
	v_bfe_u32 v86, v13, 16, 3
	v_bfe_u32 v87, v13, 19, 4
	v_ffbh_u32_e32 v99, v86
	v_cmp_eq_u32_e32 vcc_lo, 0, v87
	v_min_u32_e32 v99, 32, v99
	v_subrev_nc_u32_e32 v112, 28, v99
	v_sub_nc_u32_e32 v99, 29, v99
	v_lshlrev_b32_sdwa v112, v112, v13 dst_sel:DWORD dst_unused:UNUSED_PAD src0_sel:DWORD src1_sel:WORD_1
	v_cndmask_b32_e32 v87, v87, v99, vcc_lo
	v_lshlrev_b32_sdwa v99, v73, v13 dst_sel:DWORD dst_unused:UNUSED_PAD src0_sel:DWORD src1_sel:WORD_1
	v_and_b32_e32 v112, 7, v112
	v_lshl_add_u32 v87, v87, 23, 0x3b800000
	v_and_b32_e32 v99, 0x80000000, v99
	v_cndmask_b32_e32 v86, v86, v112, vcc_lo
	v_lshlrev_b32_e32 v86, 20, v86
	v_or3_b32 v99, v99, v87, v86
.LBB6_7499:                             ;   in Loop: Header=BB6_5548 Depth=3
	s_or_b32 exec_lo, exec_lo, s16
	v_and_b32_sdwa v87, v9, v72 dst_sel:DWORD dst_unused:UNUSED_PAD src0_sel:WORD_1 src1_sel:DWORD
	s_mov_b32 s22, 0
	s_mov_b32 s16, exec_lo
	v_cmpx_lt_i16_e32 0x7f, v87
	s_xor_b32 s16, exec_lo, s16
	s_cbranch_execz .LBB6_8284
; %bb.7500:                             ;   in Loop: Header=BB6_5548 Depth=3
	s_mov_b32 s22, -1
	s_mov_b32 s23, exec_lo
	v_cmpx_eq_u16_e32 0x80, v87
; %bb.7501:                             ;   in Loop: Header=BB6_5548 Depth=3
	s_xor_b32 s22, exec_lo, -1
; %bb.7502:                             ;   in Loop: Header=BB6_5548 Depth=3
	s_or_b32 exec_lo, exec_lo, s23
	s_and_b32 s22, s22, exec_lo
                                        ; implicit-def: $vgpr87
	s_or_saveexec_b32 s16, s16
	v_mov_b32_e32 v86, 0x7f800001
	s_xor_b32 exec_lo, exec_lo, s16
	s_cbranch_execnz .LBB6_8285
.LBB6_7503:                             ;   in Loop: Header=BB6_5548 Depth=3
	s_or_b32 exec_lo, exec_lo, s16
	s_and_saveexec_b32 s16, s22
	s_cbranch_execz .LBB6_7505
.LBB6_7504:                             ;   in Loop: Header=BB6_5548 Depth=3
	v_bfe_u32 v86, v9, 16, 3
	v_bfe_u32 v87, v9, 19, 4
	v_ffbh_u32_e32 v112, v86
	v_cmp_eq_u32_e32 vcc_lo, 0, v87
	v_min_u32_e32 v112, 32, v112
	v_subrev_nc_u32_e32 v113, 28, v112
	v_sub_nc_u32_e32 v112, 29, v112
	v_lshlrev_b32_sdwa v113, v113, v9 dst_sel:DWORD dst_unused:UNUSED_PAD src0_sel:DWORD src1_sel:WORD_1
	v_cndmask_b32_e32 v87, v87, v112, vcc_lo
	v_lshlrev_b32_sdwa v112, v73, v9 dst_sel:DWORD dst_unused:UNUSED_PAD src0_sel:DWORD src1_sel:WORD_1
	v_and_b32_e32 v113, 7, v113
	v_lshl_add_u32 v87, v87, 23, 0x3b800000
	v_and_b32_e32 v112, 0x80000000, v112
	v_cndmask_b32_e32 v86, v86, v113, vcc_lo
	v_lshlrev_b32_e32 v86, 20, v86
	v_or3_b32 v86, v112, v87, v86
.LBB6_7505:                             ;   in Loop: Header=BB6_5548 Depth=3
	s_or_b32 exec_lo, exec_lo, s16
	v_max_f32_e32 v86, v86, v86
	v_max_f32_e32 v87, v99, v99
	s_mov_b32 s22, 0
	v_max_f32_e32 v99, v87, v86
.LBB6_7506:                             ;   in Loop: Header=BB6_5548 Depth=3
	s_and_b32 vcc_lo, exec_lo, s22
	s_cbranch_vccz .LBB6_7520
; %bb.7507:                             ;   in Loop: Header=BB6_5548 Depth=3
	s_mov_b32 s22, 0
	s_mov_b32 s16, exec_lo
	v_cmpx_lt_i16_e32 0x7f, v98
	s_xor_b32 s16, exec_lo, s16
	s_cbranch_execz .LBB6_8286
; %bb.7508:                             ;   in Loop: Header=BB6_5548 Depth=3
	s_mov_b32 s22, -1
	s_mov_b32 s23, exec_lo
	v_cmpx_eq_u16_e32 0x80, v98
; %bb.7509:                             ;   in Loop: Header=BB6_5548 Depth=3
	s_xor_b32 s22, exec_lo, -1
; %bb.7510:                             ;   in Loop: Header=BB6_5548 Depth=3
	s_or_b32 exec_lo, exec_lo, s23
	s_and_b32 s22, s22, exec_lo
                                        ; implicit-def: $vgpr98
	s_or_saveexec_b32 s16, s16
	v_mov_b32_e32 v99, 0x7f800001
	s_xor_b32 exec_lo, exec_lo, s16
	s_cbranch_execnz .LBB6_8287
.LBB6_7511:                             ;   in Loop: Header=BB6_5548 Depth=3
	s_or_b32 exec_lo, exec_lo, s16
	s_and_saveexec_b32 s16, s22
	s_cbranch_execz .LBB6_7513
.LBB6_7512:                             ;   in Loop: Header=BB6_5548 Depth=3
	v_bfe_u32 v86, v13, 16, 3
	v_bfe_u32 v87, v13, 19, 4
	v_ffbh_u32_e32 v98, v86
	v_cmp_eq_u32_e32 vcc_lo, 0, v87
	v_min_u32_e32 v98, 32, v98
	v_subrev_nc_u32_e32 v99, 28, v98
	v_sub_nc_u32_e32 v98, 29, v98
	v_lshlrev_b32_sdwa v99, v99, v13 dst_sel:DWORD dst_unused:UNUSED_PAD src0_sel:DWORD src1_sel:WORD_1
	v_cndmask_b32_e32 v87, v87, v98, vcc_lo
	v_lshlrev_b32_sdwa v98, v73, v13 dst_sel:DWORD dst_unused:UNUSED_PAD src0_sel:DWORD src1_sel:WORD_1
	v_and_b32_e32 v99, 7, v99
	v_lshl_add_u32 v87, v87, 23, 0x3b800000
	v_and_b32_e32 v98, 0x80000000, v98
	v_cndmask_b32_e32 v86, v86, v99, vcc_lo
	v_lshlrev_b32_e32 v86, 20, v86
	v_or3_b32 v99, v98, v87, v86
.LBB6_7513:                             ;   in Loop: Header=BB6_5548 Depth=3
	s_or_b32 exec_lo, exec_lo, s16
	v_and_b32_sdwa v87, v9, v72 dst_sel:DWORD dst_unused:UNUSED_PAD src0_sel:WORD_1 src1_sel:DWORD
	s_mov_b32 s22, 0
	s_mov_b32 s16, exec_lo
	v_cmpx_lt_i16_e32 0x7f, v87
	s_xor_b32 s16, exec_lo, s16
	s_cbranch_execz .LBB6_8288
; %bb.7514:                             ;   in Loop: Header=BB6_5548 Depth=3
	s_mov_b32 s22, -1
	s_mov_b32 s23, exec_lo
	v_cmpx_eq_u16_e32 0x80, v87
; %bb.7515:                             ;   in Loop: Header=BB6_5548 Depth=3
	s_xor_b32 s22, exec_lo, -1
; %bb.7516:                             ;   in Loop: Header=BB6_5548 Depth=3
	s_or_b32 exec_lo, exec_lo, s23
	s_and_b32 s22, s22, exec_lo
                                        ; implicit-def: $vgpr87
	s_or_saveexec_b32 s16, s16
	v_mov_b32_e32 v86, 0x7f800001
	s_xor_b32 exec_lo, exec_lo, s16
	s_cbranch_execnz .LBB6_8289
.LBB6_7517:                             ;   in Loop: Header=BB6_5548 Depth=3
	s_or_b32 exec_lo, exec_lo, s16
	s_and_saveexec_b32 s16, s22
	s_cbranch_execz .LBB6_7519
.LBB6_7518:                             ;   in Loop: Header=BB6_5548 Depth=3
	v_bfe_u32 v86, v9, 16, 3
	v_bfe_u32 v87, v9, 19, 4
	v_ffbh_u32_e32 v98, v86
	v_cmp_eq_u32_e32 vcc_lo, 0, v87
	v_min_u32_e32 v98, 32, v98
	v_subrev_nc_u32_e32 v112, 28, v98
	v_sub_nc_u32_e32 v98, 29, v98
	v_lshlrev_b32_sdwa v112, v112, v9 dst_sel:DWORD dst_unused:UNUSED_PAD src0_sel:DWORD src1_sel:WORD_1
	v_cndmask_b32_e32 v87, v87, v98, vcc_lo
	v_lshlrev_b32_sdwa v98, v73, v9 dst_sel:DWORD dst_unused:UNUSED_PAD src0_sel:DWORD src1_sel:WORD_1
	v_and_b32_e32 v112, 7, v112
	v_lshl_add_u32 v87, v87, 23, 0x3b800000
	v_and_b32_e32 v98, 0x80000000, v98
	v_cndmask_b32_e32 v86, v86, v112, vcc_lo
	v_lshlrev_b32_e32 v86, 20, v86
	v_or3_b32 v86, v98, v87, v86
.LBB6_7519:                             ;   in Loop: Header=BB6_5548 Depth=3
	s_or_b32 exec_lo, exec_lo, s16
	v_max_f32_e32 v86, v86, v86
	v_max_f32_e32 v87, v99, v99
	v_min_f32_e32 v99, v87, v86
.LBB6_7520:                             ;   in Loop: Header=BB6_5548 Depth=3
	v_and_b32_e32 v86, 0x7f800000, v99
	v_mov_b32_e32 v98, 0x80
	s_mov_b32 s22, exec_lo
	v_cmpx_ne_u32_e32 0x7f800000, v86
	s_cbranch_execz .LBB6_7528
; %bb.7521:                             ;   in Loop: Header=BB6_5548 Depth=3
	v_mov_b32_e32 v98, 0
	s_mov_b32 s23, exec_lo
	v_cmpx_ne_u32_e32 0, v99
	s_cbranch_execz .LBB6_7527
; %bb.7522:                             ;   in Loop: Header=BB6_5548 Depth=3
	v_bfe_u32 v87, v99, 23, 8
	v_and_b32_e32 v86, 0x7fffff, v99
                                        ; implicit-def: $vgpr46
	v_cmp_gt_u32_e64 s16, 0x79, v87
	v_sub_nc_u32_e32 v98, 0x78, v87
	v_cmp_eq_u32_e32 vcc_lo, 0, v87
	v_or_b32_e32 v112, 0x800000, v86
	v_add_nc_u32_e32 v87, 0xffffff89, v87
	v_cndmask_b32_e64 v98, 0, v98, s16
	v_cndmask_b32_e32 v86, v112, v86, vcc_lo
	v_cndmask_b32_e64 v87, v87, 0xffffff8a, vcc_lo
	v_cndmask_b32_e64 v98, v98, 0x77, vcc_lo
	v_lshl_add_u32 v112, 0x100000, v98, -1
	v_lshlrev_b32_e64 v113, v98, 0x80000
	v_and_b32_e32 v112, v112, v86
	v_lshrrev_b32_e32 v86, v98, v86
	v_add_nc_u32_e32 v98, v98, v87
	v_cmp_eq_u32_e64 s16, v112, v113
	v_lshrrev_b32_e32 v87, 23, v86
	v_xor_b32_e32 v112, 1, v87
	v_bfe_u32 v87, v86, 20, 1
	v_add_nc_u32_e32 v87, -1, v87
	v_cndmask_b32_e64 v87, 0, v87, s16
	s_mov_b32 s16, exec_lo
	v_add_nc_u32_e32 v87, v87, v86
	v_and_b32_e32 v87, 0xfffff, v87
	v_add_nc_u32_e32 v113, v87, v86
	v_cmpx_ne_u32_e64 v98, v112
	s_xor_b32 s16, exec_lo, s16
; %bb.7523:                             ;   in Loop: Header=BB6_5548 Depth=3
	v_cmp_lt_u32_e32 vcc_lo, 0xffffff, v113
	v_sub_nc_u32_e32 v86, v98, v112
	v_cndmask_b32_e64 v87, 0, 1, vcc_lo
	v_add_co_ci_u32_e64 v46, null, 0, v86, vcc_lo
	v_lshrrev_b32_e32 v113, v87, v113
; %bb.7524:                             ;   in Loop: Header=BB6_5548 Depth=3
	s_andn2_saveexec_b32 s16, s16
; %bb.7525:                             ;   in Loop: Header=BB6_5548 Depth=3
	v_bfe_u32 v46, v113, 23, 1
; %bb.7526:                             ;   in Loop: Header=BB6_5548 Depth=3
	s_or_b32 exec_lo, exec_lo, s16
	v_lshrrev_b32_e32 v87, 20, v113
	v_min_i32_e32 v98, 15, v46
	v_cmp_gt_i32_e32 vcc_lo, 16, v46
	v_and_b32_sdwa v86, v99, v62 dst_sel:DWORD dst_unused:UNUSED_PAD src0_sel:BYTE_3 src1_sel:DWORD
	v_lshlrev_b32_e32 v98, 3, v98
	v_cndmask_b32_e32 v87, 7, v87, vcc_lo
	v_and_b32_e32 v98, 0xf8, v98
	v_or_b32_e32 v99, v46, v87
	v_and_b32_e32 v87, 7, v87
	v_cmp_ne_u32_e32 vcc_lo, 0, v99
	v_or3_b32 v86, v98, v86, v87
	v_cndmask_b32_e32 v98, 0, v86, vcc_lo
.LBB6_7527:                             ;   in Loop: Header=BB6_5548 Depth=3
	s_or_b32 exec_lo, exec_lo, s23
.LBB6_7528:                             ;   in Loop: Header=BB6_5548 Depth=3
	s_or_b32 exec_lo, exec_lo, s22
	v_cmp_gt_i16_sdwa s22, v13, v61 src0_sel:BYTE_3 src1_sel:DWORD
	s_andn2_b32 vcc_lo, exec_lo, s19
	s_mov_b32 s16, -1
                                        ; implicit-def: $vgpr99
	s_cbranch_vccnz .LBB6_7542
; %bb.7529:                             ;   in Loop: Header=BB6_5548 Depth=3
	s_mov_b32 s16, 0
	s_and_saveexec_b32 s23, s22
	s_xor_b32 s22, exec_lo, s23
	s_cbranch_execz .LBB6_8290
; %bb.7530:                             ;   in Loop: Header=BB6_5548 Depth=3
	v_cmp_eq_u16_sdwa s73, v13, v62 src0_sel:BYTE_3 src1_sel:DWORD
	s_mov_b32 s16, -1
	s_and_saveexec_b32 s23, s73
; %bb.7531:                             ;   in Loop: Header=BB6_5548 Depth=3
	s_xor_b32 s16, exec_lo, -1
; %bb.7532:                             ;   in Loop: Header=BB6_5548 Depth=3
	s_or_b32 exec_lo, exec_lo, s23
	s_and_b32 s16, s16, exec_lo
	s_or_saveexec_b32 s22, s22
	v_mov_b32_e32 v99, 0x7f800001
	s_xor_b32 exec_lo, exec_lo, s22
	s_cbranch_execnz .LBB6_8291
.LBB6_7533:                             ;   in Loop: Header=BB6_5548 Depth=3
	s_or_b32 exec_lo, exec_lo, s22
	s_and_saveexec_b32 s22, s16
	s_cbranch_execz .LBB6_7535
.LBB6_7534:                             ;   in Loop: Header=BB6_5548 Depth=3
	v_bfe_u32 v86, v13, 24, 3
	v_bfe_u32 v112, v13, 27, 4
	v_ffbh_u32_e32 v87, v86
	v_cmp_eq_u32_e32 vcc_lo, 0, v112
	v_min_u32_e32 v87, 32, v87
	v_subrev_nc_u32_e32 v99, 28, v87
	v_sub_nc_u32_e32 v87, 29, v87
	v_lshlrev_b32_sdwa v99, v99, v13 dst_sel:DWORD dst_unused:UNUSED_PAD src0_sel:DWORD src1_sel:BYTE_3
	v_cndmask_b32_e32 v87, v112, v87, vcc_lo
	v_and_b32_e32 v99, 7, v99
	v_lshl_add_u32 v87, v87, 23, 0x3b800000
	v_cndmask_b32_e32 v86, v86, v99, vcc_lo
	v_and_b32_e32 v99, 0x80000000, v13
	v_lshlrev_b32_e32 v86, 20, v86
	v_or3_b32 v99, v99, v87, v86
.LBB6_7535:                             ;   in Loop: Header=BB6_5548 Depth=3
	s_or_b32 exec_lo, exec_lo, s22
	v_cmp_gt_i16_sdwa s22, v9, v61 src0_sel:BYTE_3 src1_sel:DWORD
	s_mov_b32 s16, 0
	s_and_saveexec_b32 s23, s22
	s_xor_b32 s22, exec_lo, s23
	s_cbranch_execz .LBB6_8292
; %bb.7536:                             ;   in Loop: Header=BB6_5548 Depth=3
	v_cmp_eq_u16_sdwa s73, v9, v62 src0_sel:BYTE_3 src1_sel:DWORD
	s_mov_b32 s16, -1
	s_and_saveexec_b32 s23, s73
; %bb.7537:                             ;   in Loop: Header=BB6_5548 Depth=3
	s_xor_b32 s16, exec_lo, -1
; %bb.7538:                             ;   in Loop: Header=BB6_5548 Depth=3
	s_or_b32 exec_lo, exec_lo, s23
	s_and_b32 s16, s16, exec_lo
	s_or_saveexec_b32 s22, s22
	v_mov_b32_e32 v86, 0x7f800001
	s_xor_b32 exec_lo, exec_lo, s22
	s_cbranch_execnz .LBB6_8293
.LBB6_7539:                             ;   in Loop: Header=BB6_5548 Depth=3
	s_or_b32 exec_lo, exec_lo, s22
	s_and_saveexec_b32 s22, s16
	s_cbranch_execz .LBB6_7541
.LBB6_7540:                             ;   in Loop: Header=BB6_5548 Depth=3
	v_bfe_u32 v86, v9, 24, 3
	v_bfe_u32 v113, v9, 27, 4
	v_ffbh_u32_e32 v87, v86
	v_cmp_eq_u32_e32 vcc_lo, 0, v113
	v_min_u32_e32 v87, 32, v87
	v_subrev_nc_u32_e32 v112, 28, v87
	v_sub_nc_u32_e32 v87, 29, v87
	v_lshlrev_b32_sdwa v112, v112, v9 dst_sel:DWORD dst_unused:UNUSED_PAD src0_sel:DWORD src1_sel:BYTE_3
	v_cndmask_b32_e32 v87, v113, v87, vcc_lo
	v_and_b32_e32 v112, 7, v112
	v_lshl_add_u32 v87, v87, 23, 0x3b800000
	v_cndmask_b32_e32 v86, v86, v112, vcc_lo
	v_and_b32_e32 v112, 0x80000000, v9
	v_lshlrev_b32_e32 v86, 20, v86
	v_or3_b32 v86, v112, v87, v86
.LBB6_7541:                             ;   in Loop: Header=BB6_5548 Depth=3
	s_or_b32 exec_lo, exec_lo, s22
	v_max_f32_e32 v86, v86, v86
	v_max_f32_e32 v87, v99, v99
	s_mov_b32 s16, 0
	v_max_f32_e32 v99, v87, v86
.LBB6_7542:                             ;   in Loop: Header=BB6_5548 Depth=3
	s_and_b32 vcc_lo, exec_lo, s16
	s_cbranch_vccz .LBB6_7556
; %bb.7543:                             ;   in Loop: Header=BB6_5548 Depth=3
	v_cmp_gt_i16_sdwa s22, v13, v61 src0_sel:BYTE_3 src1_sel:DWORD
	s_mov_b32 s16, 0
	s_and_saveexec_b32 s23, s22
	s_xor_b32 s22, exec_lo, s23
	s_cbranch_execz .LBB6_8294
; %bb.7544:                             ;   in Loop: Header=BB6_5548 Depth=3
	v_cmp_eq_u16_sdwa s73, v13, v62 src0_sel:BYTE_3 src1_sel:DWORD
	s_mov_b32 s16, -1
	s_and_saveexec_b32 s23, s73
; %bb.7545:                             ;   in Loop: Header=BB6_5548 Depth=3
	s_xor_b32 s16, exec_lo, -1
; %bb.7546:                             ;   in Loop: Header=BB6_5548 Depth=3
	s_or_b32 exec_lo, exec_lo, s23
	s_and_b32 s16, s16, exec_lo
	s_or_saveexec_b32 s22, s22
	v_mov_b32_e32 v99, 0x7f800001
	s_xor_b32 exec_lo, exec_lo, s22
	s_cbranch_execnz .LBB6_8295
.LBB6_7547:                             ;   in Loop: Header=BB6_5548 Depth=3
	s_or_b32 exec_lo, exec_lo, s22
	s_and_saveexec_b32 s22, s16
	s_cbranch_execz .LBB6_7549
.LBB6_7548:                             ;   in Loop: Header=BB6_5548 Depth=3
	v_bfe_u32 v86, v13, 24, 3
	v_bfe_u32 v112, v13, 27, 4
	v_ffbh_u32_e32 v87, v86
	v_cmp_eq_u32_e32 vcc_lo, 0, v112
	v_min_u32_e32 v87, 32, v87
	v_subrev_nc_u32_e32 v99, 28, v87
	v_sub_nc_u32_e32 v87, 29, v87
	v_lshlrev_b32_sdwa v99, v99, v13 dst_sel:DWORD dst_unused:UNUSED_PAD src0_sel:DWORD src1_sel:BYTE_3
	v_cndmask_b32_e32 v87, v112, v87, vcc_lo
	v_and_b32_e32 v13, 0x80000000, v13
	v_and_b32_e32 v99, 7, v99
	v_lshl_add_u32 v87, v87, 23, 0x3b800000
	v_cndmask_b32_e32 v86, v86, v99, vcc_lo
	v_lshlrev_b32_e32 v86, 20, v86
	v_or3_b32 v99, v13, v87, v86
.LBB6_7549:                             ;   in Loop: Header=BB6_5548 Depth=3
	s_or_b32 exec_lo, exec_lo, s22
	v_cmp_gt_i16_sdwa s22, v9, v61 src0_sel:BYTE_3 src1_sel:DWORD
	s_mov_b32 s16, 0
	s_and_saveexec_b32 s23, s22
	s_xor_b32 s22, exec_lo, s23
	s_cbranch_execz .LBB6_8296
; %bb.7550:                             ;   in Loop: Header=BB6_5548 Depth=3
	v_cmp_eq_u16_sdwa s73, v9, v62 src0_sel:BYTE_3 src1_sel:DWORD
	s_mov_b32 s16, -1
	s_and_saveexec_b32 s23, s73
; %bb.7551:                             ;   in Loop: Header=BB6_5548 Depth=3
	s_xor_b32 s16, exec_lo, -1
; %bb.7552:                             ;   in Loop: Header=BB6_5548 Depth=3
	s_or_b32 exec_lo, exec_lo, s23
	s_and_b32 s16, s16, exec_lo
	s_or_saveexec_b32 s22, s22
	v_mov_b32_e32 v13, 0x7f800001
	s_xor_b32 exec_lo, exec_lo, s22
	s_cbranch_execnz .LBB6_8297
.LBB6_7553:                             ;   in Loop: Header=BB6_5548 Depth=3
	s_or_b32 exec_lo, exec_lo, s22
	s_and_saveexec_b32 s22, s16
	s_cbranch_execz .LBB6_7555
.LBB6_7554:                             ;   in Loop: Header=BB6_5548 Depth=3
	v_bfe_u32 v13, v9, 24, 3
	v_bfe_u32 v112, v9, 27, 4
	v_ffbh_u32_e32 v86, v13
	v_cmp_eq_u32_e32 vcc_lo, 0, v112
	v_min_u32_e32 v86, 32, v86
	v_subrev_nc_u32_e32 v87, 28, v86
	v_sub_nc_u32_e32 v86, 29, v86
	v_lshlrev_b32_sdwa v87, v87, v9 dst_sel:DWORD dst_unused:UNUSED_PAD src0_sel:DWORD src1_sel:BYTE_3
	v_cndmask_b32_e32 v86, v112, v86, vcc_lo
	v_and_b32_e32 v9, 0x80000000, v9
	v_and_b32_e32 v87, 7, v87
	v_lshl_add_u32 v86, v86, 23, 0x3b800000
	v_cndmask_b32_e32 v13, v13, v87, vcc_lo
	v_lshlrev_b32_e32 v13, 20, v13
	v_or3_b32 v13, v9, v86, v13
.LBB6_7555:                             ;   in Loop: Header=BB6_5548 Depth=3
	s_or_b32 exec_lo, exec_lo, s22
	v_max_f32_e32 v9, v13, v13
	v_max_f32_e32 v13, v99, v99
	v_min_f32_e32 v99, v13, v9
.LBB6_7556:                             ;   in Loop: Header=BB6_5548 Depth=3
	v_and_b32_e32 v9, 0x7f800000, v99
	v_cmp_ne_u32_e32 vcc_lo, 0x7f800000, v9
	v_mov_b32_e32 v9, 0x8000
	s_and_saveexec_b32 s22, vcc_lo
	s_cbranch_execz .LBB6_7564
; %bb.7557:                             ;   in Loop: Header=BB6_5548 Depth=3
	v_mov_b32_e32 v9, 0
	s_mov_b32 s23, exec_lo
	v_cmpx_ne_u32_e32 0, v99
	s_cbranch_execz .LBB6_7563
; %bb.7558:                             ;   in Loop: Header=BB6_5548 Depth=3
	v_bfe_u32 v13, v99, 23, 8
	v_and_b32_e32 v9, 0x7fffff, v99
                                        ; implicit-def: $vgpr113
	v_cmp_gt_u32_e64 s16, 0x79, v13
	v_sub_nc_u32_e32 v86, 0x78, v13
	v_cmp_eq_u32_e32 vcc_lo, 0, v13
	v_or_b32_e32 v87, 0x800000, v9
	v_cndmask_b32_e64 v86, 0, v86, s16
	v_cndmask_b32_e32 v9, v87, v9, vcc_lo
	v_cndmask_b32_e64 v86, v86, 0x77, vcc_lo
	v_lshl_add_u32 v87, 0x100000, v86, -1
	v_lshlrev_b32_e64 v112, v86, 0x80000
	v_and_b32_e32 v87, v87, v9
	v_cmp_eq_u32_e64 s16, v87, v112
	v_lshrrev_b32_e32 v87, v86, v9
	v_add_nc_u32_e32 v9, 0xffffff89, v13
	v_lshrrev_b32_e32 v13, 23, v87
	v_cndmask_b32_e64 v9, v9, 0xffffff8a, vcc_lo
	v_xor_b32_e32 v13, 1, v13
	v_add_nc_u32_e32 v9, v86, v9
	v_bfe_u32 v86, v87, 20, 1
	v_add_nc_u32_e32 v86, -1, v86
	v_cndmask_b32_e64 v86, 0, v86, s16
	s_mov_b32 s16, exec_lo
	v_add_nc_u32_e32 v86, v86, v87
	v_and_b32_e32 v86, 0xfffff, v86
	v_add_nc_u32_e32 v112, v86, v87
	v_cmpx_ne_u32_e64 v9, v13
	s_xor_b32 s16, exec_lo, s16
; %bb.7559:                             ;   in Loop: Header=BB6_5548 Depth=3
	v_cmp_lt_u32_e32 vcc_lo, 0xffffff, v112
	v_sub_nc_u32_e32 v9, v9, v13
	v_cndmask_b32_e64 v13, 0, 1, vcc_lo
	v_add_co_ci_u32_e64 v113, null, 0, v9, vcc_lo
	v_lshrrev_b32_e32 v112, v13, v112
; %bb.7560:                             ;   in Loop: Header=BB6_5548 Depth=3
	s_andn2_saveexec_b32 s16, s16
; %bb.7561:                             ;   in Loop: Header=BB6_5548 Depth=3
	v_bfe_u32 v113, v112, 23, 1
; %bb.7562:                             ;   in Loop: Header=BB6_5548 Depth=3
	s_or_b32 exec_lo, exec_lo, s16
	v_lshrrev_b32_e32 v13, 20, v112
	v_min_i32_e32 v86, 15, v113
	v_cmp_gt_i32_e32 vcc_lo, 16, v113
	v_and_b32_sdwa v9, v99, v62 dst_sel:DWORD dst_unused:UNUSED_PAD src0_sel:BYTE_3 src1_sel:DWORD
	v_lshlrev_b32_e32 v86, 3, v86
	v_cndmask_b32_e32 v13, 7, v13, vcc_lo
	v_and_b32_e32 v86, 0xf8, v86
	v_or_b32_e32 v87, v113, v13
	v_and_b32_e32 v13, 7, v13
	v_cmp_ne_u32_e32 vcc_lo, 0, v87
	v_or3_b32 v9, v9, v86, v13
	v_lshlrev_b32_e32 v9, 8, v9
	v_cndmask_b32_e32 v9, 0, v9, vcc_lo
.LBB6_7563:                             ;   in Loop: Header=BB6_5548 Depth=3
	s_or_b32 exec_lo, exec_lo, s23
.LBB6_7564:                             ;   in Loop: Header=BB6_5548 Depth=3
	s_or_b32 exec_lo, exec_lo, s22
	v_cmp_gt_i16_sdwa s23, v14, v61 src0_sel:BYTE_0 src1_sel:DWORD
	s_andn2_b32 vcc_lo, exec_lo, s19
	s_mov_b32 s16, -1
                                        ; implicit-def: $vgpr99
	s_cbranch_vccnz .LBB6_7578
; %bb.7565:                             ;   in Loop: Header=BB6_5548 Depth=3
	s_mov_b32 s22, 0
	s_and_saveexec_b32 s16, s23
	s_xor_b32 s16, exec_lo, s16
	s_cbranch_execz .LBB6_8298
; %bb.7566:                             ;   in Loop: Header=BB6_5548 Depth=3
	v_cmp_eq_u16_sdwa s73, v14, v62 src0_sel:BYTE_0 src1_sel:DWORD
	s_mov_b32 s22, -1
	s_and_saveexec_b32 s23, s73
; %bb.7567:                             ;   in Loop: Header=BB6_5548 Depth=3
	s_xor_b32 s22, exec_lo, -1
; %bb.7568:                             ;   in Loop: Header=BB6_5548 Depth=3
	s_or_b32 exec_lo, exec_lo, s23
	s_and_b32 s22, s22, exec_lo
	s_or_saveexec_b32 s16, s16
	v_mov_b32_e32 v13, 0x7f800001
	s_xor_b32 exec_lo, exec_lo, s16
	s_cbranch_execnz .LBB6_8299
.LBB6_7569:                             ;   in Loop: Header=BB6_5548 Depth=3
	s_or_b32 exec_lo, exec_lo, s16
	s_and_saveexec_b32 s16, s22
	s_cbranch_execz .LBB6_7571
.LBB6_7570:                             ;   in Loop: Header=BB6_5548 Depth=3
	v_and_b32_e32 v13, 7, v14
	v_bfe_u32 v86, v14, 3, 4
	v_ffbh_u32_e32 v87, v13
	v_cmp_eq_u32_e32 vcc_lo, 0, v86
	v_min_u32_e32 v87, 32, v87
	v_subrev_nc_u32_e32 v99, 28, v87
	v_sub_nc_u32_e32 v87, 29, v87
	v_lshlrev_b32_e32 v99, v99, v14
	v_cndmask_b32_e32 v86, v86, v87, vcc_lo
	v_lshlrev_b32_e32 v87, 24, v14
	v_and_b32_e32 v99, 7, v99
	v_lshl_add_u32 v86, v86, 23, 0x3b800000
	v_and_b32_e32 v87, 0x80000000, v87
	v_cndmask_b32_e32 v13, v13, v99, vcc_lo
	v_lshlrev_b32_e32 v13, 20, v13
	v_or3_b32 v13, v87, v86, v13
.LBB6_7571:                             ;   in Loop: Header=BB6_5548 Depth=3
	s_or_b32 exec_lo, exec_lo, s16
	v_cmp_gt_i16_sdwa s16, v10, v61 src0_sel:BYTE_0 src1_sel:DWORD
	s_mov_b32 s22, 0
	s_and_saveexec_b32 s23, s16
	s_xor_b32 s16, exec_lo, s23
	s_cbranch_execz .LBB6_8300
; %bb.7572:                             ;   in Loop: Header=BB6_5548 Depth=3
	v_cmp_eq_u16_sdwa s73, v10, v62 src0_sel:BYTE_0 src1_sel:DWORD
	s_mov_b32 s22, -1
	s_and_saveexec_b32 s23, s73
; %bb.7573:                             ;   in Loop: Header=BB6_5548 Depth=3
	s_xor_b32 s22, exec_lo, -1
; %bb.7574:                             ;   in Loop: Header=BB6_5548 Depth=3
	s_or_b32 exec_lo, exec_lo, s23
	s_and_b32 s22, s22, exec_lo
	s_or_saveexec_b32 s16, s16
	v_mov_b32_e32 v86, 0x7f800001
	s_xor_b32 exec_lo, exec_lo, s16
	s_cbranch_execnz .LBB6_8301
.LBB6_7575:                             ;   in Loop: Header=BB6_5548 Depth=3
	s_or_b32 exec_lo, exec_lo, s16
	s_and_saveexec_b32 s16, s22
	s_cbranch_execz .LBB6_7577
.LBB6_7576:                             ;   in Loop: Header=BB6_5548 Depth=3
	v_and_b32_e32 v86, 7, v10
	v_bfe_u32 v87, v10, 3, 4
	v_ffbh_u32_e32 v99, v86
	v_cmp_eq_u32_e32 vcc_lo, 0, v87
	v_min_u32_e32 v99, 32, v99
	v_subrev_nc_u32_e32 v112, 28, v99
	v_sub_nc_u32_e32 v99, 29, v99
	v_lshlrev_b32_e32 v112, v112, v10
	v_cndmask_b32_e32 v87, v87, v99, vcc_lo
	v_lshlrev_b32_e32 v99, 24, v10
	v_and_b32_e32 v112, 7, v112
	v_lshl_add_u32 v87, v87, 23, 0x3b800000
	v_and_b32_e32 v99, 0x80000000, v99
	v_cndmask_b32_e32 v86, v86, v112, vcc_lo
	v_lshlrev_b32_e32 v86, 20, v86
	v_or3_b32 v86, v99, v87, v86
.LBB6_7577:                             ;   in Loop: Header=BB6_5548 Depth=3
	s_or_b32 exec_lo, exec_lo, s16
	v_max_f32_e32 v86, v86, v86
	v_max_f32_e32 v13, v13, v13
	s_mov_b32 s16, 0
	v_max_f32_e32 v99, v13, v86
.LBB6_7578:                             ;   in Loop: Header=BB6_5548 Depth=3
	s_and_b32 vcc_lo, exec_lo, s16
	s_cbranch_vccz .LBB6_7592
; %bb.7579:                             ;   in Loop: Header=BB6_5548 Depth=3
	v_cmp_gt_i16_sdwa s16, v14, v61 src0_sel:BYTE_0 src1_sel:DWORD
	s_mov_b32 s22, 0
	s_and_saveexec_b32 s23, s16
	s_xor_b32 s16, exec_lo, s23
	s_cbranch_execz .LBB6_8302
; %bb.7580:                             ;   in Loop: Header=BB6_5548 Depth=3
	v_cmp_eq_u16_sdwa s73, v14, v62 src0_sel:BYTE_0 src1_sel:DWORD
	s_mov_b32 s22, -1
	s_and_saveexec_b32 s23, s73
; %bb.7581:                             ;   in Loop: Header=BB6_5548 Depth=3
	s_xor_b32 s22, exec_lo, -1
; %bb.7582:                             ;   in Loop: Header=BB6_5548 Depth=3
	s_or_b32 exec_lo, exec_lo, s23
	s_and_b32 s22, s22, exec_lo
	s_or_saveexec_b32 s16, s16
	v_mov_b32_e32 v13, 0x7f800001
	s_xor_b32 exec_lo, exec_lo, s16
	s_cbranch_execnz .LBB6_8303
.LBB6_7583:                             ;   in Loop: Header=BB6_5548 Depth=3
	s_or_b32 exec_lo, exec_lo, s16
	s_and_saveexec_b32 s16, s22
	s_cbranch_execz .LBB6_7585
.LBB6_7584:                             ;   in Loop: Header=BB6_5548 Depth=3
	v_and_b32_e32 v13, 7, v14
	v_bfe_u32 v86, v14, 3, 4
	v_ffbh_u32_e32 v87, v13
	v_cmp_eq_u32_e32 vcc_lo, 0, v86
	v_min_u32_e32 v87, 32, v87
	v_subrev_nc_u32_e32 v99, 28, v87
	v_sub_nc_u32_e32 v87, 29, v87
	v_lshlrev_b32_e32 v99, v99, v14
	v_cndmask_b32_e32 v86, v86, v87, vcc_lo
	v_lshlrev_b32_e32 v87, 24, v14
	v_and_b32_e32 v99, 7, v99
	v_lshl_add_u32 v86, v86, 23, 0x3b800000
	v_and_b32_e32 v87, 0x80000000, v87
	v_cndmask_b32_e32 v13, v13, v99, vcc_lo
	v_lshlrev_b32_e32 v13, 20, v13
	v_or3_b32 v13, v87, v86, v13
.LBB6_7585:                             ;   in Loop: Header=BB6_5548 Depth=3
	s_or_b32 exec_lo, exec_lo, s16
	v_cmp_gt_i16_sdwa s16, v10, v61 src0_sel:BYTE_0 src1_sel:DWORD
	s_mov_b32 s22, 0
	s_and_saveexec_b32 s23, s16
	s_xor_b32 s16, exec_lo, s23
	s_cbranch_execz .LBB6_8304
; %bb.7586:                             ;   in Loop: Header=BB6_5548 Depth=3
	v_cmp_eq_u16_sdwa s73, v10, v62 src0_sel:BYTE_0 src1_sel:DWORD
	s_mov_b32 s22, -1
	s_and_saveexec_b32 s23, s73
; %bb.7587:                             ;   in Loop: Header=BB6_5548 Depth=3
	s_xor_b32 s22, exec_lo, -1
; %bb.7588:                             ;   in Loop: Header=BB6_5548 Depth=3
	s_or_b32 exec_lo, exec_lo, s23
	s_and_b32 s22, s22, exec_lo
	s_or_saveexec_b32 s16, s16
	v_mov_b32_e32 v86, 0x7f800001
	s_xor_b32 exec_lo, exec_lo, s16
	s_cbranch_execnz .LBB6_8305
.LBB6_7589:                             ;   in Loop: Header=BB6_5548 Depth=3
	s_or_b32 exec_lo, exec_lo, s16
	s_and_saveexec_b32 s16, s22
	s_cbranch_execz .LBB6_7591
.LBB6_7590:                             ;   in Loop: Header=BB6_5548 Depth=3
	v_and_b32_e32 v86, 7, v10
	v_bfe_u32 v87, v10, 3, 4
	v_ffbh_u32_e32 v99, v86
	v_cmp_eq_u32_e32 vcc_lo, 0, v87
	v_min_u32_e32 v99, 32, v99
	v_subrev_nc_u32_e32 v112, 28, v99
	v_sub_nc_u32_e32 v99, 29, v99
	v_lshlrev_b32_e32 v112, v112, v10
	v_cndmask_b32_e32 v87, v87, v99, vcc_lo
	v_lshlrev_b32_e32 v99, 24, v10
	v_and_b32_e32 v112, 7, v112
	v_lshl_add_u32 v87, v87, 23, 0x3b800000
	v_and_b32_e32 v99, 0x80000000, v99
	v_cndmask_b32_e32 v86, v86, v112, vcc_lo
	v_lshlrev_b32_e32 v86, 20, v86
	v_or3_b32 v86, v99, v87, v86
.LBB6_7591:                             ;   in Loop: Header=BB6_5548 Depth=3
	s_or_b32 exec_lo, exec_lo, s16
	v_max_f32_e32 v86, v86, v86
	v_max_f32_e32 v13, v13, v13
	v_min_f32_e32 v99, v13, v86
.LBB6_7592:                             ;   in Loop: Header=BB6_5548 Depth=3
	v_and_b32_e32 v13, 0x7f800000, v99
	v_cmp_ne_u32_e32 vcc_lo, 0x7f800000, v13
	v_mov_b32_e32 v13, 0x80
	s_and_saveexec_b32 s22, vcc_lo
	s_cbranch_execz .LBB6_7600
; %bb.7593:                             ;   in Loop: Header=BB6_5548 Depth=3
	v_mov_b32_e32 v13, 0
	s_mov_b32 s23, exec_lo
	v_cmpx_ne_u32_e32 0, v99
	s_cbranch_execz .LBB6_7599
; %bb.7594:                             ;   in Loop: Header=BB6_5548 Depth=3
	v_bfe_u32 v86, v99, 23, 8
	v_and_b32_e32 v13, 0x7fffff, v99
                                        ; implicit-def: $vgpr46
	v_cmp_gt_u32_e64 s16, 0x79, v86
	v_sub_nc_u32_e32 v87, 0x78, v86
	v_cmp_eq_u32_e32 vcc_lo, 0, v86
	v_or_b32_e32 v112, 0x800000, v13
	v_cndmask_b32_e64 v87, 0, v87, s16
	v_cndmask_b32_e32 v13, v112, v13, vcc_lo
	v_cndmask_b32_e64 v87, v87, 0x77, vcc_lo
	v_lshl_add_u32 v112, 0x100000, v87, -1
	v_lshlrev_b32_e64 v113, v87, 0x80000
	v_and_b32_e32 v112, v112, v13
	v_cmp_eq_u32_e64 s16, v112, v113
	v_lshrrev_b32_e32 v113, v87, v13
	v_add_nc_u32_e32 v13, 0xffffff89, v86
	v_lshrrev_b32_e32 v86, 23, v113
	v_cndmask_b32_e64 v13, v13, 0xffffff8a, vcc_lo
	v_xor_b32_e32 v112, 1, v86
	v_bfe_u32 v86, v113, 20, 1
	v_add_nc_u32_e32 v13, v87, v13
	v_add_nc_u32_e32 v86, -1, v86
	v_cndmask_b32_e64 v86, 0, v86, s16
	s_mov_b32 s16, exec_lo
	v_add_nc_u32_e32 v86, v86, v113
	v_and_b32_e32 v86, 0xfffff, v86
	v_add_nc_u32_e32 v113, v86, v113
	v_cmpx_ne_u32_e64 v13, v112
	s_xor_b32 s16, exec_lo, s16
; %bb.7595:                             ;   in Loop: Header=BB6_5548 Depth=3
	v_cmp_lt_u32_e32 vcc_lo, 0xffffff, v113
	v_sub_nc_u32_e32 v13, v13, v112
	v_cndmask_b32_e64 v86, 0, 1, vcc_lo
	v_add_co_ci_u32_e64 v46, null, 0, v13, vcc_lo
	v_lshrrev_b32_e32 v113, v86, v113
; %bb.7596:                             ;   in Loop: Header=BB6_5548 Depth=3
	s_andn2_saveexec_b32 s16, s16
; %bb.7597:                             ;   in Loop: Header=BB6_5548 Depth=3
	v_bfe_u32 v46, v113, 23, 1
; %bb.7598:                             ;   in Loop: Header=BB6_5548 Depth=3
	s_or_b32 exec_lo, exec_lo, s16
	v_lshrrev_b32_e32 v86, 20, v113
	v_min_i32_e32 v87, 15, v46
	v_cmp_gt_i32_e32 vcc_lo, 16, v46
	v_and_b32_sdwa v13, v99, v62 dst_sel:DWORD dst_unused:UNUSED_PAD src0_sel:BYTE_3 src1_sel:DWORD
	v_lshlrev_b32_e32 v87, 3, v87
	v_cndmask_b32_e32 v86, 7, v86, vcc_lo
	v_and_b32_e32 v87, 0xf8, v87
	v_or_b32_e32 v99, v46, v86
	v_and_b32_e32 v86, 7, v86
	v_cmp_ne_u32_e32 vcc_lo, 0, v99
	v_or3_b32 v13, v87, v13, v86
	v_cndmask_b32_e32 v13, 0, v13, vcc_lo
.LBB6_7599:                             ;   in Loop: Header=BB6_5548 Depth=3
	s_or_b32 exec_lo, exec_lo, s23
.LBB6_7600:                             ;   in Loop: Header=BB6_5548 Depth=3
	s_or_b32 exec_lo, exec_lo, s22
	v_cmp_gt_i16_sdwa s22, v14, v61 src0_sel:BYTE_1 src1_sel:DWORD
	s_andn2_b32 vcc_lo, exec_lo, s19
	s_mov_b32 s16, -1
                                        ; implicit-def: $vgpr112
	s_cbranch_vccnz .LBB6_7614
; %bb.7601:                             ;   in Loop: Header=BB6_5548 Depth=3
	s_mov_b32 s16, 0
	s_and_saveexec_b32 s23, s22
	s_xor_b32 s22, exec_lo, s23
	s_cbranch_execz .LBB6_8306
; %bb.7602:                             ;   in Loop: Header=BB6_5548 Depth=3
	v_cmp_eq_u16_sdwa s73, v14, v62 src0_sel:BYTE_1 src1_sel:DWORD
	s_mov_b32 s16, -1
	s_and_saveexec_b32 s23, s73
; %bb.7603:                             ;   in Loop: Header=BB6_5548 Depth=3
	s_xor_b32 s16, exec_lo, -1
; %bb.7604:                             ;   in Loop: Header=BB6_5548 Depth=3
	s_or_b32 exec_lo, exec_lo, s23
	s_and_b32 s16, s16, exec_lo
	s_or_saveexec_b32 s22, s22
	v_mov_b32_e32 v99, 0x7f800001
	s_xor_b32 exec_lo, exec_lo, s22
	s_cbranch_execnz .LBB6_8307
.LBB6_7605:                             ;   in Loop: Header=BB6_5548 Depth=3
	s_or_b32 exec_lo, exec_lo, s22
	s_and_saveexec_b32 s22, s16
	s_cbranch_execz .LBB6_7607
.LBB6_7606:                             ;   in Loop: Header=BB6_5548 Depth=3
	v_and_b32_sdwa v86, v63, v14 dst_sel:DWORD dst_unused:UNUSED_PAD src0_sel:DWORD src1_sel:BYTE_1
	v_and_b32_e32 v87, 7, v86
	v_bfe_u32 v113, v86, 3, 4
	v_ffbh_u32_e32 v99, v87
	v_cmp_eq_u32_e32 vcc_lo, 0, v113
	v_min_u32_e32 v99, 32, v99
	v_subrev_nc_u32_e32 v112, 28, v99
	v_sub_nc_u32_e32 v99, 29, v99
	v_lshlrev_b32_e32 v86, v112, v86
	v_lshlrev_b32_e32 v112, 16, v14
	v_cndmask_b32_e32 v99, v113, v99, vcc_lo
	v_and_b32_e32 v86, 7, v86
	v_lshl_add_u32 v99, v99, 23, 0x3b800000
	v_cndmask_b32_e32 v86, v87, v86, vcc_lo
	v_and_b32_e32 v87, 0x80000000, v112
	v_lshlrev_b32_e32 v86, 20, v86
	v_or3_b32 v99, v87, v99, v86
.LBB6_7607:                             ;   in Loop: Header=BB6_5548 Depth=3
	s_or_b32 exec_lo, exec_lo, s22
	v_cmp_gt_i16_sdwa s22, v10, v61 src0_sel:BYTE_1 src1_sel:DWORD
	s_mov_b32 s16, 0
	s_and_saveexec_b32 s23, s22
	s_xor_b32 s22, exec_lo, s23
	s_cbranch_execz .LBB6_8308
; %bb.7608:                             ;   in Loop: Header=BB6_5548 Depth=3
	v_cmp_eq_u16_sdwa s73, v10, v62 src0_sel:BYTE_1 src1_sel:DWORD
	s_mov_b32 s16, -1
	s_and_saveexec_b32 s23, s73
; %bb.7609:                             ;   in Loop: Header=BB6_5548 Depth=3
	s_xor_b32 s16, exec_lo, -1
; %bb.7610:                             ;   in Loop: Header=BB6_5548 Depth=3
	s_or_b32 exec_lo, exec_lo, s23
	s_and_b32 s16, s16, exec_lo
	s_or_saveexec_b32 s22, s22
	v_mov_b32_e32 v86, 0x7f800001
	s_xor_b32 exec_lo, exec_lo, s22
	s_cbranch_execnz .LBB6_8309
.LBB6_7611:                             ;   in Loop: Header=BB6_5548 Depth=3
	s_or_b32 exec_lo, exec_lo, s22
	s_and_saveexec_b32 s22, s16
	s_cbranch_execz .LBB6_7613
.LBB6_7612:                             ;   in Loop: Header=BB6_5548 Depth=3
	v_and_b32_sdwa v86, v63, v10 dst_sel:DWORD dst_unused:UNUSED_PAD src0_sel:DWORD src1_sel:BYTE_1
	v_and_b32_e32 v87, 7, v86
	v_bfe_u32 v46, v86, 3, 4
	v_ffbh_u32_e32 v112, v87
	v_cmp_eq_u32_e32 vcc_lo, 0, v46
	v_min_u32_e32 v112, 32, v112
	v_subrev_nc_u32_e32 v113, 28, v112
	v_sub_nc_u32_e32 v112, 29, v112
	v_lshlrev_b32_e32 v86, v113, v86
	v_lshlrev_b32_e32 v113, 16, v10
	v_cndmask_b32_e32 v112, v46, v112, vcc_lo
	v_and_b32_e32 v86, 7, v86
	v_lshl_add_u32 v112, v112, 23, 0x3b800000
	v_cndmask_b32_e32 v86, v87, v86, vcc_lo
	v_and_b32_e32 v87, 0x80000000, v113
	v_lshlrev_b32_e32 v86, 20, v86
	v_or3_b32 v86, v87, v112, v86
.LBB6_7613:                             ;   in Loop: Header=BB6_5548 Depth=3
	s_or_b32 exec_lo, exec_lo, s22
	v_max_f32_e32 v86, v86, v86
	v_max_f32_e32 v87, v99, v99
	s_mov_b32 s16, 0
	v_max_f32_e32 v112, v87, v86
.LBB6_7614:                             ;   in Loop: Header=BB6_5548 Depth=3
	s_and_b32 vcc_lo, exec_lo, s16
	s_cbranch_vccz .LBB6_7628
; %bb.7615:                             ;   in Loop: Header=BB6_5548 Depth=3
	v_cmp_gt_i16_sdwa s22, v14, v61 src0_sel:BYTE_1 src1_sel:DWORD
	s_mov_b32 s16, 0
	s_and_saveexec_b32 s23, s22
	s_xor_b32 s22, exec_lo, s23
	s_cbranch_execz .LBB6_8310
; %bb.7616:                             ;   in Loop: Header=BB6_5548 Depth=3
	v_cmp_eq_u16_sdwa s73, v14, v62 src0_sel:BYTE_1 src1_sel:DWORD
	s_mov_b32 s16, -1
	s_and_saveexec_b32 s23, s73
; %bb.7617:                             ;   in Loop: Header=BB6_5548 Depth=3
	s_xor_b32 s16, exec_lo, -1
; %bb.7618:                             ;   in Loop: Header=BB6_5548 Depth=3
	s_or_b32 exec_lo, exec_lo, s23
	s_and_b32 s16, s16, exec_lo
	s_or_saveexec_b32 s22, s22
	v_mov_b32_e32 v99, 0x7f800001
	s_xor_b32 exec_lo, exec_lo, s22
	s_cbranch_execnz .LBB6_8311
.LBB6_7619:                             ;   in Loop: Header=BB6_5548 Depth=3
	s_or_b32 exec_lo, exec_lo, s22
	s_and_saveexec_b32 s22, s16
	s_cbranch_execz .LBB6_7621
.LBB6_7620:                             ;   in Loop: Header=BB6_5548 Depth=3
	v_and_b32_sdwa v86, v63, v14 dst_sel:DWORD dst_unused:UNUSED_PAD src0_sel:DWORD src1_sel:BYTE_1
	v_and_b32_e32 v87, 7, v86
	v_bfe_u32 v113, v86, 3, 4
	v_ffbh_u32_e32 v99, v87
	v_cmp_eq_u32_e32 vcc_lo, 0, v113
	v_min_u32_e32 v99, 32, v99
	v_subrev_nc_u32_e32 v112, 28, v99
	v_sub_nc_u32_e32 v99, 29, v99
	v_lshlrev_b32_e32 v86, v112, v86
	v_lshlrev_b32_e32 v112, 16, v14
	v_cndmask_b32_e32 v99, v113, v99, vcc_lo
	v_and_b32_e32 v86, 7, v86
	v_lshl_add_u32 v99, v99, 23, 0x3b800000
	v_cndmask_b32_e32 v86, v87, v86, vcc_lo
	v_and_b32_e32 v87, 0x80000000, v112
	v_lshlrev_b32_e32 v86, 20, v86
	v_or3_b32 v99, v87, v99, v86
.LBB6_7621:                             ;   in Loop: Header=BB6_5548 Depth=3
	s_or_b32 exec_lo, exec_lo, s22
	v_cmp_gt_i16_sdwa s22, v10, v61 src0_sel:BYTE_1 src1_sel:DWORD
	s_mov_b32 s16, 0
	s_and_saveexec_b32 s23, s22
	s_xor_b32 s22, exec_lo, s23
	s_cbranch_execz .LBB6_8312
; %bb.7622:                             ;   in Loop: Header=BB6_5548 Depth=3
	v_cmp_eq_u16_sdwa s73, v10, v62 src0_sel:BYTE_1 src1_sel:DWORD
	s_mov_b32 s16, -1
	s_and_saveexec_b32 s23, s73
; %bb.7623:                             ;   in Loop: Header=BB6_5548 Depth=3
	s_xor_b32 s16, exec_lo, -1
; %bb.7624:                             ;   in Loop: Header=BB6_5548 Depth=3
	s_or_b32 exec_lo, exec_lo, s23
	s_and_b32 s16, s16, exec_lo
	s_or_saveexec_b32 s22, s22
	v_mov_b32_e32 v86, 0x7f800001
	s_xor_b32 exec_lo, exec_lo, s22
	s_cbranch_execnz .LBB6_8313
.LBB6_7625:                             ;   in Loop: Header=BB6_5548 Depth=3
	s_or_b32 exec_lo, exec_lo, s22
	s_and_saveexec_b32 s22, s16
	s_cbranch_execz .LBB6_7627
.LBB6_7626:                             ;   in Loop: Header=BB6_5548 Depth=3
	v_and_b32_sdwa v86, v63, v10 dst_sel:DWORD dst_unused:UNUSED_PAD src0_sel:DWORD src1_sel:BYTE_1
	v_and_b32_e32 v87, 7, v86
	v_bfe_u32 v46, v86, 3, 4
	v_ffbh_u32_e32 v112, v87
	v_cmp_eq_u32_e32 vcc_lo, 0, v46
	v_min_u32_e32 v112, 32, v112
	v_subrev_nc_u32_e32 v113, 28, v112
	v_sub_nc_u32_e32 v112, 29, v112
	v_lshlrev_b32_e32 v86, v113, v86
	v_lshlrev_b32_e32 v113, 16, v10
	v_cndmask_b32_e32 v112, v46, v112, vcc_lo
	v_and_b32_e32 v86, 7, v86
	v_lshl_add_u32 v112, v112, 23, 0x3b800000
	v_cndmask_b32_e32 v86, v87, v86, vcc_lo
	v_and_b32_e32 v87, 0x80000000, v113
	v_lshlrev_b32_e32 v86, 20, v86
	v_or3_b32 v86, v87, v112, v86
.LBB6_7627:                             ;   in Loop: Header=BB6_5548 Depth=3
	s_or_b32 exec_lo, exec_lo, s22
	v_max_f32_e32 v86, v86, v86
	v_max_f32_e32 v87, v99, v99
	v_min_f32_e32 v112, v87, v86
.LBB6_7628:                             ;   in Loop: Header=BB6_5548 Depth=3
	v_and_b32_e32 v86, 0x7f800000, v112
	v_mov_b32_e32 v99, 0x8000
	s_mov_b32 s22, exec_lo
	v_cmpx_ne_u32_e32 0x7f800000, v86
	s_cbranch_execz .LBB6_7636
; %bb.7629:                             ;   in Loop: Header=BB6_5548 Depth=3
	v_mov_b32_e32 v99, 0
	s_mov_b32 s23, exec_lo
	v_cmpx_ne_u32_e32 0, v112
	s_cbranch_execz .LBB6_7635
; %bb.7630:                             ;   in Loop: Header=BB6_5548 Depth=3
	v_bfe_u32 v87, v112, 23, 8
	v_and_b32_e32 v86, 0x7fffff, v112
                                        ; implicit-def: $vgpr60
	v_cmp_gt_u32_e64 s16, 0x79, v87
	v_sub_nc_u32_e32 v99, 0x78, v87
	v_cmp_eq_u32_e32 vcc_lo, 0, v87
	v_or_b32_e32 v113, 0x800000, v86
	v_add_nc_u32_e32 v87, 0xffffff89, v87
	v_cndmask_b32_e64 v99, 0, v99, s16
	v_cndmask_b32_e32 v86, v113, v86, vcc_lo
	v_cndmask_b32_e64 v87, v87, 0xffffff8a, vcc_lo
	v_cndmask_b32_e64 v99, v99, 0x77, vcc_lo
	v_lshl_add_u32 v113, 0x100000, v99, -1
	v_lshlrev_b32_e64 v46, v99, 0x80000
	v_and_b32_e32 v113, v113, v86
	v_lshrrev_b32_e32 v86, v99, v86
	v_add_nc_u32_e32 v99, v99, v87
	v_cmp_eq_u32_e64 s16, v113, v46
	v_lshrrev_b32_e32 v87, 23, v86
	v_xor_b32_e32 v113, 1, v87
	v_bfe_u32 v87, v86, 20, 1
	v_add_nc_u32_e32 v87, -1, v87
	v_cndmask_b32_e64 v87, 0, v87, s16
	s_mov_b32 s16, exec_lo
	v_add_nc_u32_e32 v87, v87, v86
	v_and_b32_e32 v87, 0xfffff, v87
	v_add_nc_u32_e32 v46, v87, v86
	v_cmpx_ne_u32_e64 v99, v113
	s_xor_b32 s16, exec_lo, s16
; %bb.7631:                             ;   in Loop: Header=BB6_5548 Depth=3
	v_cmp_lt_u32_e32 vcc_lo, 0xffffff, v46
	v_sub_nc_u32_e32 v86, v99, v113
	v_cndmask_b32_e64 v87, 0, 1, vcc_lo
	v_add_co_ci_u32_e64 v60, null, 0, v86, vcc_lo
	v_lshrrev_b32_e32 v46, v87, v46
; %bb.7632:                             ;   in Loop: Header=BB6_5548 Depth=3
	s_andn2_saveexec_b32 s16, s16
; %bb.7633:                             ;   in Loop: Header=BB6_5548 Depth=3
	v_bfe_u32 v60, v46, 23, 1
; %bb.7634:                             ;   in Loop: Header=BB6_5548 Depth=3
	s_or_b32 exec_lo, exec_lo, s16
	v_lshrrev_b32_e32 v87, 20, v46
	v_min_i32_e32 v99, 15, v60
	v_cmp_gt_i32_e32 vcc_lo, 16, v60
	v_and_b32_sdwa v86, v112, v62 dst_sel:DWORD dst_unused:UNUSED_PAD src0_sel:BYTE_3 src1_sel:DWORD
	v_lshlrev_b32_e32 v99, 3, v99
	v_cndmask_b32_e32 v87, 7, v87, vcc_lo
	v_and_b32_e32 v99, 0xf8, v99
	v_or_b32_e32 v112, v60, v87
	v_and_b32_e32 v87, 7, v87
	v_cmp_ne_u32_e32 vcc_lo, 0, v112
	v_or3_b32 v86, v86, v99, v87
	v_lshlrev_b32_e32 v86, 8, v86
	v_cndmask_b32_e32 v99, 0, v86, vcc_lo
.LBB6_7635:                             ;   in Loop: Header=BB6_5548 Depth=3
	s_or_b32 exec_lo, exec_lo, s23
.LBB6_7636:                             ;   in Loop: Header=BB6_5548 Depth=3
	s_or_b32 exec_lo, exec_lo, s22
	v_and_b32_sdwa v112, v14, v72 dst_sel:DWORD dst_unused:UNUSED_PAD src0_sel:WORD_1 src1_sel:DWORD
	s_andn2_b32 vcc_lo, exec_lo, s19
	s_mov_b32 s22, -1
                                        ; implicit-def: $vgpr113
	v_cmp_lt_i16_e64 s16, 0x7f, v112
	s_cbranch_vccnz .LBB6_7650
; %bb.7637:                             ;   in Loop: Header=BB6_5548 Depth=3
	s_mov_b32 s22, 0
	s_and_saveexec_b32 s23, s16
	s_xor_b32 s16, exec_lo, s23
	s_cbranch_execz .LBB6_8314
; %bb.7638:                             ;   in Loop: Header=BB6_5548 Depth=3
	s_mov_b32 s22, -1
	s_mov_b32 s23, exec_lo
	v_cmpx_eq_u16_e32 0x80, v112
; %bb.7639:                             ;   in Loop: Header=BB6_5548 Depth=3
	s_xor_b32 s22, exec_lo, -1
; %bb.7640:                             ;   in Loop: Header=BB6_5548 Depth=3
	s_or_b32 exec_lo, exec_lo, s23
	s_and_b32 s22, s22, exec_lo
	s_or_saveexec_b32 s16, s16
	v_mov_b32_e32 v113, 0x7f800001
	s_xor_b32 exec_lo, exec_lo, s16
	s_cbranch_execnz .LBB6_8315
.LBB6_7641:                             ;   in Loop: Header=BB6_5548 Depth=3
	s_or_b32 exec_lo, exec_lo, s16
	s_and_saveexec_b32 s16, s22
	s_cbranch_execz .LBB6_7643
.LBB6_7642:                             ;   in Loop: Header=BB6_5548 Depth=3
	v_bfe_u32 v86, v14, 16, 3
	v_bfe_u32 v87, v14, 19, 4
	v_ffbh_u32_e32 v113, v86
	v_cmp_eq_u32_e32 vcc_lo, 0, v87
	v_min_u32_e32 v113, 32, v113
	v_subrev_nc_u32_e32 v46, 28, v113
	v_sub_nc_u32_e32 v113, 29, v113
	v_lshlrev_b32_sdwa v46, v46, v14 dst_sel:DWORD dst_unused:UNUSED_PAD src0_sel:DWORD src1_sel:WORD_1
	v_cndmask_b32_e32 v87, v87, v113, vcc_lo
	v_lshlrev_b32_sdwa v113, v73, v14 dst_sel:DWORD dst_unused:UNUSED_PAD src0_sel:DWORD src1_sel:WORD_1
	v_and_b32_e32 v46, 7, v46
	v_lshl_add_u32 v87, v87, 23, 0x3b800000
	v_and_b32_e32 v113, 0x80000000, v113
	v_cndmask_b32_e32 v86, v86, v46, vcc_lo
	v_lshlrev_b32_e32 v86, 20, v86
	v_or3_b32 v113, v113, v87, v86
.LBB6_7643:                             ;   in Loop: Header=BB6_5548 Depth=3
	s_or_b32 exec_lo, exec_lo, s16
	v_and_b32_sdwa v87, v10, v72 dst_sel:DWORD dst_unused:UNUSED_PAD src0_sel:WORD_1 src1_sel:DWORD
	s_mov_b32 s22, 0
	s_mov_b32 s16, exec_lo
	v_cmpx_lt_i16_e32 0x7f, v87
	s_xor_b32 s16, exec_lo, s16
	s_cbranch_execz .LBB6_8316
; %bb.7644:                             ;   in Loop: Header=BB6_5548 Depth=3
	s_mov_b32 s22, -1
	s_mov_b32 s23, exec_lo
	v_cmpx_eq_u16_e32 0x80, v87
; %bb.7645:                             ;   in Loop: Header=BB6_5548 Depth=3
	s_xor_b32 s22, exec_lo, -1
; %bb.7646:                             ;   in Loop: Header=BB6_5548 Depth=3
	s_or_b32 exec_lo, exec_lo, s23
	s_and_b32 s22, s22, exec_lo
                                        ; implicit-def: $vgpr87
	s_or_saveexec_b32 s16, s16
	v_mov_b32_e32 v86, 0x7f800001
	s_xor_b32 exec_lo, exec_lo, s16
	s_cbranch_execnz .LBB6_8317
.LBB6_7647:                             ;   in Loop: Header=BB6_5548 Depth=3
	s_or_b32 exec_lo, exec_lo, s16
	s_and_saveexec_b32 s16, s22
	s_cbranch_execz .LBB6_7649
.LBB6_7648:                             ;   in Loop: Header=BB6_5548 Depth=3
	v_bfe_u32 v86, v10, 16, 3
	v_bfe_u32 v87, v10, 19, 4
	v_ffbh_u32_e32 v46, v86
	v_cmp_eq_u32_e32 vcc_lo, 0, v87
	v_min_u32_e32 v46, 32, v46
	v_subrev_nc_u32_e32 v60, 28, v46
	v_sub_nc_u32_e32 v46, 29, v46
	v_lshlrev_b32_sdwa v60, v60, v10 dst_sel:DWORD dst_unused:UNUSED_PAD src0_sel:DWORD src1_sel:WORD_1
	v_cndmask_b32_e32 v87, v87, v46, vcc_lo
	v_lshlrev_b32_sdwa v46, v73, v10 dst_sel:DWORD dst_unused:UNUSED_PAD src0_sel:DWORD src1_sel:WORD_1
	v_and_b32_e32 v60, 7, v60
	v_lshl_add_u32 v87, v87, 23, 0x3b800000
	v_and_b32_e32 v46, 0x80000000, v46
	v_cndmask_b32_e32 v86, v86, v60, vcc_lo
	v_lshlrev_b32_e32 v86, 20, v86
	v_or3_b32 v86, v46, v87, v86
.LBB6_7649:                             ;   in Loop: Header=BB6_5548 Depth=3
	s_or_b32 exec_lo, exec_lo, s16
	v_max_f32_e32 v86, v86, v86
	v_max_f32_e32 v87, v113, v113
	s_mov_b32 s22, 0
	v_max_f32_e32 v113, v87, v86
.LBB6_7650:                             ;   in Loop: Header=BB6_5548 Depth=3
	s_and_b32 vcc_lo, exec_lo, s22
	s_cbranch_vccz .LBB6_7664
; %bb.7651:                             ;   in Loop: Header=BB6_5548 Depth=3
	s_mov_b32 s22, 0
	s_mov_b32 s16, exec_lo
	v_cmpx_lt_i16_e32 0x7f, v112
	s_xor_b32 s16, exec_lo, s16
	s_cbranch_execz .LBB6_8318
; %bb.7652:                             ;   in Loop: Header=BB6_5548 Depth=3
	s_mov_b32 s22, -1
	s_mov_b32 s23, exec_lo
	v_cmpx_eq_u16_e32 0x80, v112
; %bb.7653:                             ;   in Loop: Header=BB6_5548 Depth=3
	s_xor_b32 s22, exec_lo, -1
; %bb.7654:                             ;   in Loop: Header=BB6_5548 Depth=3
	s_or_b32 exec_lo, exec_lo, s23
	s_and_b32 s22, s22, exec_lo
                                        ; implicit-def: $vgpr112
	s_or_saveexec_b32 s16, s16
	v_mov_b32_e32 v113, 0x7f800001
	s_xor_b32 exec_lo, exec_lo, s16
	s_cbranch_execnz .LBB6_8319
.LBB6_7655:                             ;   in Loop: Header=BB6_5548 Depth=3
	s_or_b32 exec_lo, exec_lo, s16
	s_and_saveexec_b32 s16, s22
	s_cbranch_execz .LBB6_7657
.LBB6_7656:                             ;   in Loop: Header=BB6_5548 Depth=3
	v_bfe_u32 v86, v14, 16, 3
	v_bfe_u32 v87, v14, 19, 4
	v_ffbh_u32_e32 v112, v86
	v_cmp_eq_u32_e32 vcc_lo, 0, v87
	v_min_u32_e32 v112, 32, v112
	v_subrev_nc_u32_e32 v113, 28, v112
	v_sub_nc_u32_e32 v112, 29, v112
	v_lshlrev_b32_sdwa v113, v113, v14 dst_sel:DWORD dst_unused:UNUSED_PAD src0_sel:DWORD src1_sel:WORD_1
	v_cndmask_b32_e32 v87, v87, v112, vcc_lo
	v_lshlrev_b32_sdwa v112, v73, v14 dst_sel:DWORD dst_unused:UNUSED_PAD src0_sel:DWORD src1_sel:WORD_1
	v_and_b32_e32 v113, 7, v113
	v_lshl_add_u32 v87, v87, 23, 0x3b800000
	v_and_b32_e32 v112, 0x80000000, v112
	v_cndmask_b32_e32 v86, v86, v113, vcc_lo
	v_lshlrev_b32_e32 v86, 20, v86
	v_or3_b32 v113, v112, v87, v86
.LBB6_7657:                             ;   in Loop: Header=BB6_5548 Depth=3
	s_or_b32 exec_lo, exec_lo, s16
	v_and_b32_sdwa v87, v10, v72 dst_sel:DWORD dst_unused:UNUSED_PAD src0_sel:WORD_1 src1_sel:DWORD
	s_mov_b32 s22, 0
	s_mov_b32 s16, exec_lo
	v_cmpx_lt_i16_e32 0x7f, v87
	s_xor_b32 s16, exec_lo, s16
	s_cbranch_execz .LBB6_8320
; %bb.7658:                             ;   in Loop: Header=BB6_5548 Depth=3
	s_mov_b32 s22, -1
	s_mov_b32 s23, exec_lo
	v_cmpx_eq_u16_e32 0x80, v87
; %bb.7659:                             ;   in Loop: Header=BB6_5548 Depth=3
	s_xor_b32 s22, exec_lo, -1
; %bb.7660:                             ;   in Loop: Header=BB6_5548 Depth=3
	s_or_b32 exec_lo, exec_lo, s23
	s_and_b32 s22, s22, exec_lo
                                        ; implicit-def: $vgpr87
	s_or_saveexec_b32 s16, s16
	v_mov_b32_e32 v86, 0x7f800001
	s_xor_b32 exec_lo, exec_lo, s16
	s_cbranch_execnz .LBB6_8321
.LBB6_7661:                             ;   in Loop: Header=BB6_5548 Depth=3
	s_or_b32 exec_lo, exec_lo, s16
	s_and_saveexec_b32 s16, s22
	s_cbranch_execz .LBB6_7663
.LBB6_7662:                             ;   in Loop: Header=BB6_5548 Depth=3
	v_bfe_u32 v86, v10, 16, 3
	v_bfe_u32 v87, v10, 19, 4
	v_ffbh_u32_e32 v112, v86
	v_cmp_eq_u32_e32 vcc_lo, 0, v87
	v_min_u32_e32 v112, 32, v112
	v_subrev_nc_u32_e32 v46, 28, v112
	v_sub_nc_u32_e32 v112, 29, v112
	v_lshlrev_b32_sdwa v46, v46, v10 dst_sel:DWORD dst_unused:UNUSED_PAD src0_sel:DWORD src1_sel:WORD_1
	v_cndmask_b32_e32 v87, v87, v112, vcc_lo
	v_lshlrev_b32_sdwa v112, v73, v10 dst_sel:DWORD dst_unused:UNUSED_PAD src0_sel:DWORD src1_sel:WORD_1
	v_and_b32_e32 v46, 7, v46
	v_lshl_add_u32 v87, v87, 23, 0x3b800000
	v_and_b32_e32 v112, 0x80000000, v112
	v_cndmask_b32_e32 v86, v86, v46, vcc_lo
	v_lshlrev_b32_e32 v86, 20, v86
	v_or3_b32 v86, v112, v87, v86
.LBB6_7663:                             ;   in Loop: Header=BB6_5548 Depth=3
	s_or_b32 exec_lo, exec_lo, s16
	v_max_f32_e32 v86, v86, v86
	v_max_f32_e32 v87, v113, v113
	v_min_f32_e32 v113, v87, v86
.LBB6_7664:                             ;   in Loop: Header=BB6_5548 Depth=3
	v_and_b32_e32 v86, 0x7f800000, v113
	v_mov_b32_e32 v88, 0x80
	s_mov_b32 s22, exec_lo
	v_cmpx_ne_u32_e32 0x7f800000, v86
	s_cbranch_execz .LBB6_7672
; %bb.7665:                             ;   in Loop: Header=BB6_5548 Depth=3
	v_mov_b32_e32 v88, 0
	s_mov_b32 s23, exec_lo
	v_cmpx_ne_u32_e32 0, v113
	s_cbranch_execz .LBB6_7671
; %bb.7666:                             ;   in Loop: Header=BB6_5548 Depth=3
	v_bfe_u32 v87, v113, 23, 8
	v_and_b32_e32 v86, 0x7fffff, v113
                                        ; implicit-def: $vgpr74
	v_cmp_gt_u32_e64 s16, 0x79, v87
	v_sub_nc_u32_e32 v112, 0x78, v87
	v_cmp_eq_u32_e32 vcc_lo, 0, v87
	v_or_b32_e32 v46, 0x800000, v86
	v_add_nc_u32_e32 v87, 0xffffff89, v87
	v_cndmask_b32_e64 v112, 0, v112, s16
	v_cndmask_b32_e32 v86, v46, v86, vcc_lo
	v_cndmask_b32_e64 v87, v87, 0xffffff8a, vcc_lo
	v_cndmask_b32_e64 v112, v112, 0x77, vcc_lo
	v_lshl_add_u32 v46, 0x100000, v112, -1
	v_lshlrev_b32_e64 v60, v112, 0x80000
	v_and_b32_e32 v46, v46, v86
	v_lshrrev_b32_e32 v86, v112, v86
	v_add_nc_u32_e32 v112, v112, v87
	v_cmp_eq_u32_e64 s16, v46, v60
	v_lshrrev_b32_e32 v87, 23, v86
	v_xor_b32_e32 v46, 1, v87
	v_bfe_u32 v87, v86, 20, 1
	v_add_nc_u32_e32 v87, -1, v87
	v_cndmask_b32_e64 v87, 0, v87, s16
	s_mov_b32 s16, exec_lo
	v_add_nc_u32_e32 v87, v87, v86
	v_and_b32_e32 v87, 0xfffff, v87
	v_add_nc_u32_e32 v60, v87, v86
	v_cmpx_ne_u32_e64 v112, v46
	s_xor_b32 s16, exec_lo, s16
; %bb.7667:                             ;   in Loop: Header=BB6_5548 Depth=3
	v_cmp_lt_u32_e32 vcc_lo, 0xffffff, v60
	v_sub_nc_u32_e32 v86, v112, v46
	v_cndmask_b32_e64 v87, 0, 1, vcc_lo
	v_add_co_ci_u32_e64 v74, null, 0, v86, vcc_lo
	v_lshrrev_b32_e32 v60, v87, v60
; %bb.7668:                             ;   in Loop: Header=BB6_5548 Depth=3
	s_andn2_saveexec_b32 s16, s16
; %bb.7669:                             ;   in Loop: Header=BB6_5548 Depth=3
	v_bfe_u32 v74, v60, 23, 1
; %bb.7670:                             ;   in Loop: Header=BB6_5548 Depth=3
	s_or_b32 exec_lo, exec_lo, s16
	v_lshrrev_b32_e32 v87, 20, v60
	v_min_i32_e32 v112, 15, v74
	v_cmp_gt_i32_e32 vcc_lo, 16, v74
	v_and_b32_sdwa v86, v113, v62 dst_sel:DWORD dst_unused:UNUSED_PAD src0_sel:BYTE_3 src1_sel:DWORD
	v_lshlrev_b32_e32 v112, 3, v112
	v_cndmask_b32_e32 v87, 7, v87, vcc_lo
	v_and_b32_e32 v112, 0xf8, v112
	v_or_b32_e32 v113, v74, v87
	v_and_b32_e32 v87, 7, v87
	v_cmp_ne_u32_e32 vcc_lo, 0, v113
	v_or3_b32 v86, v112, v86, v87
	v_cndmask_b32_e32 v88, 0, v86, vcc_lo
.LBB6_7671:                             ;   in Loop: Header=BB6_5548 Depth=3
	s_or_b32 exec_lo, exec_lo, s23
.LBB6_7672:                             ;   in Loop: Header=BB6_5548 Depth=3
	s_or_b32 exec_lo, exec_lo, s22
	v_cmp_gt_i16_sdwa s22, v14, v61 src0_sel:BYTE_3 src1_sel:DWORD
	s_andn2_b32 vcc_lo, exec_lo, s19
	s_mov_b32 s16, -1
                                        ; implicit-def: $vgpr112
	s_cbranch_vccnz .LBB6_7686
; %bb.7673:                             ;   in Loop: Header=BB6_5548 Depth=3
	s_mov_b32 s16, 0
	s_and_saveexec_b32 s23, s22
	s_xor_b32 s22, exec_lo, s23
	s_cbranch_execz .LBB6_8322
; %bb.7674:                             ;   in Loop: Header=BB6_5548 Depth=3
	v_cmp_eq_u16_sdwa s73, v14, v62 src0_sel:BYTE_3 src1_sel:DWORD
	s_mov_b32 s16, -1
	s_and_saveexec_b32 s23, s73
; %bb.7675:                             ;   in Loop: Header=BB6_5548 Depth=3
	s_xor_b32 s16, exec_lo, -1
; %bb.7676:                             ;   in Loop: Header=BB6_5548 Depth=3
	s_or_b32 exec_lo, exec_lo, s23
	s_and_b32 s16, s16, exec_lo
	s_or_saveexec_b32 s22, s22
	v_mov_b32_e32 v112, 0x7f800001
	s_xor_b32 exec_lo, exec_lo, s22
	s_cbranch_execnz .LBB6_8323
.LBB6_7677:                             ;   in Loop: Header=BB6_5548 Depth=3
	s_or_b32 exec_lo, exec_lo, s22
	s_and_saveexec_b32 s22, s16
	s_cbranch_execz .LBB6_7679
.LBB6_7678:                             ;   in Loop: Header=BB6_5548 Depth=3
	v_bfe_u32 v86, v14, 24, 3
	v_bfe_u32 v113, v14, 27, 4
	v_ffbh_u32_e32 v87, v86
	v_cmp_eq_u32_e32 vcc_lo, 0, v113
	v_min_u32_e32 v87, 32, v87
	v_subrev_nc_u32_e32 v112, 28, v87
	v_sub_nc_u32_e32 v87, 29, v87
	v_lshlrev_b32_sdwa v112, v112, v14 dst_sel:DWORD dst_unused:UNUSED_PAD src0_sel:DWORD src1_sel:BYTE_3
	v_cndmask_b32_e32 v87, v113, v87, vcc_lo
	v_and_b32_e32 v112, 7, v112
	v_lshl_add_u32 v87, v87, 23, 0x3b800000
	v_cndmask_b32_e32 v86, v86, v112, vcc_lo
	v_and_b32_e32 v112, 0x80000000, v14
	v_lshlrev_b32_e32 v86, 20, v86
	v_or3_b32 v112, v112, v87, v86
.LBB6_7679:                             ;   in Loop: Header=BB6_5548 Depth=3
	s_or_b32 exec_lo, exec_lo, s22
	v_cmp_gt_i16_sdwa s22, v10, v61 src0_sel:BYTE_3 src1_sel:DWORD
	s_mov_b32 s16, 0
	s_and_saveexec_b32 s23, s22
	s_xor_b32 s22, exec_lo, s23
	s_cbranch_execz .LBB6_8324
; %bb.7680:                             ;   in Loop: Header=BB6_5548 Depth=3
	v_cmp_eq_u16_sdwa s73, v10, v62 src0_sel:BYTE_3 src1_sel:DWORD
	s_mov_b32 s16, -1
	s_and_saveexec_b32 s23, s73
; %bb.7681:                             ;   in Loop: Header=BB6_5548 Depth=3
	s_xor_b32 s16, exec_lo, -1
; %bb.7682:                             ;   in Loop: Header=BB6_5548 Depth=3
	s_or_b32 exec_lo, exec_lo, s23
	s_and_b32 s16, s16, exec_lo
	s_or_saveexec_b32 s22, s22
	v_mov_b32_e32 v86, 0x7f800001
	s_xor_b32 exec_lo, exec_lo, s22
	s_cbranch_execnz .LBB6_8325
.LBB6_7683:                             ;   in Loop: Header=BB6_5548 Depth=3
	s_or_b32 exec_lo, exec_lo, s22
	s_and_saveexec_b32 s22, s16
	s_cbranch_execz .LBB6_7685
.LBB6_7684:                             ;   in Loop: Header=BB6_5548 Depth=3
	v_bfe_u32 v86, v10, 24, 3
	v_bfe_u32 v46, v10, 27, 4
	v_ffbh_u32_e32 v87, v86
	v_cmp_eq_u32_e32 vcc_lo, 0, v46
	v_min_u32_e32 v87, 32, v87
	v_subrev_nc_u32_e32 v113, 28, v87
	v_sub_nc_u32_e32 v87, 29, v87
	v_lshlrev_b32_sdwa v113, v113, v10 dst_sel:DWORD dst_unused:UNUSED_PAD src0_sel:DWORD src1_sel:BYTE_3
	v_cndmask_b32_e32 v87, v46, v87, vcc_lo
	v_and_b32_e32 v113, 7, v113
	v_lshl_add_u32 v87, v87, 23, 0x3b800000
	v_cndmask_b32_e32 v86, v86, v113, vcc_lo
	v_and_b32_e32 v113, 0x80000000, v10
	v_lshlrev_b32_e32 v86, 20, v86
	v_or3_b32 v86, v113, v87, v86
.LBB6_7685:                             ;   in Loop: Header=BB6_5548 Depth=3
	s_or_b32 exec_lo, exec_lo, s22
	v_max_f32_e32 v86, v86, v86
	v_max_f32_e32 v87, v112, v112
	s_mov_b32 s16, 0
	v_max_f32_e32 v112, v87, v86
.LBB6_7686:                             ;   in Loop: Header=BB6_5548 Depth=3
	s_and_b32 vcc_lo, exec_lo, s16
	s_cbranch_vccz .LBB6_7700
; %bb.7687:                             ;   in Loop: Header=BB6_5548 Depth=3
	v_cmp_gt_i16_sdwa s22, v14, v61 src0_sel:BYTE_3 src1_sel:DWORD
	s_mov_b32 s16, 0
	s_and_saveexec_b32 s23, s22
	s_xor_b32 s22, exec_lo, s23
	s_cbranch_execz .LBB6_8326
; %bb.7688:                             ;   in Loop: Header=BB6_5548 Depth=3
	v_cmp_eq_u16_sdwa s73, v14, v62 src0_sel:BYTE_3 src1_sel:DWORD
	s_mov_b32 s16, -1
	s_and_saveexec_b32 s23, s73
; %bb.7689:                             ;   in Loop: Header=BB6_5548 Depth=3
	s_xor_b32 s16, exec_lo, -1
; %bb.7690:                             ;   in Loop: Header=BB6_5548 Depth=3
	s_or_b32 exec_lo, exec_lo, s23
	s_and_b32 s16, s16, exec_lo
	s_or_saveexec_b32 s22, s22
	v_mov_b32_e32 v112, 0x7f800001
	s_xor_b32 exec_lo, exec_lo, s22
	s_cbranch_execnz .LBB6_8327
.LBB6_7691:                             ;   in Loop: Header=BB6_5548 Depth=3
	s_or_b32 exec_lo, exec_lo, s22
	s_and_saveexec_b32 s22, s16
	s_cbranch_execz .LBB6_7693
.LBB6_7692:                             ;   in Loop: Header=BB6_5548 Depth=3
	v_bfe_u32 v86, v14, 24, 3
	v_bfe_u32 v113, v14, 27, 4
	v_ffbh_u32_e32 v87, v86
	v_cmp_eq_u32_e32 vcc_lo, 0, v113
	v_min_u32_e32 v87, 32, v87
	v_subrev_nc_u32_e32 v112, 28, v87
	v_sub_nc_u32_e32 v87, 29, v87
	v_lshlrev_b32_sdwa v112, v112, v14 dst_sel:DWORD dst_unused:UNUSED_PAD src0_sel:DWORD src1_sel:BYTE_3
	v_cndmask_b32_e32 v87, v113, v87, vcc_lo
	v_and_b32_e32 v14, 0x80000000, v14
	v_and_b32_e32 v112, 7, v112
	v_lshl_add_u32 v87, v87, 23, 0x3b800000
	v_cndmask_b32_e32 v86, v86, v112, vcc_lo
	v_lshlrev_b32_e32 v86, 20, v86
	v_or3_b32 v112, v14, v87, v86
.LBB6_7693:                             ;   in Loop: Header=BB6_5548 Depth=3
	s_or_b32 exec_lo, exec_lo, s22
	v_cmp_gt_i16_sdwa s22, v10, v61 src0_sel:BYTE_3 src1_sel:DWORD
	s_mov_b32 s16, 0
	s_and_saveexec_b32 s23, s22
	s_xor_b32 s22, exec_lo, s23
	s_cbranch_execz .LBB6_8328
; %bb.7694:                             ;   in Loop: Header=BB6_5548 Depth=3
	v_cmp_eq_u16_sdwa s73, v10, v62 src0_sel:BYTE_3 src1_sel:DWORD
	s_mov_b32 s16, -1
	s_and_saveexec_b32 s23, s73
; %bb.7695:                             ;   in Loop: Header=BB6_5548 Depth=3
	s_xor_b32 s16, exec_lo, -1
; %bb.7696:                             ;   in Loop: Header=BB6_5548 Depth=3
	s_or_b32 exec_lo, exec_lo, s23
	s_and_b32 s16, s16, exec_lo
	s_or_saveexec_b32 s22, s22
	v_mov_b32_e32 v14, 0x7f800001
	s_xor_b32 exec_lo, exec_lo, s22
	s_cbranch_execnz .LBB6_8329
.LBB6_7697:                             ;   in Loop: Header=BB6_5548 Depth=3
	s_or_b32 exec_lo, exec_lo, s22
	s_and_saveexec_b32 s22, s16
	s_cbranch_execz .LBB6_7699
.LBB6_7698:                             ;   in Loop: Header=BB6_5548 Depth=3
	v_bfe_u32 v14, v10, 24, 3
	v_bfe_u32 v113, v10, 27, 4
	v_ffbh_u32_e32 v86, v14
	v_cmp_eq_u32_e32 vcc_lo, 0, v113
	v_min_u32_e32 v86, 32, v86
	v_subrev_nc_u32_e32 v87, 28, v86
	v_sub_nc_u32_e32 v86, 29, v86
	v_lshlrev_b32_sdwa v87, v87, v10 dst_sel:DWORD dst_unused:UNUSED_PAD src0_sel:DWORD src1_sel:BYTE_3
	v_cndmask_b32_e32 v86, v113, v86, vcc_lo
	v_and_b32_e32 v10, 0x80000000, v10
	v_and_b32_e32 v87, 7, v87
	v_lshl_add_u32 v86, v86, 23, 0x3b800000
	v_cndmask_b32_e32 v14, v14, v87, vcc_lo
	v_lshlrev_b32_e32 v14, 20, v14
	v_or3_b32 v14, v10, v86, v14
.LBB6_7699:                             ;   in Loop: Header=BB6_5548 Depth=3
	s_or_b32 exec_lo, exec_lo, s22
	v_max_f32_e32 v10, v14, v14
	v_max_f32_e32 v14, v112, v112
	v_min_f32_e32 v112, v14, v10
.LBB6_7700:                             ;   in Loop: Header=BB6_5548 Depth=3
	v_and_b32_e32 v10, 0x7f800000, v112
	v_cmp_ne_u32_e32 vcc_lo, 0x7f800000, v10
	v_mov_b32_e32 v10, 0x8000
	s_and_saveexec_b32 s22, vcc_lo
	s_cbranch_execz .LBB6_7708
; %bb.7701:                             ;   in Loop: Header=BB6_5548 Depth=3
	v_mov_b32_e32 v10, 0
	s_mov_b32 s23, exec_lo
	v_cmpx_ne_u32_e32 0, v112
	s_cbranch_execz .LBB6_7707
; %bb.7702:                             ;   in Loop: Header=BB6_5548 Depth=3
	v_bfe_u32 v14, v112, 23, 8
	v_and_b32_e32 v10, 0x7fffff, v112
                                        ; implicit-def: $vgpr46
	v_cmp_gt_u32_e64 s16, 0x79, v14
	v_sub_nc_u32_e32 v86, 0x78, v14
	v_cmp_eq_u32_e32 vcc_lo, 0, v14
	v_or_b32_e32 v87, 0x800000, v10
	v_cndmask_b32_e64 v86, 0, v86, s16
	v_cndmask_b32_e32 v10, v87, v10, vcc_lo
	v_cndmask_b32_e64 v86, v86, 0x77, vcc_lo
	v_lshl_add_u32 v87, 0x100000, v86, -1
	v_lshlrev_b32_e64 v113, v86, 0x80000
	v_and_b32_e32 v87, v87, v10
	v_cmp_eq_u32_e64 s16, v87, v113
	v_lshrrev_b32_e32 v87, v86, v10
	v_add_nc_u32_e32 v10, 0xffffff89, v14
	v_lshrrev_b32_e32 v14, 23, v87
	v_cndmask_b32_e64 v10, v10, 0xffffff8a, vcc_lo
	v_xor_b32_e32 v14, 1, v14
	v_add_nc_u32_e32 v10, v86, v10
	v_bfe_u32 v86, v87, 20, 1
	v_add_nc_u32_e32 v86, -1, v86
	v_cndmask_b32_e64 v86, 0, v86, s16
	s_mov_b32 s16, exec_lo
	v_add_nc_u32_e32 v86, v86, v87
	v_and_b32_e32 v86, 0xfffff, v86
	v_add_nc_u32_e32 v113, v86, v87
	v_cmpx_ne_u32_e64 v10, v14
	s_xor_b32 s16, exec_lo, s16
; %bb.7703:                             ;   in Loop: Header=BB6_5548 Depth=3
	v_cmp_lt_u32_e32 vcc_lo, 0xffffff, v113
	v_sub_nc_u32_e32 v10, v10, v14
	v_cndmask_b32_e64 v14, 0, 1, vcc_lo
	v_add_co_ci_u32_e64 v46, null, 0, v10, vcc_lo
	v_lshrrev_b32_e32 v113, v14, v113
; %bb.7704:                             ;   in Loop: Header=BB6_5548 Depth=3
	s_andn2_saveexec_b32 s16, s16
; %bb.7705:                             ;   in Loop: Header=BB6_5548 Depth=3
	v_bfe_u32 v46, v113, 23, 1
; %bb.7706:                             ;   in Loop: Header=BB6_5548 Depth=3
	s_or_b32 exec_lo, exec_lo, s16
	v_lshrrev_b32_e32 v14, 20, v113
	v_min_i32_e32 v86, 15, v46
	v_cmp_gt_i32_e32 vcc_lo, 16, v46
	v_and_b32_sdwa v10, v112, v62 dst_sel:DWORD dst_unused:UNUSED_PAD src0_sel:BYTE_3 src1_sel:DWORD
	v_lshlrev_b32_e32 v86, 3, v86
	v_cndmask_b32_e32 v14, 7, v14, vcc_lo
	v_and_b32_e32 v86, 0xf8, v86
	v_or_b32_e32 v87, v46, v14
	v_and_b32_e32 v14, 7, v14
	v_cmp_ne_u32_e32 vcc_lo, 0, v87
	v_or3_b32 v10, v10, v86, v14
	v_lshlrev_b32_e32 v10, 8, v10
	v_cndmask_b32_e32 v10, 0, v10, vcc_lo
.LBB6_7707:                             ;   in Loop: Header=BB6_5548 Depth=3
	s_or_b32 exec_lo, exec_lo, s23
.LBB6_7708:                             ;   in Loop: Header=BB6_5548 Depth=3
	s_or_b32 exec_lo, exec_lo, s22
	v_cmp_gt_i16_sdwa s23, v15, v61 src0_sel:BYTE_0 src1_sel:DWORD
	s_andn2_b32 vcc_lo, exec_lo, s19
	s_mov_b32 s16, -1
                                        ; implicit-def: $vgpr112
	s_cbranch_vccnz .LBB6_7722
; %bb.7709:                             ;   in Loop: Header=BB6_5548 Depth=3
	s_mov_b32 s22, 0
	s_and_saveexec_b32 s16, s23
	s_xor_b32 s16, exec_lo, s16
	s_cbranch_execz .LBB6_8330
; %bb.7710:                             ;   in Loop: Header=BB6_5548 Depth=3
	v_cmp_eq_u16_sdwa s73, v15, v62 src0_sel:BYTE_0 src1_sel:DWORD
	s_mov_b32 s22, -1
	s_and_saveexec_b32 s23, s73
; %bb.7711:                             ;   in Loop: Header=BB6_5548 Depth=3
	s_xor_b32 s22, exec_lo, -1
; %bb.7712:                             ;   in Loop: Header=BB6_5548 Depth=3
	s_or_b32 exec_lo, exec_lo, s23
	s_and_b32 s22, s22, exec_lo
	s_or_saveexec_b32 s16, s16
	v_mov_b32_e32 v14, 0x7f800001
	s_xor_b32 exec_lo, exec_lo, s16
	s_cbranch_execnz .LBB6_8331
.LBB6_7713:                             ;   in Loop: Header=BB6_5548 Depth=3
	s_or_b32 exec_lo, exec_lo, s16
	s_and_saveexec_b32 s16, s22
	s_cbranch_execz .LBB6_7715
.LBB6_7714:                             ;   in Loop: Header=BB6_5548 Depth=3
	v_and_b32_e32 v14, 7, v15
	v_bfe_u32 v86, v15, 3, 4
	v_ffbh_u32_e32 v87, v14
	v_cmp_eq_u32_e32 vcc_lo, 0, v86
	v_min_u32_e32 v87, 32, v87
	v_subrev_nc_u32_e32 v112, 28, v87
	v_sub_nc_u32_e32 v87, 29, v87
	v_lshlrev_b32_e32 v112, v112, v15
	v_cndmask_b32_e32 v86, v86, v87, vcc_lo
	v_lshlrev_b32_e32 v87, 24, v15
	v_and_b32_e32 v112, 7, v112
	v_lshl_add_u32 v86, v86, 23, 0x3b800000
	v_and_b32_e32 v87, 0x80000000, v87
	v_cndmask_b32_e32 v14, v14, v112, vcc_lo
	v_lshlrev_b32_e32 v14, 20, v14
	v_or3_b32 v14, v87, v86, v14
.LBB6_7715:                             ;   in Loop: Header=BB6_5548 Depth=3
	s_or_b32 exec_lo, exec_lo, s16
	v_cmp_gt_i16_sdwa s16, v11, v61 src0_sel:BYTE_0 src1_sel:DWORD
	s_mov_b32 s22, 0
	s_and_saveexec_b32 s23, s16
	s_xor_b32 s16, exec_lo, s23
	s_cbranch_execz .LBB6_8332
; %bb.7716:                             ;   in Loop: Header=BB6_5548 Depth=3
	v_cmp_eq_u16_sdwa s73, v11, v62 src0_sel:BYTE_0 src1_sel:DWORD
	s_mov_b32 s22, -1
	s_and_saveexec_b32 s23, s73
; %bb.7717:                             ;   in Loop: Header=BB6_5548 Depth=3
	s_xor_b32 s22, exec_lo, -1
; %bb.7718:                             ;   in Loop: Header=BB6_5548 Depth=3
	s_or_b32 exec_lo, exec_lo, s23
	s_and_b32 s22, s22, exec_lo
	s_or_saveexec_b32 s16, s16
	v_mov_b32_e32 v86, 0x7f800001
	s_xor_b32 exec_lo, exec_lo, s16
	s_cbranch_execnz .LBB6_8333
.LBB6_7719:                             ;   in Loop: Header=BB6_5548 Depth=3
	s_or_b32 exec_lo, exec_lo, s16
	s_and_saveexec_b32 s16, s22
	s_cbranch_execz .LBB6_7721
.LBB6_7720:                             ;   in Loop: Header=BB6_5548 Depth=3
	v_and_b32_e32 v86, 7, v11
	v_bfe_u32 v87, v11, 3, 4
	v_ffbh_u32_e32 v112, v86
	v_cmp_eq_u32_e32 vcc_lo, 0, v87
	v_min_u32_e32 v112, 32, v112
	v_subrev_nc_u32_e32 v113, 28, v112
	v_sub_nc_u32_e32 v112, 29, v112
	v_lshlrev_b32_e32 v113, v113, v11
	v_cndmask_b32_e32 v87, v87, v112, vcc_lo
	v_lshlrev_b32_e32 v112, 24, v11
	v_and_b32_e32 v113, 7, v113
	v_lshl_add_u32 v87, v87, 23, 0x3b800000
	v_and_b32_e32 v112, 0x80000000, v112
	v_cndmask_b32_e32 v86, v86, v113, vcc_lo
	v_lshlrev_b32_e32 v86, 20, v86
	v_or3_b32 v86, v112, v87, v86
.LBB6_7721:                             ;   in Loop: Header=BB6_5548 Depth=3
	s_or_b32 exec_lo, exec_lo, s16
	v_max_f32_e32 v86, v86, v86
	v_max_f32_e32 v14, v14, v14
	s_mov_b32 s16, 0
	v_max_f32_e32 v112, v14, v86
.LBB6_7722:                             ;   in Loop: Header=BB6_5548 Depth=3
	s_and_b32 vcc_lo, exec_lo, s16
	s_cbranch_vccz .LBB6_7736
; %bb.7723:                             ;   in Loop: Header=BB6_5548 Depth=3
	v_cmp_gt_i16_sdwa s16, v15, v61 src0_sel:BYTE_0 src1_sel:DWORD
	s_mov_b32 s22, 0
	s_and_saveexec_b32 s23, s16
	s_xor_b32 s16, exec_lo, s23
	s_cbranch_execz .LBB6_8334
; %bb.7724:                             ;   in Loop: Header=BB6_5548 Depth=3
	v_cmp_eq_u16_sdwa s73, v15, v62 src0_sel:BYTE_0 src1_sel:DWORD
	s_mov_b32 s22, -1
	s_and_saveexec_b32 s23, s73
; %bb.7725:                             ;   in Loop: Header=BB6_5548 Depth=3
	s_xor_b32 s22, exec_lo, -1
; %bb.7726:                             ;   in Loop: Header=BB6_5548 Depth=3
	s_or_b32 exec_lo, exec_lo, s23
	s_and_b32 s22, s22, exec_lo
	s_or_saveexec_b32 s16, s16
	v_mov_b32_e32 v14, 0x7f800001
	s_xor_b32 exec_lo, exec_lo, s16
	s_cbranch_execnz .LBB6_8335
.LBB6_7727:                             ;   in Loop: Header=BB6_5548 Depth=3
	s_or_b32 exec_lo, exec_lo, s16
	s_and_saveexec_b32 s16, s22
	s_cbranch_execz .LBB6_7729
.LBB6_7728:                             ;   in Loop: Header=BB6_5548 Depth=3
	v_and_b32_e32 v14, 7, v15
	v_bfe_u32 v86, v15, 3, 4
	v_ffbh_u32_e32 v87, v14
	v_cmp_eq_u32_e32 vcc_lo, 0, v86
	v_min_u32_e32 v87, 32, v87
	v_subrev_nc_u32_e32 v112, 28, v87
	v_sub_nc_u32_e32 v87, 29, v87
	v_lshlrev_b32_e32 v112, v112, v15
	v_cndmask_b32_e32 v86, v86, v87, vcc_lo
	v_lshlrev_b32_e32 v87, 24, v15
	v_and_b32_e32 v112, 7, v112
	v_lshl_add_u32 v86, v86, 23, 0x3b800000
	v_and_b32_e32 v87, 0x80000000, v87
	v_cndmask_b32_e32 v14, v14, v112, vcc_lo
	v_lshlrev_b32_e32 v14, 20, v14
	v_or3_b32 v14, v87, v86, v14
.LBB6_7729:                             ;   in Loop: Header=BB6_5548 Depth=3
	s_or_b32 exec_lo, exec_lo, s16
	v_cmp_gt_i16_sdwa s16, v11, v61 src0_sel:BYTE_0 src1_sel:DWORD
	s_mov_b32 s22, 0
	s_and_saveexec_b32 s23, s16
	s_xor_b32 s16, exec_lo, s23
	s_cbranch_execz .LBB6_8336
; %bb.7730:                             ;   in Loop: Header=BB6_5548 Depth=3
	v_cmp_eq_u16_sdwa s73, v11, v62 src0_sel:BYTE_0 src1_sel:DWORD
	s_mov_b32 s22, -1
	s_and_saveexec_b32 s23, s73
; %bb.7731:                             ;   in Loop: Header=BB6_5548 Depth=3
	s_xor_b32 s22, exec_lo, -1
; %bb.7732:                             ;   in Loop: Header=BB6_5548 Depth=3
	s_or_b32 exec_lo, exec_lo, s23
	s_and_b32 s22, s22, exec_lo
	s_or_saveexec_b32 s16, s16
	v_mov_b32_e32 v86, 0x7f800001
	s_xor_b32 exec_lo, exec_lo, s16
	s_cbranch_execnz .LBB6_8337
.LBB6_7733:                             ;   in Loop: Header=BB6_5548 Depth=3
	s_or_b32 exec_lo, exec_lo, s16
	s_and_saveexec_b32 s16, s22
	s_cbranch_execz .LBB6_7735
.LBB6_7734:                             ;   in Loop: Header=BB6_5548 Depth=3
	v_and_b32_e32 v86, 7, v11
	v_bfe_u32 v87, v11, 3, 4
	v_ffbh_u32_e32 v112, v86
	v_cmp_eq_u32_e32 vcc_lo, 0, v87
	v_min_u32_e32 v112, 32, v112
	v_subrev_nc_u32_e32 v113, 28, v112
	v_sub_nc_u32_e32 v112, 29, v112
	v_lshlrev_b32_e32 v113, v113, v11
	v_cndmask_b32_e32 v87, v87, v112, vcc_lo
	v_lshlrev_b32_e32 v112, 24, v11
	v_and_b32_e32 v113, 7, v113
	v_lshl_add_u32 v87, v87, 23, 0x3b800000
	v_and_b32_e32 v112, 0x80000000, v112
	v_cndmask_b32_e32 v86, v86, v113, vcc_lo
	v_lshlrev_b32_e32 v86, 20, v86
	v_or3_b32 v86, v112, v87, v86
.LBB6_7735:                             ;   in Loop: Header=BB6_5548 Depth=3
	s_or_b32 exec_lo, exec_lo, s16
	v_max_f32_e32 v86, v86, v86
	v_max_f32_e32 v14, v14, v14
	v_min_f32_e32 v112, v14, v86
.LBB6_7736:                             ;   in Loop: Header=BB6_5548 Depth=3
	v_and_b32_e32 v14, 0x7f800000, v112
	v_cmp_ne_u32_e32 vcc_lo, 0x7f800000, v14
	v_mov_b32_e32 v14, 0x80
	s_and_saveexec_b32 s22, vcc_lo
	s_cbranch_execz .LBB6_7744
; %bb.7737:                             ;   in Loop: Header=BB6_5548 Depth=3
	v_mov_b32_e32 v14, 0
	s_mov_b32 s23, exec_lo
	v_cmpx_ne_u32_e32 0, v112
	s_cbranch_execz .LBB6_7743
; %bb.7738:                             ;   in Loop: Header=BB6_5548 Depth=3
	v_bfe_u32 v86, v112, 23, 8
	v_and_b32_e32 v14, 0x7fffff, v112
                                        ; implicit-def: $vgpr60
	v_cmp_gt_u32_e64 s16, 0x79, v86
	v_sub_nc_u32_e32 v87, 0x78, v86
	v_cmp_eq_u32_e32 vcc_lo, 0, v86
	v_or_b32_e32 v113, 0x800000, v14
	v_cndmask_b32_e64 v87, 0, v87, s16
	v_cndmask_b32_e32 v14, v113, v14, vcc_lo
	v_cndmask_b32_e64 v87, v87, 0x77, vcc_lo
	v_lshl_add_u32 v113, 0x100000, v87, -1
	v_lshlrev_b32_e64 v46, v87, 0x80000
	v_and_b32_e32 v113, v113, v14
	v_cmp_eq_u32_e64 s16, v113, v46
	v_lshrrev_b32_e32 v46, v87, v14
	v_add_nc_u32_e32 v14, 0xffffff89, v86
	v_lshrrev_b32_e32 v86, 23, v46
	v_cndmask_b32_e64 v14, v14, 0xffffff8a, vcc_lo
	v_xor_b32_e32 v113, 1, v86
	v_bfe_u32 v86, v46, 20, 1
	v_add_nc_u32_e32 v14, v87, v14
	v_add_nc_u32_e32 v86, -1, v86
	v_cndmask_b32_e64 v86, 0, v86, s16
	s_mov_b32 s16, exec_lo
	v_add_nc_u32_e32 v86, v86, v46
	v_and_b32_e32 v86, 0xfffff, v86
	v_add_nc_u32_e32 v46, v86, v46
	v_cmpx_ne_u32_e64 v14, v113
	s_xor_b32 s16, exec_lo, s16
; %bb.7739:                             ;   in Loop: Header=BB6_5548 Depth=3
	v_cmp_lt_u32_e32 vcc_lo, 0xffffff, v46
	v_sub_nc_u32_e32 v14, v14, v113
	v_cndmask_b32_e64 v86, 0, 1, vcc_lo
	v_add_co_ci_u32_e64 v60, null, 0, v14, vcc_lo
	v_lshrrev_b32_e32 v46, v86, v46
; %bb.7740:                             ;   in Loop: Header=BB6_5548 Depth=3
	s_andn2_saveexec_b32 s16, s16
; %bb.7741:                             ;   in Loop: Header=BB6_5548 Depth=3
	v_bfe_u32 v60, v46, 23, 1
; %bb.7742:                             ;   in Loop: Header=BB6_5548 Depth=3
	s_or_b32 exec_lo, exec_lo, s16
	v_lshrrev_b32_e32 v86, 20, v46
	v_min_i32_e32 v87, 15, v60
	v_cmp_gt_i32_e32 vcc_lo, 16, v60
	v_and_b32_sdwa v14, v112, v62 dst_sel:DWORD dst_unused:UNUSED_PAD src0_sel:BYTE_3 src1_sel:DWORD
	v_lshlrev_b32_e32 v87, 3, v87
	v_cndmask_b32_e32 v86, 7, v86, vcc_lo
	v_and_b32_e32 v87, 0xf8, v87
	v_or_b32_e32 v112, v60, v86
	v_and_b32_e32 v86, 7, v86
	v_cmp_ne_u32_e32 vcc_lo, 0, v112
	v_or3_b32 v14, v87, v14, v86
	v_cndmask_b32_e32 v14, 0, v14, vcc_lo
.LBB6_7743:                             ;   in Loop: Header=BB6_5548 Depth=3
	s_or_b32 exec_lo, exec_lo, s23
.LBB6_7744:                             ;   in Loop: Header=BB6_5548 Depth=3
	s_or_b32 exec_lo, exec_lo, s22
	v_cmp_gt_i16_sdwa s22, v15, v61 src0_sel:BYTE_1 src1_sel:DWORD
	s_andn2_b32 vcc_lo, exec_lo, s19
	s_mov_b32 s16, -1
                                        ; implicit-def: $vgpr113
	s_cbranch_vccnz .LBB6_7758
; %bb.7745:                             ;   in Loop: Header=BB6_5548 Depth=3
	s_mov_b32 s16, 0
	s_and_saveexec_b32 s23, s22
	s_xor_b32 s22, exec_lo, s23
	s_cbranch_execz .LBB6_8338
; %bb.7746:                             ;   in Loop: Header=BB6_5548 Depth=3
	v_cmp_eq_u16_sdwa s73, v15, v62 src0_sel:BYTE_1 src1_sel:DWORD
	s_mov_b32 s16, -1
	s_and_saveexec_b32 s23, s73
; %bb.7747:                             ;   in Loop: Header=BB6_5548 Depth=3
	s_xor_b32 s16, exec_lo, -1
; %bb.7748:                             ;   in Loop: Header=BB6_5548 Depth=3
	s_or_b32 exec_lo, exec_lo, s23
	s_and_b32 s16, s16, exec_lo
	s_or_saveexec_b32 s22, s22
	v_mov_b32_e32 v112, 0x7f800001
	s_xor_b32 exec_lo, exec_lo, s22
	s_cbranch_execnz .LBB6_8339
.LBB6_7749:                             ;   in Loop: Header=BB6_5548 Depth=3
	s_or_b32 exec_lo, exec_lo, s22
	s_and_saveexec_b32 s22, s16
	s_cbranch_execz .LBB6_7751
.LBB6_7750:                             ;   in Loop: Header=BB6_5548 Depth=3
	v_and_b32_sdwa v86, v63, v15 dst_sel:DWORD dst_unused:UNUSED_PAD src0_sel:DWORD src1_sel:BYTE_1
	v_and_b32_e32 v87, 7, v86
	v_bfe_u32 v46, v86, 3, 4
	v_ffbh_u32_e32 v112, v87
	v_cmp_eq_u32_e32 vcc_lo, 0, v46
	v_min_u32_e32 v112, 32, v112
	v_subrev_nc_u32_e32 v113, 28, v112
	v_sub_nc_u32_e32 v112, 29, v112
	v_lshlrev_b32_e32 v86, v113, v86
	v_lshlrev_b32_e32 v113, 16, v15
	v_cndmask_b32_e32 v112, v46, v112, vcc_lo
	v_and_b32_e32 v86, 7, v86
	v_lshl_add_u32 v112, v112, 23, 0x3b800000
	v_cndmask_b32_e32 v86, v87, v86, vcc_lo
	v_and_b32_e32 v87, 0x80000000, v113
	v_lshlrev_b32_e32 v86, 20, v86
	v_or3_b32 v112, v87, v112, v86
.LBB6_7751:                             ;   in Loop: Header=BB6_5548 Depth=3
	s_or_b32 exec_lo, exec_lo, s22
	v_cmp_gt_i16_sdwa s22, v11, v61 src0_sel:BYTE_1 src1_sel:DWORD
	s_mov_b32 s16, 0
	s_and_saveexec_b32 s23, s22
	s_xor_b32 s22, exec_lo, s23
	s_cbranch_execz .LBB6_8340
; %bb.7752:                             ;   in Loop: Header=BB6_5548 Depth=3
	v_cmp_eq_u16_sdwa s73, v11, v62 src0_sel:BYTE_1 src1_sel:DWORD
	s_mov_b32 s16, -1
	s_and_saveexec_b32 s23, s73
; %bb.7753:                             ;   in Loop: Header=BB6_5548 Depth=3
	s_xor_b32 s16, exec_lo, -1
; %bb.7754:                             ;   in Loop: Header=BB6_5548 Depth=3
	s_or_b32 exec_lo, exec_lo, s23
	s_and_b32 s16, s16, exec_lo
	s_or_saveexec_b32 s22, s22
	v_mov_b32_e32 v86, 0x7f800001
	s_xor_b32 exec_lo, exec_lo, s22
	s_cbranch_execnz .LBB6_8341
.LBB6_7755:                             ;   in Loop: Header=BB6_5548 Depth=3
	s_or_b32 exec_lo, exec_lo, s22
	s_and_saveexec_b32 s22, s16
	s_cbranch_execz .LBB6_7757
.LBB6_7756:                             ;   in Loop: Header=BB6_5548 Depth=3
	v_and_b32_sdwa v86, v63, v11 dst_sel:DWORD dst_unused:UNUSED_PAD src0_sel:DWORD src1_sel:BYTE_1
	v_and_b32_e32 v87, 7, v86
	v_bfe_u32 v60, v86, 3, 4
	v_ffbh_u32_e32 v113, v87
	v_cmp_eq_u32_e32 vcc_lo, 0, v60
	v_min_u32_e32 v113, 32, v113
	v_subrev_nc_u32_e32 v46, 28, v113
	v_sub_nc_u32_e32 v113, 29, v113
	v_lshlrev_b32_e32 v86, v46, v86
	v_lshlrev_b32_e32 v46, 16, v11
	v_cndmask_b32_e32 v113, v60, v113, vcc_lo
	v_and_b32_e32 v86, 7, v86
	v_lshl_add_u32 v113, v113, 23, 0x3b800000
	v_cndmask_b32_e32 v86, v87, v86, vcc_lo
	v_and_b32_e32 v87, 0x80000000, v46
	v_lshlrev_b32_e32 v86, 20, v86
	v_or3_b32 v86, v87, v113, v86
.LBB6_7757:                             ;   in Loop: Header=BB6_5548 Depth=3
	s_or_b32 exec_lo, exec_lo, s22
	v_max_f32_e32 v86, v86, v86
	v_max_f32_e32 v87, v112, v112
	s_mov_b32 s16, 0
	v_max_f32_e32 v113, v87, v86
.LBB6_7758:                             ;   in Loop: Header=BB6_5548 Depth=3
	s_and_b32 vcc_lo, exec_lo, s16
	s_cbranch_vccz .LBB6_7772
; %bb.7759:                             ;   in Loop: Header=BB6_5548 Depth=3
	v_cmp_gt_i16_sdwa s22, v15, v61 src0_sel:BYTE_1 src1_sel:DWORD
	s_mov_b32 s16, 0
	s_and_saveexec_b32 s23, s22
	s_xor_b32 s22, exec_lo, s23
	s_cbranch_execz .LBB6_8342
; %bb.7760:                             ;   in Loop: Header=BB6_5548 Depth=3
	v_cmp_eq_u16_sdwa s73, v15, v62 src0_sel:BYTE_1 src1_sel:DWORD
	s_mov_b32 s16, -1
	s_and_saveexec_b32 s23, s73
; %bb.7761:                             ;   in Loop: Header=BB6_5548 Depth=3
	s_xor_b32 s16, exec_lo, -1
; %bb.7762:                             ;   in Loop: Header=BB6_5548 Depth=3
	s_or_b32 exec_lo, exec_lo, s23
	s_and_b32 s16, s16, exec_lo
	s_or_saveexec_b32 s22, s22
	v_mov_b32_e32 v112, 0x7f800001
	s_xor_b32 exec_lo, exec_lo, s22
	s_cbranch_execnz .LBB6_8343
.LBB6_7763:                             ;   in Loop: Header=BB6_5548 Depth=3
	s_or_b32 exec_lo, exec_lo, s22
	s_and_saveexec_b32 s22, s16
	s_cbranch_execz .LBB6_7765
.LBB6_7764:                             ;   in Loop: Header=BB6_5548 Depth=3
	v_and_b32_sdwa v86, v63, v15 dst_sel:DWORD dst_unused:UNUSED_PAD src0_sel:DWORD src1_sel:BYTE_1
	v_and_b32_e32 v87, 7, v86
	v_bfe_u32 v46, v86, 3, 4
	v_ffbh_u32_e32 v112, v87
	v_cmp_eq_u32_e32 vcc_lo, 0, v46
	v_min_u32_e32 v112, 32, v112
	v_subrev_nc_u32_e32 v113, 28, v112
	v_sub_nc_u32_e32 v112, 29, v112
	v_lshlrev_b32_e32 v86, v113, v86
	v_lshlrev_b32_e32 v113, 16, v15
	v_cndmask_b32_e32 v112, v46, v112, vcc_lo
	v_and_b32_e32 v86, 7, v86
	v_lshl_add_u32 v112, v112, 23, 0x3b800000
	v_cndmask_b32_e32 v86, v87, v86, vcc_lo
	v_and_b32_e32 v87, 0x80000000, v113
	v_lshlrev_b32_e32 v86, 20, v86
	v_or3_b32 v112, v87, v112, v86
.LBB6_7765:                             ;   in Loop: Header=BB6_5548 Depth=3
	s_or_b32 exec_lo, exec_lo, s22
	v_cmp_gt_i16_sdwa s22, v11, v61 src0_sel:BYTE_1 src1_sel:DWORD
	s_mov_b32 s16, 0
	s_and_saveexec_b32 s23, s22
	s_xor_b32 s22, exec_lo, s23
	s_cbranch_execz .LBB6_8344
; %bb.7766:                             ;   in Loop: Header=BB6_5548 Depth=3
	v_cmp_eq_u16_sdwa s73, v11, v62 src0_sel:BYTE_1 src1_sel:DWORD
	s_mov_b32 s16, -1
	s_and_saveexec_b32 s23, s73
; %bb.7767:                             ;   in Loop: Header=BB6_5548 Depth=3
	s_xor_b32 s16, exec_lo, -1
; %bb.7768:                             ;   in Loop: Header=BB6_5548 Depth=3
	s_or_b32 exec_lo, exec_lo, s23
	s_and_b32 s16, s16, exec_lo
	s_or_saveexec_b32 s22, s22
	v_mov_b32_e32 v86, 0x7f800001
	s_xor_b32 exec_lo, exec_lo, s22
	s_cbranch_execnz .LBB6_8345
.LBB6_7769:                             ;   in Loop: Header=BB6_5548 Depth=3
	s_or_b32 exec_lo, exec_lo, s22
	s_and_saveexec_b32 s22, s16
	s_cbranch_execz .LBB6_7771
.LBB6_7770:                             ;   in Loop: Header=BB6_5548 Depth=3
	v_and_b32_sdwa v86, v63, v11 dst_sel:DWORD dst_unused:UNUSED_PAD src0_sel:DWORD src1_sel:BYTE_1
	v_and_b32_e32 v87, 7, v86
	v_bfe_u32 v60, v86, 3, 4
	v_ffbh_u32_e32 v113, v87
	v_cmp_eq_u32_e32 vcc_lo, 0, v60
	v_min_u32_e32 v113, 32, v113
	v_subrev_nc_u32_e32 v46, 28, v113
	v_sub_nc_u32_e32 v113, 29, v113
	v_lshlrev_b32_e32 v86, v46, v86
	v_lshlrev_b32_e32 v46, 16, v11
	v_cndmask_b32_e32 v113, v60, v113, vcc_lo
	v_and_b32_e32 v86, 7, v86
	v_lshl_add_u32 v113, v113, 23, 0x3b800000
	v_cndmask_b32_e32 v86, v87, v86, vcc_lo
	v_and_b32_e32 v87, 0x80000000, v46
	v_lshlrev_b32_e32 v86, 20, v86
	v_or3_b32 v86, v87, v113, v86
.LBB6_7771:                             ;   in Loop: Header=BB6_5548 Depth=3
	s_or_b32 exec_lo, exec_lo, s22
	v_max_f32_e32 v86, v86, v86
	v_max_f32_e32 v87, v112, v112
	v_min_f32_e32 v113, v87, v86
.LBB6_7772:                             ;   in Loop: Header=BB6_5548 Depth=3
	v_and_b32_e32 v86, 0x7f800000, v113
	v_mov_b32_e32 v112, 0x8000
	s_mov_b32 s22, exec_lo
	v_cmpx_ne_u32_e32 0x7f800000, v86
	s_cbranch_execz .LBB6_7780
; %bb.7773:                             ;   in Loop: Header=BB6_5548 Depth=3
	v_mov_b32_e32 v112, 0
	s_mov_b32 s23, exec_lo
	v_cmpx_ne_u32_e32 0, v113
	s_cbranch_execz .LBB6_7779
; %bb.7774:                             ;   in Loop: Header=BB6_5548 Depth=3
	v_bfe_u32 v87, v113, 23, 8
	v_and_b32_e32 v86, 0x7fffff, v113
                                        ; implicit-def: $vgpr74
	v_cmp_gt_u32_e64 s16, 0x79, v87
	v_sub_nc_u32_e32 v112, 0x78, v87
	v_cmp_eq_u32_e32 vcc_lo, 0, v87
	v_or_b32_e32 v46, 0x800000, v86
	v_add_nc_u32_e32 v87, 0xffffff89, v87
	v_cndmask_b32_e64 v112, 0, v112, s16
	v_cndmask_b32_e32 v86, v46, v86, vcc_lo
	v_cndmask_b32_e64 v87, v87, 0xffffff8a, vcc_lo
	v_cndmask_b32_e64 v112, v112, 0x77, vcc_lo
	v_lshl_add_u32 v46, 0x100000, v112, -1
	v_lshlrev_b32_e64 v60, v112, 0x80000
	v_and_b32_e32 v46, v46, v86
	v_lshrrev_b32_e32 v86, v112, v86
	v_add_nc_u32_e32 v112, v112, v87
	v_cmp_eq_u32_e64 s16, v46, v60
	v_lshrrev_b32_e32 v87, 23, v86
	v_xor_b32_e32 v46, 1, v87
	v_bfe_u32 v87, v86, 20, 1
	v_add_nc_u32_e32 v87, -1, v87
	v_cndmask_b32_e64 v87, 0, v87, s16
	s_mov_b32 s16, exec_lo
	v_add_nc_u32_e32 v87, v87, v86
	v_and_b32_e32 v87, 0xfffff, v87
	v_add_nc_u32_e32 v60, v87, v86
	v_cmpx_ne_u32_e64 v112, v46
	s_xor_b32 s16, exec_lo, s16
; %bb.7775:                             ;   in Loop: Header=BB6_5548 Depth=3
	v_cmp_lt_u32_e32 vcc_lo, 0xffffff, v60
	v_sub_nc_u32_e32 v86, v112, v46
	v_cndmask_b32_e64 v87, 0, 1, vcc_lo
	v_add_co_ci_u32_e64 v74, null, 0, v86, vcc_lo
	v_lshrrev_b32_e32 v60, v87, v60
; %bb.7776:                             ;   in Loop: Header=BB6_5548 Depth=3
	s_andn2_saveexec_b32 s16, s16
; %bb.7777:                             ;   in Loop: Header=BB6_5548 Depth=3
	v_bfe_u32 v74, v60, 23, 1
; %bb.7778:                             ;   in Loop: Header=BB6_5548 Depth=3
	s_or_b32 exec_lo, exec_lo, s16
	v_lshrrev_b32_e32 v87, 20, v60
	v_min_i32_e32 v112, 15, v74
	v_cmp_gt_i32_e32 vcc_lo, 16, v74
	v_and_b32_sdwa v86, v113, v62 dst_sel:DWORD dst_unused:UNUSED_PAD src0_sel:BYTE_3 src1_sel:DWORD
	v_lshlrev_b32_e32 v112, 3, v112
	v_cndmask_b32_e32 v87, 7, v87, vcc_lo
	v_and_b32_e32 v112, 0xf8, v112
	v_or_b32_e32 v113, v74, v87
	v_and_b32_e32 v87, 7, v87
	v_cmp_ne_u32_e32 vcc_lo, 0, v113
	v_or3_b32 v86, v86, v112, v87
	v_lshlrev_b32_e32 v86, 8, v86
	v_cndmask_b32_e32 v112, 0, v86, vcc_lo
.LBB6_7779:                             ;   in Loop: Header=BB6_5548 Depth=3
	s_or_b32 exec_lo, exec_lo, s23
.LBB6_7780:                             ;   in Loop: Header=BB6_5548 Depth=3
	s_or_b32 exec_lo, exec_lo, s22
	v_and_b32_sdwa v113, v15, v72 dst_sel:DWORD dst_unused:UNUSED_PAD src0_sel:WORD_1 src1_sel:DWORD
	s_andn2_b32 vcc_lo, exec_lo, s19
	s_mov_b32 s22, -1
                                        ; implicit-def: $vgpr46
	v_cmp_lt_i16_e64 s16, 0x7f, v113
	s_cbranch_vccnz .LBB6_7794
; %bb.7781:                             ;   in Loop: Header=BB6_5548 Depth=3
	s_mov_b32 s22, 0
	s_and_saveexec_b32 s23, s16
	s_xor_b32 s16, exec_lo, s23
	s_cbranch_execz .LBB6_8346
; %bb.7782:                             ;   in Loop: Header=BB6_5548 Depth=3
	s_mov_b32 s22, -1
	s_mov_b32 s23, exec_lo
	v_cmpx_eq_u16_e32 0x80, v113
; %bb.7783:                             ;   in Loop: Header=BB6_5548 Depth=3
	s_xor_b32 s22, exec_lo, -1
; %bb.7784:                             ;   in Loop: Header=BB6_5548 Depth=3
	s_or_b32 exec_lo, exec_lo, s23
	s_and_b32 s22, s22, exec_lo
	s_or_saveexec_b32 s16, s16
	v_mov_b32_e32 v46, 0x7f800001
	s_xor_b32 exec_lo, exec_lo, s16
	s_cbranch_execnz .LBB6_8347
.LBB6_7785:                             ;   in Loop: Header=BB6_5548 Depth=3
	s_or_b32 exec_lo, exec_lo, s16
	s_and_saveexec_b32 s16, s22
	s_cbranch_execz .LBB6_7787
.LBB6_7786:                             ;   in Loop: Header=BB6_5548 Depth=3
	v_bfe_u32 v86, v15, 16, 3
	v_bfe_u32 v87, v15, 19, 4
	v_ffbh_u32_e32 v46, v86
	v_cmp_eq_u32_e32 vcc_lo, 0, v87
	v_min_u32_e32 v46, 32, v46
	v_subrev_nc_u32_e32 v60, 28, v46
	v_sub_nc_u32_e32 v46, 29, v46
	v_lshlrev_b32_sdwa v60, v60, v15 dst_sel:DWORD dst_unused:UNUSED_PAD src0_sel:DWORD src1_sel:WORD_1
	v_cndmask_b32_e32 v87, v87, v46, vcc_lo
	v_lshlrev_b32_sdwa v46, v73, v15 dst_sel:DWORD dst_unused:UNUSED_PAD src0_sel:DWORD src1_sel:WORD_1
	v_and_b32_e32 v60, 7, v60
	v_lshl_add_u32 v87, v87, 23, 0x3b800000
	v_and_b32_e32 v46, 0x80000000, v46
	v_cndmask_b32_e32 v86, v86, v60, vcc_lo
	v_lshlrev_b32_e32 v86, 20, v86
	v_or3_b32 v46, v46, v87, v86
.LBB6_7787:                             ;   in Loop: Header=BB6_5548 Depth=3
	s_or_b32 exec_lo, exec_lo, s16
	v_and_b32_sdwa v87, v11, v72 dst_sel:DWORD dst_unused:UNUSED_PAD src0_sel:WORD_1 src1_sel:DWORD
	s_mov_b32 s22, 0
	s_mov_b32 s16, exec_lo
	v_cmpx_lt_i16_e32 0x7f, v87
	s_xor_b32 s16, exec_lo, s16
	s_cbranch_execz .LBB6_8348
; %bb.7788:                             ;   in Loop: Header=BB6_5548 Depth=3
	s_mov_b32 s22, -1
	s_mov_b32 s23, exec_lo
	v_cmpx_eq_u16_e32 0x80, v87
; %bb.7789:                             ;   in Loop: Header=BB6_5548 Depth=3
	s_xor_b32 s22, exec_lo, -1
; %bb.7790:                             ;   in Loop: Header=BB6_5548 Depth=3
	s_or_b32 exec_lo, exec_lo, s23
	s_and_b32 s22, s22, exec_lo
                                        ; implicit-def: $vgpr87
	s_or_saveexec_b32 s16, s16
	v_mov_b32_e32 v86, 0x7f800001
	s_xor_b32 exec_lo, exec_lo, s16
	s_cbranch_execnz .LBB6_8349
.LBB6_7791:                             ;   in Loop: Header=BB6_5548 Depth=3
	s_or_b32 exec_lo, exec_lo, s16
	s_and_saveexec_b32 s16, s22
	s_cbranch_execz .LBB6_7793
.LBB6_7792:                             ;   in Loop: Header=BB6_5548 Depth=3
	v_bfe_u32 v86, v11, 16, 3
	v_bfe_u32 v87, v11, 19, 4
	v_ffbh_u32_e32 v60, v86
	v_cmp_eq_u32_e32 vcc_lo, 0, v87
	v_min_u32_e32 v60, 32, v60
	v_subrev_nc_u32_e32 v74, 28, v60
	v_sub_nc_u32_e32 v60, 29, v60
	v_lshlrev_b32_sdwa v74, v74, v11 dst_sel:DWORD dst_unused:UNUSED_PAD src0_sel:DWORD src1_sel:WORD_1
	v_cndmask_b32_e32 v87, v87, v60, vcc_lo
	v_lshlrev_b32_sdwa v60, v73, v11 dst_sel:DWORD dst_unused:UNUSED_PAD src0_sel:DWORD src1_sel:WORD_1
	v_and_b32_e32 v74, 7, v74
	v_lshl_add_u32 v87, v87, 23, 0x3b800000
	v_and_b32_e32 v60, 0x80000000, v60
	v_cndmask_b32_e32 v86, v86, v74, vcc_lo
	v_lshlrev_b32_e32 v86, 20, v86
	v_or3_b32 v86, v60, v87, v86
.LBB6_7793:                             ;   in Loop: Header=BB6_5548 Depth=3
	s_or_b32 exec_lo, exec_lo, s16
	v_max_f32_e32 v86, v86, v86
	v_max_f32_e32 v87, v46, v46
	s_mov_b32 s22, 0
	v_max_f32_e32 v46, v87, v86
.LBB6_7794:                             ;   in Loop: Header=BB6_5548 Depth=3
	s_and_b32 vcc_lo, exec_lo, s22
	s_cbranch_vccz .LBB6_7808
; %bb.7795:                             ;   in Loop: Header=BB6_5548 Depth=3
	s_mov_b32 s22, 0
	s_mov_b32 s16, exec_lo
	v_cmpx_lt_i16_e32 0x7f, v113
	s_xor_b32 s16, exec_lo, s16
	s_cbranch_execz .LBB6_8350
; %bb.7796:                             ;   in Loop: Header=BB6_5548 Depth=3
	s_mov_b32 s22, -1
	s_mov_b32 s23, exec_lo
	v_cmpx_eq_u16_e32 0x80, v113
; %bb.7797:                             ;   in Loop: Header=BB6_5548 Depth=3
	s_xor_b32 s22, exec_lo, -1
; %bb.7798:                             ;   in Loop: Header=BB6_5548 Depth=3
	s_or_b32 exec_lo, exec_lo, s23
	s_and_b32 s22, s22, exec_lo
                                        ; implicit-def: $vgpr113
	s_or_saveexec_b32 s16, s16
	v_mov_b32_e32 v46, 0x7f800001
	s_xor_b32 exec_lo, exec_lo, s16
	s_cbranch_execnz .LBB6_8351
.LBB6_7799:                             ;   in Loop: Header=BB6_5548 Depth=3
	s_or_b32 exec_lo, exec_lo, s16
	s_and_saveexec_b32 s16, s22
	s_cbranch_execz .LBB6_7801
.LBB6_7800:                             ;   in Loop: Header=BB6_5548 Depth=3
	v_bfe_u32 v86, v15, 16, 3
	v_bfe_u32 v87, v15, 19, 4
	v_ffbh_u32_e32 v113, v86
	v_cmp_eq_u32_e32 vcc_lo, 0, v87
	v_min_u32_e32 v113, 32, v113
	v_subrev_nc_u32_e32 v46, 28, v113
	v_sub_nc_u32_e32 v113, 29, v113
	v_lshlrev_b32_sdwa v46, v46, v15 dst_sel:DWORD dst_unused:UNUSED_PAD src0_sel:DWORD src1_sel:WORD_1
	v_cndmask_b32_e32 v87, v87, v113, vcc_lo
	v_lshlrev_b32_sdwa v113, v73, v15 dst_sel:DWORD dst_unused:UNUSED_PAD src0_sel:DWORD src1_sel:WORD_1
	v_and_b32_e32 v46, 7, v46
	v_lshl_add_u32 v87, v87, 23, 0x3b800000
	v_and_b32_e32 v113, 0x80000000, v113
	v_cndmask_b32_e32 v86, v86, v46, vcc_lo
	v_lshlrev_b32_e32 v86, 20, v86
	v_or3_b32 v46, v113, v87, v86
.LBB6_7801:                             ;   in Loop: Header=BB6_5548 Depth=3
	s_or_b32 exec_lo, exec_lo, s16
	v_and_b32_sdwa v87, v11, v72 dst_sel:DWORD dst_unused:UNUSED_PAD src0_sel:WORD_1 src1_sel:DWORD
	s_mov_b32 s22, 0
	s_mov_b32 s16, exec_lo
	v_cmpx_lt_i16_e32 0x7f, v87
	s_xor_b32 s16, exec_lo, s16
	s_cbranch_execz .LBB6_8352
; %bb.7802:                             ;   in Loop: Header=BB6_5548 Depth=3
	s_mov_b32 s22, -1
	s_mov_b32 s23, exec_lo
	v_cmpx_eq_u16_e32 0x80, v87
; %bb.7803:                             ;   in Loop: Header=BB6_5548 Depth=3
	s_xor_b32 s22, exec_lo, -1
; %bb.7804:                             ;   in Loop: Header=BB6_5548 Depth=3
	s_or_b32 exec_lo, exec_lo, s23
	s_and_b32 s22, s22, exec_lo
                                        ; implicit-def: $vgpr87
	s_or_saveexec_b32 s16, s16
	v_mov_b32_e32 v86, 0x7f800001
	s_xor_b32 exec_lo, exec_lo, s16
	s_cbranch_execnz .LBB6_8353
.LBB6_7805:                             ;   in Loop: Header=BB6_5548 Depth=3
	s_or_b32 exec_lo, exec_lo, s16
	s_and_saveexec_b32 s16, s22
	s_cbranch_execz .LBB6_7807
.LBB6_7806:                             ;   in Loop: Header=BB6_5548 Depth=3
	v_bfe_u32 v86, v11, 16, 3
	v_bfe_u32 v87, v11, 19, 4
	v_ffbh_u32_e32 v113, v86
	v_cmp_eq_u32_e32 vcc_lo, 0, v87
	v_min_u32_e32 v113, 32, v113
	v_subrev_nc_u32_e32 v60, 28, v113
	v_sub_nc_u32_e32 v113, 29, v113
	v_lshlrev_b32_sdwa v60, v60, v11 dst_sel:DWORD dst_unused:UNUSED_PAD src0_sel:DWORD src1_sel:WORD_1
	v_cndmask_b32_e32 v87, v87, v113, vcc_lo
	v_lshlrev_b32_sdwa v113, v73, v11 dst_sel:DWORD dst_unused:UNUSED_PAD src0_sel:DWORD src1_sel:WORD_1
	v_and_b32_e32 v60, 7, v60
	v_lshl_add_u32 v87, v87, 23, 0x3b800000
	v_and_b32_e32 v113, 0x80000000, v113
	v_cndmask_b32_e32 v86, v86, v60, vcc_lo
	v_lshlrev_b32_e32 v86, 20, v86
	v_or3_b32 v86, v113, v87, v86
.LBB6_7807:                             ;   in Loop: Header=BB6_5548 Depth=3
	s_or_b32 exec_lo, exec_lo, s16
	v_max_f32_e32 v86, v86, v86
	v_max_f32_e32 v87, v46, v46
	v_min_f32_e32 v46, v87, v86
.LBB6_7808:                             ;   in Loop: Header=BB6_5548 Depth=3
	v_and_b32_e32 v86, 0x7f800000, v46
	v_mov_b32_e32 v113, 0x80
	s_mov_b32 s22, exec_lo
	v_cmpx_ne_u32_e32 0x7f800000, v86
	s_cbranch_execz .LBB6_7816
; %bb.7809:                             ;   in Loop: Header=BB6_5548 Depth=3
	v_mov_b32_e32 v113, 0
	s_mov_b32 s23, exec_lo
	v_cmpx_ne_u32_e32 0, v46
	s_cbranch_execz .LBB6_7815
; %bb.7810:                             ;   in Loop: Header=BB6_5548 Depth=3
	v_bfe_u32 v87, v46, 23, 8
	v_and_b32_e32 v86, 0x7fffff, v46
                                        ; implicit-def: $vgpr105
	v_cmp_gt_u32_e64 s16, 0x79, v87
	v_sub_nc_u32_e32 v113, 0x78, v87
	v_cmp_eq_u32_e32 vcc_lo, 0, v87
	v_or_b32_e32 v60, 0x800000, v86
	v_add_nc_u32_e32 v87, 0xffffff89, v87
	v_cndmask_b32_e64 v113, 0, v113, s16
	v_cndmask_b32_e32 v86, v60, v86, vcc_lo
	v_cndmask_b32_e64 v87, v87, 0xffffff8a, vcc_lo
	v_cndmask_b32_e64 v113, v113, 0x77, vcc_lo
	v_lshl_add_u32 v60, 0x100000, v113, -1
	v_lshlrev_b32_e64 v74, v113, 0x80000
	v_and_b32_e32 v60, v60, v86
	v_lshrrev_b32_e32 v86, v113, v86
	v_add_nc_u32_e32 v113, v113, v87
	v_cmp_eq_u32_e64 s16, v60, v74
	v_lshrrev_b32_e32 v87, 23, v86
	v_xor_b32_e32 v60, 1, v87
	v_bfe_u32 v87, v86, 20, 1
	v_add_nc_u32_e32 v87, -1, v87
	v_cndmask_b32_e64 v87, 0, v87, s16
	s_mov_b32 s16, exec_lo
	v_add_nc_u32_e32 v87, v87, v86
	v_and_b32_e32 v87, 0xfffff, v87
	v_add_nc_u32_e32 v74, v87, v86
	v_cmpx_ne_u32_e64 v113, v60
	s_xor_b32 s16, exec_lo, s16
; %bb.7811:                             ;   in Loop: Header=BB6_5548 Depth=3
	v_cmp_lt_u32_e32 vcc_lo, 0xffffff, v74
	v_sub_nc_u32_e32 v86, v113, v60
	v_cndmask_b32_e64 v87, 0, 1, vcc_lo
	v_add_co_ci_u32_e64 v105, null, 0, v86, vcc_lo
	v_lshrrev_b32_e32 v74, v87, v74
; %bb.7812:                             ;   in Loop: Header=BB6_5548 Depth=3
	s_andn2_saveexec_b32 s16, s16
; %bb.7813:                             ;   in Loop: Header=BB6_5548 Depth=3
	v_bfe_u32 v105, v74, 23, 1
; %bb.7814:                             ;   in Loop: Header=BB6_5548 Depth=3
	s_or_b32 exec_lo, exec_lo, s16
	v_lshrrev_b32_e32 v87, 20, v74
	v_min_i32_e32 v113, 15, v105
	v_cmp_gt_i32_e32 vcc_lo, 16, v105
	v_and_b32_sdwa v86, v46, v62 dst_sel:DWORD dst_unused:UNUSED_PAD src0_sel:BYTE_3 src1_sel:DWORD
	v_lshlrev_b32_e32 v113, 3, v113
	v_cndmask_b32_e32 v87, 7, v87, vcc_lo
	v_and_b32_e32 v113, 0xf8, v113
	v_or_b32_e32 v46, v105, v87
	v_and_b32_e32 v87, 7, v87
	v_cmp_ne_u32_e32 vcc_lo, 0, v46
	v_or3_b32 v86, v113, v86, v87
	v_cndmask_b32_e32 v113, 0, v86, vcc_lo
.LBB6_7815:                             ;   in Loop: Header=BB6_5548 Depth=3
	s_or_b32 exec_lo, exec_lo, s23
.LBB6_7816:                             ;   in Loop: Header=BB6_5548 Depth=3
	s_or_b32 exec_lo, exec_lo, s22
	v_cmp_gt_i16_sdwa s22, v15, v61 src0_sel:BYTE_3 src1_sel:DWORD
	s_andn2_b32 vcc_lo, exec_lo, s19
	s_mov_b32 s16, -1
                                        ; implicit-def: $vgpr46
	s_cbranch_vccnz .LBB6_7830
; %bb.7817:                             ;   in Loop: Header=BB6_5548 Depth=3
	s_mov_b32 s16, 0
	s_and_saveexec_b32 s23, s22
	s_xor_b32 s22, exec_lo, s23
	s_cbranch_execz .LBB6_8354
; %bb.7818:                             ;   in Loop: Header=BB6_5548 Depth=3
	v_cmp_eq_u16_sdwa s73, v15, v62 src0_sel:BYTE_3 src1_sel:DWORD
	s_mov_b32 s16, -1
	s_and_saveexec_b32 s23, s73
; %bb.7819:                             ;   in Loop: Header=BB6_5548 Depth=3
	s_xor_b32 s16, exec_lo, -1
; %bb.7820:                             ;   in Loop: Header=BB6_5548 Depth=3
	s_or_b32 exec_lo, exec_lo, s23
	s_and_b32 s16, s16, exec_lo
	s_or_saveexec_b32 s22, s22
	v_mov_b32_e32 v46, 0x7f800001
	s_xor_b32 exec_lo, exec_lo, s22
	s_cbranch_execnz .LBB6_8355
.LBB6_7821:                             ;   in Loop: Header=BB6_5548 Depth=3
	s_or_b32 exec_lo, exec_lo, s22
	s_and_saveexec_b32 s22, s16
	s_cbranch_execz .LBB6_7823
.LBB6_7822:                             ;   in Loop: Header=BB6_5548 Depth=3
	v_bfe_u32 v86, v15, 24, 3
	v_bfe_u32 v60, v15, 27, 4
	v_ffbh_u32_e32 v87, v86
	v_cmp_eq_u32_e32 vcc_lo, 0, v60
	v_min_u32_e32 v87, 32, v87
	v_subrev_nc_u32_e32 v46, 28, v87
	v_sub_nc_u32_e32 v87, 29, v87
	v_lshlrev_b32_sdwa v46, v46, v15 dst_sel:DWORD dst_unused:UNUSED_PAD src0_sel:DWORD src1_sel:BYTE_3
	v_cndmask_b32_e32 v87, v60, v87, vcc_lo
	v_and_b32_e32 v46, 7, v46
	v_lshl_add_u32 v87, v87, 23, 0x3b800000
	v_cndmask_b32_e32 v86, v86, v46, vcc_lo
	v_and_b32_e32 v46, 0x80000000, v15
	v_lshlrev_b32_e32 v86, 20, v86
	v_or3_b32 v46, v46, v87, v86
.LBB6_7823:                             ;   in Loop: Header=BB6_5548 Depth=3
	s_or_b32 exec_lo, exec_lo, s22
	v_cmp_gt_i16_sdwa s22, v11, v61 src0_sel:BYTE_3 src1_sel:DWORD
	s_mov_b32 s16, 0
	s_and_saveexec_b32 s23, s22
	s_xor_b32 s22, exec_lo, s23
	s_cbranch_execz .LBB6_8356
; %bb.7824:                             ;   in Loop: Header=BB6_5548 Depth=3
	v_cmp_eq_u16_sdwa s73, v11, v62 src0_sel:BYTE_3 src1_sel:DWORD
	s_mov_b32 s16, -1
	s_and_saveexec_b32 s23, s73
; %bb.7825:                             ;   in Loop: Header=BB6_5548 Depth=3
	s_xor_b32 s16, exec_lo, -1
; %bb.7826:                             ;   in Loop: Header=BB6_5548 Depth=3
	s_or_b32 exec_lo, exec_lo, s23
	s_and_b32 s16, s16, exec_lo
	s_or_saveexec_b32 s22, s22
	v_mov_b32_e32 v86, 0x7f800001
	s_xor_b32 exec_lo, exec_lo, s22
	s_cbranch_execnz .LBB6_8357
.LBB6_7827:                             ;   in Loop: Header=BB6_5548 Depth=3
	s_or_b32 exec_lo, exec_lo, s22
	s_and_saveexec_b32 s22, s16
	s_cbranch_execz .LBB6_7829
.LBB6_7828:                             ;   in Loop: Header=BB6_5548 Depth=3
	v_bfe_u32 v86, v11, 24, 3
	v_bfe_u32 v74, v11, 27, 4
	v_ffbh_u32_e32 v87, v86
	v_cmp_eq_u32_e32 vcc_lo, 0, v74
	v_min_u32_e32 v87, 32, v87
	v_subrev_nc_u32_e32 v60, 28, v87
	v_sub_nc_u32_e32 v87, 29, v87
	v_lshlrev_b32_sdwa v60, v60, v11 dst_sel:DWORD dst_unused:UNUSED_PAD src0_sel:DWORD src1_sel:BYTE_3
	v_cndmask_b32_e32 v87, v74, v87, vcc_lo
	v_and_b32_e32 v60, 7, v60
	v_lshl_add_u32 v87, v87, 23, 0x3b800000
	v_cndmask_b32_e32 v86, v86, v60, vcc_lo
	v_and_b32_e32 v60, 0x80000000, v11
	v_lshlrev_b32_e32 v86, 20, v86
	v_or3_b32 v86, v60, v87, v86
.LBB6_7829:                             ;   in Loop: Header=BB6_5548 Depth=3
	s_or_b32 exec_lo, exec_lo, s22
	v_max_f32_e32 v86, v86, v86
	v_max_f32_e32 v87, v46, v46
	s_mov_b32 s16, 0
	v_max_f32_e32 v46, v87, v86
.LBB6_7830:                             ;   in Loop: Header=BB6_5548 Depth=3
	s_and_b32 vcc_lo, exec_lo, s16
	s_cbranch_vccz .LBB6_7844
; %bb.7831:                             ;   in Loop: Header=BB6_5548 Depth=3
	v_cmp_gt_i16_sdwa s22, v15, v61 src0_sel:BYTE_3 src1_sel:DWORD
	s_mov_b32 s16, 0
	s_and_saveexec_b32 s23, s22
	s_xor_b32 s22, exec_lo, s23
	s_cbranch_execz .LBB6_8358
; %bb.7832:                             ;   in Loop: Header=BB6_5548 Depth=3
	v_cmp_eq_u16_sdwa s73, v15, v62 src0_sel:BYTE_3 src1_sel:DWORD
	s_mov_b32 s16, -1
	s_and_saveexec_b32 s23, s73
; %bb.7833:                             ;   in Loop: Header=BB6_5548 Depth=3
	s_xor_b32 s16, exec_lo, -1
; %bb.7834:                             ;   in Loop: Header=BB6_5548 Depth=3
	s_or_b32 exec_lo, exec_lo, s23
	s_and_b32 s16, s16, exec_lo
	s_or_saveexec_b32 s22, s22
	v_mov_b32_e32 v46, 0x7f800001
	s_xor_b32 exec_lo, exec_lo, s22
	s_cbranch_execnz .LBB6_8359
.LBB6_7835:                             ;   in Loop: Header=BB6_5548 Depth=3
	s_or_b32 exec_lo, exec_lo, s22
	s_and_saveexec_b32 s22, s16
	s_cbranch_execz .LBB6_7837
.LBB6_7836:                             ;   in Loop: Header=BB6_5548 Depth=3
	v_bfe_u32 v86, v15, 24, 3
	v_bfe_u32 v60, v15, 27, 4
	v_ffbh_u32_e32 v87, v86
	v_cmp_eq_u32_e32 vcc_lo, 0, v60
	v_min_u32_e32 v87, 32, v87
	v_subrev_nc_u32_e32 v46, 28, v87
	v_sub_nc_u32_e32 v87, 29, v87
	v_lshlrev_b32_sdwa v46, v46, v15 dst_sel:DWORD dst_unused:UNUSED_PAD src0_sel:DWORD src1_sel:BYTE_3
	v_cndmask_b32_e32 v87, v60, v87, vcc_lo
	v_and_b32_e32 v15, 0x80000000, v15
	v_and_b32_e32 v46, 7, v46
	v_lshl_add_u32 v87, v87, 23, 0x3b800000
	v_cndmask_b32_e32 v86, v86, v46, vcc_lo
	v_lshlrev_b32_e32 v86, 20, v86
	v_or3_b32 v46, v15, v87, v86
.LBB6_7837:                             ;   in Loop: Header=BB6_5548 Depth=3
	s_or_b32 exec_lo, exec_lo, s22
	v_cmp_gt_i16_sdwa s22, v11, v61 src0_sel:BYTE_3 src1_sel:DWORD
	s_mov_b32 s16, 0
	s_and_saveexec_b32 s23, s22
	s_xor_b32 s22, exec_lo, s23
	s_cbranch_execz .LBB6_8360
; %bb.7838:                             ;   in Loop: Header=BB6_5548 Depth=3
	v_cmp_eq_u16_sdwa s73, v11, v62 src0_sel:BYTE_3 src1_sel:DWORD
	s_mov_b32 s16, -1
	s_and_saveexec_b32 s23, s73
; %bb.7839:                             ;   in Loop: Header=BB6_5548 Depth=3
	s_xor_b32 s16, exec_lo, -1
; %bb.7840:                             ;   in Loop: Header=BB6_5548 Depth=3
	s_or_b32 exec_lo, exec_lo, s23
	s_and_b32 s16, s16, exec_lo
	s_or_saveexec_b32 s22, s22
	v_mov_b32_e32 v15, 0x7f800001
	s_xor_b32 exec_lo, exec_lo, s22
	s_cbranch_execnz .LBB6_8361
.LBB6_7841:                             ;   in Loop: Header=BB6_5548 Depth=3
	s_or_b32 exec_lo, exec_lo, s22
	s_and_saveexec_b32 s22, s16
	s_cbranch_execz .LBB6_7843
.LBB6_7842:                             ;   in Loop: Header=BB6_5548 Depth=3
	v_bfe_u32 v15, v11, 24, 3
	v_bfe_u32 v60, v11, 27, 4
	v_ffbh_u32_e32 v86, v15
	v_cmp_eq_u32_e32 vcc_lo, 0, v60
	v_min_u32_e32 v86, 32, v86
	v_subrev_nc_u32_e32 v87, 28, v86
	v_sub_nc_u32_e32 v86, 29, v86
	v_lshlrev_b32_sdwa v87, v87, v11 dst_sel:DWORD dst_unused:UNUSED_PAD src0_sel:DWORD src1_sel:BYTE_3
	v_cndmask_b32_e32 v86, v60, v86, vcc_lo
	v_and_b32_e32 v11, 0x80000000, v11
	v_and_b32_e32 v87, 7, v87
	v_lshl_add_u32 v86, v86, 23, 0x3b800000
	v_cndmask_b32_e32 v15, v15, v87, vcc_lo
	v_lshlrev_b32_e32 v15, 20, v15
	v_or3_b32 v15, v11, v86, v15
.LBB6_7843:                             ;   in Loop: Header=BB6_5548 Depth=3
	s_or_b32 exec_lo, exec_lo, s22
	v_max_f32_e32 v11, v15, v15
	v_max_f32_e32 v15, v46, v46
	v_min_f32_e32 v46, v15, v11
.LBB6_7844:                             ;   in Loop: Header=BB6_5548 Depth=3
	v_and_b32_e32 v11, 0x7f800000, v46
	v_cmp_ne_u32_e32 vcc_lo, 0x7f800000, v11
	v_mov_b32_e32 v11, 0x8000
	s_and_saveexec_b32 s22, vcc_lo
	s_cbranch_execz .LBB6_5547
; %bb.7845:                             ;   in Loop: Header=BB6_5548 Depth=3
	v_mov_b32_e32 v11, 0
	s_mov_b32 s23, exec_lo
	v_cmpx_ne_u32_e32 0, v46
	s_cbranch_execz .LBB6_5546
; %bb.7846:                             ;   in Loop: Header=BB6_5548 Depth=3
	v_bfe_u32 v15, v46, 23, 8
	v_and_b32_e32 v11, 0x7fffff, v46
                                        ; implicit-def: $vgpr74
	v_cmp_gt_u32_e64 s16, 0x79, v15
	v_sub_nc_u32_e32 v86, 0x78, v15
	v_cmp_eq_u32_e32 vcc_lo, 0, v15
	v_or_b32_e32 v87, 0x800000, v11
	v_cndmask_b32_e64 v86, 0, v86, s16
	v_cndmask_b32_e32 v11, v87, v11, vcc_lo
	v_cndmask_b32_e64 v86, v86, 0x77, vcc_lo
	v_lshl_add_u32 v87, 0x100000, v86, -1
	v_lshlrev_b32_e64 v60, v86, 0x80000
	v_and_b32_e32 v87, v87, v11
	v_cmp_eq_u32_e64 s16, v87, v60
	v_lshrrev_b32_e32 v87, v86, v11
	v_add_nc_u32_e32 v11, 0xffffff89, v15
	v_lshrrev_b32_e32 v15, 23, v87
	v_cndmask_b32_e64 v11, v11, 0xffffff8a, vcc_lo
	v_xor_b32_e32 v15, 1, v15
	v_add_nc_u32_e32 v11, v86, v11
	v_bfe_u32 v86, v87, 20, 1
	v_add_nc_u32_e32 v86, -1, v86
	v_cndmask_b32_e64 v86, 0, v86, s16
	s_mov_b32 s16, exec_lo
	v_add_nc_u32_e32 v86, v86, v87
	v_and_b32_e32 v86, 0xfffff, v86
	v_add_nc_u32_e32 v60, v86, v87
	v_cmpx_ne_u32_e64 v11, v15
	s_xor_b32 s16, exec_lo, s16
; %bb.7847:                             ;   in Loop: Header=BB6_5548 Depth=3
	v_cmp_lt_u32_e32 vcc_lo, 0xffffff, v60
	v_sub_nc_u32_e32 v11, v11, v15
	v_cndmask_b32_e64 v15, 0, 1, vcc_lo
	v_add_co_ci_u32_e64 v74, null, 0, v11, vcc_lo
	v_lshrrev_b32_e32 v60, v15, v60
; %bb.7848:                             ;   in Loop: Header=BB6_5548 Depth=3
	s_andn2_saveexec_b32 s16, s16
	s_cbranch_execz .LBB6_5545
; %bb.7849:                             ;   in Loop: Header=BB6_5548 Depth=3
	v_bfe_u32 v74, v60, 23, 1
	s_branch .LBB6_5545
.LBB6_7850:                             ;   in Loop: Header=BB6_5548 Depth=3
	s_or_saveexec_b32 s22, s22
	v_mov_b32_e32 v1, 0x7f800001
	s_xor_b32 exec_lo, exec_lo, s22
	s_cbranch_execz .LBB6_5553
.LBB6_7851:                             ;   in Loop: Header=BB6_5548 Depth=3
	v_cmp_ne_u16_sdwa s23, v48, v2 src0_sel:BYTE_0 src1_sel:DWORD
	v_mov_b32_e32 v1, 0
	s_andn2_b32 s16, s16, exec_lo
	s_and_b32 s23, s23, exec_lo
	s_or_b32 s16, s16, s23
	s_or_b32 exec_lo, exec_lo, s22
	s_and_saveexec_b32 s22, s16
	s_cbranch_execnz .LBB6_5554
	s_branch .LBB6_5555
.LBB6_7852:                             ;   in Loop: Header=BB6_5548 Depth=3
	s_or_saveexec_b32 s22, s22
	v_mov_b32_e32 v4, 0x7f800001
	s_xor_b32 exec_lo, exec_lo, s22
	s_cbranch_execz .LBB6_5559
.LBB6_7853:                             ;   in Loop: Header=BB6_5548 Depth=3
	v_cmp_ne_u16_sdwa s23, v36, v2 src0_sel:BYTE_0 src1_sel:DWORD
	v_mov_b32_e32 v4, 0
	s_andn2_b32 s16, s16, exec_lo
	s_and_b32 s23, s23, exec_lo
	s_or_b32 s16, s16, s23
	s_or_b32 exec_lo, exec_lo, s22
	s_and_saveexec_b32 s22, s16
	s_cbranch_execnz .LBB6_5560
	s_branch .LBB6_5561
.LBB6_7854:                             ;   in Loop: Header=BB6_5548 Depth=3
	s_or_saveexec_b32 s22, s22
	v_mov_b32_e32 v1, 0x7f800001
	s_xor_b32 exec_lo, exec_lo, s22
	s_cbranch_execz .LBB6_5567
.LBB6_7855:                             ;   in Loop: Header=BB6_5548 Depth=3
	v_cmp_ne_u16_sdwa s23, v48, v2 src0_sel:BYTE_0 src1_sel:DWORD
	v_mov_b32_e32 v1, 0
	s_andn2_b32 s16, s16, exec_lo
	s_and_b32 s23, s23, exec_lo
	s_or_b32 s16, s16, s23
	s_or_b32 exec_lo, exec_lo, s22
	s_and_saveexec_b32 s22, s16
	s_cbranch_execnz .LBB6_5568
	s_branch .LBB6_5569
.LBB6_7856:                             ;   in Loop: Header=BB6_5548 Depth=3
	s_or_saveexec_b32 s22, s22
	v_mov_b32_e32 v4, 0x7f800001
	s_xor_b32 exec_lo, exec_lo, s22
	s_cbranch_execz .LBB6_5573
.LBB6_7857:                             ;   in Loop: Header=BB6_5548 Depth=3
	v_cmp_ne_u16_sdwa s23, v36, v2 src0_sel:BYTE_0 src1_sel:DWORD
	v_mov_b32_e32 v4, 0
	s_andn2_b32 s16, s16, exec_lo
	s_and_b32 s23, s23, exec_lo
	s_or_b32 s16, s16, s23
	s_or_b32 exec_lo, exec_lo, s22
	s_and_saveexec_b32 s22, s16
	s_cbranch_execnz .LBB6_5574
	s_branch .LBB6_5575
.LBB6_7858:                             ;   in Loop: Header=BB6_5548 Depth=3
	s_or_saveexec_b32 s22, s22
	v_mov_b32_e32 v1, 0x7f800001
	s_xor_b32 exec_lo, exec_lo, s22
	s_cbranch_execz .LBB6_5589
.LBB6_7859:                             ;   in Loop: Header=BB6_5548 Depth=3
	v_cmp_ne_u16_sdwa s23, v48, v2 src0_sel:BYTE_1 src1_sel:DWORD
	v_mov_b32_e32 v1, 0
	s_andn2_b32 s16, s16, exec_lo
	s_and_b32 s23, s23, exec_lo
	s_or_b32 s16, s16, s23
	s_or_b32 exec_lo, exec_lo, s22
	s_and_saveexec_b32 s22, s16
	s_cbranch_execnz .LBB6_5590
	s_branch .LBB6_5591
.LBB6_7860:                             ;   in Loop: Header=BB6_5548 Depth=3
	s_or_saveexec_b32 s16, s16
	v_mov_b32_e32 v4, 0x7f800001
	s_xor_b32 exec_lo, exec_lo, s16
	s_cbranch_execz .LBB6_5595
.LBB6_7861:                             ;   in Loop: Header=BB6_5548 Depth=3
	v_cmp_ne_u16_sdwa s23, v36, v2 src0_sel:BYTE_1 src1_sel:DWORD
	v_mov_b32_e32 v4, 0
	s_andn2_b32 s22, s22, exec_lo
	s_and_b32 s23, s23, exec_lo
	s_or_b32 s22, s22, s23
	s_or_b32 exec_lo, exec_lo, s16
	s_and_saveexec_b32 s16, s22
	s_cbranch_execnz .LBB6_5596
	s_branch .LBB6_5597
.LBB6_7862:                             ;   in Loop: Header=BB6_5548 Depth=3
	s_or_saveexec_b32 s22, s22
	v_mov_b32_e32 v1, 0x7f800001
	s_xor_b32 exec_lo, exec_lo, s22
	s_cbranch_execz .LBB6_5603
.LBB6_7863:                             ;   in Loop: Header=BB6_5548 Depth=3
	v_cmp_ne_u16_sdwa s23, v48, v2 src0_sel:BYTE_1 src1_sel:DWORD
	v_mov_b32_e32 v1, 0
	s_andn2_b32 s16, s16, exec_lo
	s_and_b32 s23, s23, exec_lo
	s_or_b32 s16, s16, s23
	s_or_b32 exec_lo, exec_lo, s22
	s_and_saveexec_b32 s22, s16
	s_cbranch_execnz .LBB6_5604
	s_branch .LBB6_5605
.LBB6_7864:                             ;   in Loop: Header=BB6_5548 Depth=3
	s_or_saveexec_b32 s16, s16
	v_mov_b32_e32 v4, 0x7f800001
	s_xor_b32 exec_lo, exec_lo, s16
	s_cbranch_execz .LBB6_5609
.LBB6_7865:                             ;   in Loop: Header=BB6_5548 Depth=3
	v_cmp_ne_u16_sdwa s23, v36, v2 src0_sel:BYTE_1 src1_sel:DWORD
	v_mov_b32_e32 v4, 0
	s_andn2_b32 s22, s22, exec_lo
	s_and_b32 s23, s23, exec_lo
	s_or_b32 s22, s22, s23
	s_or_b32 exec_lo, exec_lo, s16
	s_and_saveexec_b32 s16, s22
	s_cbranch_execnz .LBB6_5610
	s_branch .LBB6_5611
.LBB6_7866:                             ;   in Loop: Header=BB6_5548 Depth=3
	s_or_saveexec_b32 s16, s16
	v_mov_b32_e32 v4, 0x7f800001
	s_xor_b32 exec_lo, exec_lo, s16
	s_cbranch_execz .LBB6_5625
.LBB6_7867:                             ;   in Loop: Header=BB6_5548 Depth=3
	v_cmp_ne_u16_e32 vcc_lo, 0, v1
	v_mov_b32_e32 v4, 0
	s_andn2_b32 s22, s22, exec_lo
	s_and_b32 s23, vcc_lo, exec_lo
	s_or_b32 s22, s22, s23
	s_or_b32 exec_lo, exec_lo, s16
	s_and_saveexec_b32 s16, s22
	s_cbranch_execnz .LBB6_5626
	s_branch .LBB6_5627
.LBB6_7868:                             ;   in Loop: Header=BB6_5548 Depth=3
	s_or_saveexec_b32 s16, s16
	v_mov_b32_e32 v5, 0x7f800001
	s_xor_b32 exec_lo, exec_lo, s16
	s_cbranch_execz .LBB6_5631
.LBB6_7869:                             ;   in Loop: Header=BB6_5548 Depth=3
	v_cmp_ne_u16_e32 vcc_lo, 0, v28
	v_mov_b32_e32 v5, 0
	s_andn2_b32 s22, s22, exec_lo
	s_and_b32 s23, vcc_lo, exec_lo
	s_or_b32 s22, s22, s23
	s_or_b32 exec_lo, exec_lo, s16
	s_and_saveexec_b32 s16, s22
	s_cbranch_execnz .LBB6_5632
	s_branch .LBB6_5633
.LBB6_7870:                             ;   in Loop: Header=BB6_5548 Depth=3
	s_or_saveexec_b32 s16, s16
	v_mov_b32_e32 v4, 0x7f800001
	s_xor_b32 exec_lo, exec_lo, s16
	s_cbranch_execz .LBB6_5639
.LBB6_7871:                             ;   in Loop: Header=BB6_5548 Depth=3
	v_cmp_ne_u16_e32 vcc_lo, 0, v1
	v_mov_b32_e32 v4, 0
	s_andn2_b32 s22, s22, exec_lo
	s_and_b32 s23, vcc_lo, exec_lo
	s_or_b32 s22, s22, s23
	s_or_b32 exec_lo, exec_lo, s16
	s_and_saveexec_b32 s16, s22
	s_cbranch_execnz .LBB6_5640
	s_branch .LBB6_5641
.LBB6_7872:                             ;   in Loop: Header=BB6_5548 Depth=3
	s_or_saveexec_b32 s16, s16
	v_mov_b32_e32 v1, 0x7f800001
	s_xor_b32 exec_lo, exec_lo, s16
	s_cbranch_execz .LBB6_5645
.LBB6_7873:                             ;   in Loop: Header=BB6_5548 Depth=3
	v_cmp_ne_u16_e32 vcc_lo, 0, v5
	v_mov_b32_e32 v1, 0
	s_andn2_b32 s22, s22, exec_lo
	s_and_b32 s23, vcc_lo, exec_lo
	s_or_b32 s22, s22, s23
	s_or_b32 exec_lo, exec_lo, s16
	s_and_saveexec_b32 s16, s22
	s_cbranch_execnz .LBB6_5646
	s_branch .LBB6_5647
.LBB6_7874:                             ;   in Loop: Header=BB6_5548 Depth=3
	s_or_saveexec_b32 s16, s16
	v_mov_b32_e32 v1, 0x7f800001
	s_xor_b32 exec_lo, exec_lo, s16
	s_cbranch_execz .LBB6_5661
.LBB6_7875:                             ;   in Loop: Header=BB6_5548 Depth=3
	v_cmp_ne_u16_sdwa s23, v48, v2 src0_sel:BYTE_3 src1_sel:DWORD
	v_mov_b32_e32 v1, 0
	s_andn2_b32 s22, s22, exec_lo
	s_and_b32 s23, s23, exec_lo
	s_or_b32 s22, s22, s23
	s_or_b32 exec_lo, exec_lo, s16
	s_and_saveexec_b32 s16, s22
	s_cbranch_execnz .LBB6_5662
	s_branch .LBB6_5663
.LBB6_7876:                             ;   in Loop: Header=BB6_5548 Depth=3
	s_or_saveexec_b32 s16, s16
	v_mov_b32_e32 v4, 0x7f800001
	s_xor_b32 exec_lo, exec_lo, s16
	s_cbranch_execz .LBB6_5667
.LBB6_7877:                             ;   in Loop: Header=BB6_5548 Depth=3
	v_cmp_ne_u16_sdwa s23, v36, v2 src0_sel:BYTE_3 src1_sel:DWORD
	v_mov_b32_e32 v4, 0
	s_andn2_b32 s22, s22, exec_lo
	s_and_b32 s23, s23, exec_lo
	s_or_b32 s22, s22, s23
	s_or_b32 exec_lo, exec_lo, s16
	s_and_saveexec_b32 s16, s22
	s_cbranch_execnz .LBB6_5668
	s_branch .LBB6_5669
.LBB6_7878:                             ;   in Loop: Header=BB6_5548 Depth=3
	s_or_saveexec_b32 s16, s16
	v_mov_b32_e32 v1, 0x7f800001
	s_xor_b32 exec_lo, exec_lo, s16
	s_cbranch_execz .LBB6_5675
.LBB6_7879:                             ;   in Loop: Header=BB6_5548 Depth=3
	v_cmp_ne_u16_sdwa s23, v48, v2 src0_sel:BYTE_3 src1_sel:DWORD
	v_mov_b32_e32 v1, 0
	s_andn2_b32 s22, s22, exec_lo
	s_and_b32 s23, s23, exec_lo
	s_or_b32 s22, s22, s23
	s_or_b32 exec_lo, exec_lo, s16
	s_and_saveexec_b32 s16, s22
	s_cbranch_execnz .LBB6_5676
	s_branch .LBB6_5677
.LBB6_7880:                             ;   in Loop: Header=BB6_5548 Depth=3
	s_or_saveexec_b32 s16, s16
	v_mov_b32_e32 v4, 0x7f800001
	s_xor_b32 exec_lo, exec_lo, s16
	s_cbranch_execz .LBB6_5681
.LBB6_7881:                             ;   in Loop: Header=BB6_5548 Depth=3
	v_cmp_ne_u16_sdwa s23, v36, v2 src0_sel:BYTE_3 src1_sel:DWORD
	v_mov_b32_e32 v4, 0
	s_andn2_b32 s22, s22, exec_lo
	s_and_b32 s23, s23, exec_lo
	s_or_b32 s22, s22, s23
	s_or_b32 exec_lo, exec_lo, s16
	s_and_saveexec_b32 s16, s22
	s_cbranch_execnz .LBB6_5682
	s_branch .LBB6_5683
.LBB6_7882:                             ;   in Loop: Header=BB6_5548 Depth=3
	s_or_saveexec_b32 s16, s16
	v_mov_b32_e32 v1, 0x7f800001
	s_xor_b32 exec_lo, exec_lo, s16
	s_cbranch_execz .LBB6_5697
.LBB6_7883:                             ;   in Loop: Header=BB6_5548 Depth=3
	v_cmp_ne_u16_sdwa s23, v49, v2 src0_sel:BYTE_0 src1_sel:DWORD
	v_mov_b32_e32 v1, 0
	s_andn2_b32 s22, s22, exec_lo
	s_and_b32 s23, s23, exec_lo
	s_or_b32 s22, s22, s23
	s_or_b32 exec_lo, exec_lo, s16
	s_and_saveexec_b32 s16, s22
	s_cbranch_execnz .LBB6_5698
	s_branch .LBB6_5699
.LBB6_7884:                             ;   in Loop: Header=BB6_5548 Depth=3
	s_or_saveexec_b32 s16, s16
	v_mov_b32_e32 v4, 0x7f800001
	s_xor_b32 exec_lo, exec_lo, s16
	s_cbranch_execz .LBB6_5703
.LBB6_7885:                             ;   in Loop: Header=BB6_5548 Depth=3
	v_cmp_ne_u16_sdwa s23, v37, v2 src0_sel:BYTE_0 src1_sel:DWORD
	v_mov_b32_e32 v4, 0
	s_andn2_b32 s22, s22, exec_lo
	s_and_b32 s23, s23, exec_lo
	s_or_b32 s22, s22, s23
	s_or_b32 exec_lo, exec_lo, s16
	s_and_saveexec_b32 s16, s22
	s_cbranch_execnz .LBB6_5704
	s_branch .LBB6_5705
.LBB6_7886:                             ;   in Loop: Header=BB6_5548 Depth=3
	s_or_saveexec_b32 s16, s16
	v_mov_b32_e32 v1, 0x7f800001
	s_xor_b32 exec_lo, exec_lo, s16
	s_cbranch_execz .LBB6_5711
.LBB6_7887:                             ;   in Loop: Header=BB6_5548 Depth=3
	v_cmp_ne_u16_sdwa s23, v49, v2 src0_sel:BYTE_0 src1_sel:DWORD
	v_mov_b32_e32 v1, 0
	s_andn2_b32 s22, s22, exec_lo
	s_and_b32 s23, s23, exec_lo
	s_or_b32 s22, s22, s23
	s_or_b32 exec_lo, exec_lo, s16
	s_and_saveexec_b32 s16, s22
	s_cbranch_execnz .LBB6_5712
	s_branch .LBB6_5713
.LBB6_7888:                             ;   in Loop: Header=BB6_5548 Depth=3
	s_or_saveexec_b32 s16, s16
	v_mov_b32_e32 v4, 0x7f800001
	s_xor_b32 exec_lo, exec_lo, s16
	s_cbranch_execz .LBB6_5717
.LBB6_7889:                             ;   in Loop: Header=BB6_5548 Depth=3
	v_cmp_ne_u16_sdwa s23, v37, v2 src0_sel:BYTE_0 src1_sel:DWORD
	v_mov_b32_e32 v4, 0
	s_andn2_b32 s22, s22, exec_lo
	s_and_b32 s23, s23, exec_lo
	s_or_b32 s22, s22, s23
	s_or_b32 exec_lo, exec_lo, s16
	s_and_saveexec_b32 s16, s22
	s_cbranch_execnz .LBB6_5718
	s_branch .LBB6_5719
.LBB6_7890:                             ;   in Loop: Header=BB6_5548 Depth=3
	s_or_saveexec_b32 s16, s16
	v_mov_b32_e32 v1, 0x7f800001
	s_xor_b32 exec_lo, exec_lo, s16
	s_cbranch_execz .LBB6_5733
.LBB6_7891:                             ;   in Loop: Header=BB6_5548 Depth=3
	v_cmp_ne_u16_sdwa s23, v49, v2 src0_sel:BYTE_1 src1_sel:DWORD
	v_mov_b32_e32 v1, 0
	s_andn2_b32 s22, s22, exec_lo
	s_and_b32 s23, s23, exec_lo
	s_or_b32 s22, s22, s23
	s_or_b32 exec_lo, exec_lo, s16
	s_and_saveexec_b32 s16, s22
	s_cbranch_execnz .LBB6_5734
	s_branch .LBB6_5735
.LBB6_7892:                             ;   in Loop: Header=BB6_5548 Depth=3
	s_or_saveexec_b32 s16, s16
	v_mov_b32_e32 v4, 0x7f800001
	s_xor_b32 exec_lo, exec_lo, s16
	s_cbranch_execz .LBB6_5739
.LBB6_7893:                             ;   in Loop: Header=BB6_5548 Depth=3
	v_cmp_ne_u16_sdwa s23, v37, v2 src0_sel:BYTE_1 src1_sel:DWORD
	v_mov_b32_e32 v4, 0
	s_andn2_b32 s22, s22, exec_lo
	s_and_b32 s23, s23, exec_lo
	s_or_b32 s22, s22, s23
	s_or_b32 exec_lo, exec_lo, s16
	s_and_saveexec_b32 s16, s22
	s_cbranch_execnz .LBB6_5740
	s_branch .LBB6_5741
.LBB6_7894:                             ;   in Loop: Header=BB6_5548 Depth=3
	s_or_saveexec_b32 s16, s16
	v_mov_b32_e32 v1, 0x7f800001
	s_xor_b32 exec_lo, exec_lo, s16
	s_cbranch_execz .LBB6_5747
.LBB6_7895:                             ;   in Loop: Header=BB6_5548 Depth=3
	v_cmp_ne_u16_sdwa s23, v49, v2 src0_sel:BYTE_1 src1_sel:DWORD
	v_mov_b32_e32 v1, 0
	s_andn2_b32 s22, s22, exec_lo
	s_and_b32 s23, s23, exec_lo
	s_or_b32 s22, s22, s23
	s_or_b32 exec_lo, exec_lo, s16
	s_and_saveexec_b32 s16, s22
	s_cbranch_execnz .LBB6_5748
	s_branch .LBB6_5749
.LBB6_7896:                             ;   in Loop: Header=BB6_5548 Depth=3
	s_or_saveexec_b32 s16, s16
	v_mov_b32_e32 v4, 0x7f800001
	s_xor_b32 exec_lo, exec_lo, s16
	s_cbranch_execz .LBB6_5753
.LBB6_7897:                             ;   in Loop: Header=BB6_5548 Depth=3
	v_cmp_ne_u16_sdwa s23, v37, v2 src0_sel:BYTE_1 src1_sel:DWORD
	v_mov_b32_e32 v4, 0
	s_andn2_b32 s22, s22, exec_lo
	s_and_b32 s23, s23, exec_lo
	s_or_b32 s22, s22, s23
	s_or_b32 exec_lo, exec_lo, s16
	s_and_saveexec_b32 s16, s22
	s_cbranch_execnz .LBB6_5754
	s_branch .LBB6_5755
.LBB6_7898:                             ;   in Loop: Header=BB6_5548 Depth=3
	s_or_saveexec_b32 s16, s16
	v_mov_b32_e32 v4, 0x7f800001
	s_xor_b32 exec_lo, exec_lo, s16
	s_cbranch_execz .LBB6_5769
.LBB6_7899:                             ;   in Loop: Header=BB6_5548 Depth=3
	v_cmp_ne_u16_e32 vcc_lo, 0, v1
	v_mov_b32_e32 v4, 0
	s_andn2_b32 s22, s22, exec_lo
	s_and_b32 s23, vcc_lo, exec_lo
	s_or_b32 s22, s22, s23
	s_or_b32 exec_lo, exec_lo, s16
	s_and_saveexec_b32 s16, s22
	s_cbranch_execnz .LBB6_5770
	s_branch .LBB6_5771
.LBB6_7900:                             ;   in Loop: Header=BB6_5548 Depth=3
	s_or_saveexec_b32 s16, s16
	v_mov_b32_e32 v5, 0x7f800001
	s_xor_b32 exec_lo, exec_lo, s16
	s_cbranch_execz .LBB6_5775
.LBB6_7901:                             ;   in Loop: Header=BB6_5548 Depth=3
	v_cmp_ne_u16_e32 vcc_lo, 0, v28
	v_mov_b32_e32 v5, 0
	s_andn2_b32 s22, s22, exec_lo
	s_and_b32 s23, vcc_lo, exec_lo
	s_or_b32 s22, s22, s23
	s_or_b32 exec_lo, exec_lo, s16
	s_and_saveexec_b32 s16, s22
	s_cbranch_execnz .LBB6_5776
	s_branch .LBB6_5777
.LBB6_7902:                             ;   in Loop: Header=BB6_5548 Depth=3
	s_or_saveexec_b32 s16, s16
	v_mov_b32_e32 v4, 0x7f800001
	s_xor_b32 exec_lo, exec_lo, s16
	s_cbranch_execz .LBB6_5783
.LBB6_7903:                             ;   in Loop: Header=BB6_5548 Depth=3
	v_cmp_ne_u16_e32 vcc_lo, 0, v1
	v_mov_b32_e32 v4, 0
	s_andn2_b32 s22, s22, exec_lo
	s_and_b32 s23, vcc_lo, exec_lo
	s_or_b32 s22, s22, s23
	s_or_b32 exec_lo, exec_lo, s16
	s_and_saveexec_b32 s16, s22
	s_cbranch_execnz .LBB6_5784
	s_branch .LBB6_5785
.LBB6_7904:                             ;   in Loop: Header=BB6_5548 Depth=3
	s_or_saveexec_b32 s16, s16
	v_mov_b32_e32 v1, 0x7f800001
	s_xor_b32 exec_lo, exec_lo, s16
	s_cbranch_execz .LBB6_5789
.LBB6_7905:                             ;   in Loop: Header=BB6_5548 Depth=3
	v_cmp_ne_u16_e32 vcc_lo, 0, v5
	v_mov_b32_e32 v1, 0
	s_andn2_b32 s22, s22, exec_lo
	s_and_b32 s23, vcc_lo, exec_lo
	s_or_b32 s22, s22, s23
	s_or_b32 exec_lo, exec_lo, s16
	s_and_saveexec_b32 s16, s22
	s_cbranch_execnz .LBB6_5790
	s_branch .LBB6_5791
.LBB6_7906:                             ;   in Loop: Header=BB6_5548 Depth=3
	s_or_saveexec_b32 s16, s16
	v_mov_b32_e32 v1, 0x7f800001
	s_xor_b32 exec_lo, exec_lo, s16
	s_cbranch_execz .LBB6_5805
.LBB6_7907:                             ;   in Loop: Header=BB6_5548 Depth=3
	v_cmp_ne_u16_sdwa s23, v49, v2 src0_sel:BYTE_3 src1_sel:DWORD
	v_mov_b32_e32 v1, 0
	s_andn2_b32 s22, s22, exec_lo
	s_and_b32 s23, s23, exec_lo
	s_or_b32 s22, s22, s23
	s_or_b32 exec_lo, exec_lo, s16
	s_and_saveexec_b32 s16, s22
	s_cbranch_execnz .LBB6_5806
	s_branch .LBB6_5807
.LBB6_7908:                             ;   in Loop: Header=BB6_5548 Depth=3
	s_or_saveexec_b32 s16, s16
	v_mov_b32_e32 v4, 0x7f800001
	s_xor_b32 exec_lo, exec_lo, s16
	s_cbranch_execz .LBB6_5811
.LBB6_7909:                             ;   in Loop: Header=BB6_5548 Depth=3
	v_cmp_ne_u16_sdwa s23, v37, v2 src0_sel:BYTE_3 src1_sel:DWORD
	v_mov_b32_e32 v4, 0
	s_andn2_b32 s22, s22, exec_lo
	s_and_b32 s23, s23, exec_lo
	s_or_b32 s22, s22, s23
	s_or_b32 exec_lo, exec_lo, s16
	s_and_saveexec_b32 s16, s22
	s_cbranch_execnz .LBB6_5812
	s_branch .LBB6_5813
.LBB6_7910:                             ;   in Loop: Header=BB6_5548 Depth=3
	s_or_saveexec_b32 s16, s16
	v_mov_b32_e32 v1, 0x7f800001
	s_xor_b32 exec_lo, exec_lo, s16
	s_cbranch_execz .LBB6_5819
.LBB6_7911:                             ;   in Loop: Header=BB6_5548 Depth=3
	v_cmp_ne_u16_sdwa s23, v49, v2 src0_sel:BYTE_3 src1_sel:DWORD
	v_mov_b32_e32 v1, 0
	s_andn2_b32 s22, s22, exec_lo
	s_and_b32 s23, s23, exec_lo
	s_or_b32 s22, s22, s23
	s_or_b32 exec_lo, exec_lo, s16
	s_and_saveexec_b32 s16, s22
	s_cbranch_execnz .LBB6_5820
	s_branch .LBB6_5821
.LBB6_7912:                             ;   in Loop: Header=BB6_5548 Depth=3
	s_or_saveexec_b32 s16, s16
	v_mov_b32_e32 v4, 0x7f800001
	s_xor_b32 exec_lo, exec_lo, s16
	s_cbranch_execz .LBB6_5825
.LBB6_7913:                             ;   in Loop: Header=BB6_5548 Depth=3
	v_cmp_ne_u16_sdwa s23, v37, v2 src0_sel:BYTE_3 src1_sel:DWORD
	v_mov_b32_e32 v4, 0
	s_andn2_b32 s22, s22, exec_lo
	s_and_b32 s23, s23, exec_lo
	s_or_b32 s22, s22, s23
	s_or_b32 exec_lo, exec_lo, s16
	s_and_saveexec_b32 s16, s22
	s_cbranch_execnz .LBB6_5826
	s_branch .LBB6_5827
.LBB6_7914:                             ;   in Loop: Header=BB6_5548 Depth=3
	s_or_saveexec_b32 s16, s16
	v_mov_b32_e32 v1, 0x7f800001
	s_xor_b32 exec_lo, exec_lo, s16
	s_cbranch_execz .LBB6_5841
.LBB6_7915:                             ;   in Loop: Header=BB6_5548 Depth=3
	v_cmp_ne_u16_sdwa s23, v50, v2 src0_sel:BYTE_0 src1_sel:DWORD
	v_mov_b32_e32 v1, 0
	s_andn2_b32 s22, s22, exec_lo
	s_and_b32 s23, s23, exec_lo
	s_or_b32 s22, s22, s23
	s_or_b32 exec_lo, exec_lo, s16
	s_and_saveexec_b32 s16, s22
	s_cbranch_execnz .LBB6_5842
	s_branch .LBB6_5843
.LBB6_7916:                             ;   in Loop: Header=BB6_5548 Depth=3
	s_or_saveexec_b32 s16, s16
	v_mov_b32_e32 v4, 0x7f800001
	s_xor_b32 exec_lo, exec_lo, s16
	s_cbranch_execz .LBB6_5847
.LBB6_7917:                             ;   in Loop: Header=BB6_5548 Depth=3
	v_cmp_ne_u16_sdwa s23, v38, v2 src0_sel:BYTE_0 src1_sel:DWORD
	v_mov_b32_e32 v4, 0
	s_andn2_b32 s22, s22, exec_lo
	s_and_b32 s23, s23, exec_lo
	s_or_b32 s22, s22, s23
	s_or_b32 exec_lo, exec_lo, s16
	s_and_saveexec_b32 s16, s22
	s_cbranch_execnz .LBB6_5848
	s_branch .LBB6_5849
.LBB6_7918:                             ;   in Loop: Header=BB6_5548 Depth=3
	s_or_saveexec_b32 s16, s16
	v_mov_b32_e32 v1, 0x7f800001
	s_xor_b32 exec_lo, exec_lo, s16
	s_cbranch_execz .LBB6_5855
.LBB6_7919:                             ;   in Loop: Header=BB6_5548 Depth=3
	v_cmp_ne_u16_sdwa s23, v50, v2 src0_sel:BYTE_0 src1_sel:DWORD
	v_mov_b32_e32 v1, 0
	s_andn2_b32 s22, s22, exec_lo
	s_and_b32 s23, s23, exec_lo
	s_or_b32 s22, s22, s23
	s_or_b32 exec_lo, exec_lo, s16
	s_and_saveexec_b32 s16, s22
	s_cbranch_execnz .LBB6_5856
	s_branch .LBB6_5857
.LBB6_7920:                             ;   in Loop: Header=BB6_5548 Depth=3
	s_or_saveexec_b32 s16, s16
	v_mov_b32_e32 v4, 0x7f800001
	s_xor_b32 exec_lo, exec_lo, s16
	s_cbranch_execz .LBB6_5861
.LBB6_7921:                             ;   in Loop: Header=BB6_5548 Depth=3
	v_cmp_ne_u16_sdwa s23, v38, v2 src0_sel:BYTE_0 src1_sel:DWORD
	v_mov_b32_e32 v4, 0
	s_andn2_b32 s22, s22, exec_lo
	s_and_b32 s23, s23, exec_lo
	s_or_b32 s22, s22, s23
	s_or_b32 exec_lo, exec_lo, s16
	s_and_saveexec_b32 s16, s22
	s_cbranch_execnz .LBB6_5862
	s_branch .LBB6_5863
.LBB6_7922:                             ;   in Loop: Header=BB6_5548 Depth=3
	s_or_saveexec_b32 s16, s16
	v_mov_b32_e32 v1, 0x7f800001
	s_xor_b32 exec_lo, exec_lo, s16
	s_cbranch_execz .LBB6_5877
.LBB6_7923:                             ;   in Loop: Header=BB6_5548 Depth=3
	v_cmp_ne_u16_sdwa s23, v50, v2 src0_sel:BYTE_1 src1_sel:DWORD
	v_mov_b32_e32 v1, 0
	s_andn2_b32 s22, s22, exec_lo
	s_and_b32 s23, s23, exec_lo
	s_or_b32 s22, s22, s23
	s_or_b32 exec_lo, exec_lo, s16
	s_and_saveexec_b32 s16, s22
	s_cbranch_execnz .LBB6_5878
	s_branch .LBB6_5879
.LBB6_7924:                             ;   in Loop: Header=BB6_5548 Depth=3
	s_or_saveexec_b32 s16, s16
	v_mov_b32_e32 v4, 0x7f800001
	s_xor_b32 exec_lo, exec_lo, s16
	s_cbranch_execz .LBB6_5883
.LBB6_7925:                             ;   in Loop: Header=BB6_5548 Depth=3
	v_cmp_ne_u16_sdwa s23, v38, v2 src0_sel:BYTE_1 src1_sel:DWORD
	v_mov_b32_e32 v4, 0
	s_andn2_b32 s22, s22, exec_lo
	s_and_b32 s23, s23, exec_lo
	s_or_b32 s22, s22, s23
	s_or_b32 exec_lo, exec_lo, s16
	s_and_saveexec_b32 s16, s22
	s_cbranch_execnz .LBB6_5884
	s_branch .LBB6_5885
.LBB6_7926:                             ;   in Loop: Header=BB6_5548 Depth=3
	s_or_saveexec_b32 s16, s16
	v_mov_b32_e32 v1, 0x7f800001
	s_xor_b32 exec_lo, exec_lo, s16
	s_cbranch_execz .LBB6_5891
.LBB6_7927:                             ;   in Loop: Header=BB6_5548 Depth=3
	v_cmp_ne_u16_sdwa s23, v50, v2 src0_sel:BYTE_1 src1_sel:DWORD
	v_mov_b32_e32 v1, 0
	s_andn2_b32 s22, s22, exec_lo
	s_and_b32 s23, s23, exec_lo
	s_or_b32 s22, s22, s23
	s_or_b32 exec_lo, exec_lo, s16
	s_and_saveexec_b32 s16, s22
	s_cbranch_execnz .LBB6_5892
	s_branch .LBB6_5893
.LBB6_7928:                             ;   in Loop: Header=BB6_5548 Depth=3
	s_or_saveexec_b32 s16, s16
	v_mov_b32_e32 v4, 0x7f800001
	s_xor_b32 exec_lo, exec_lo, s16
	s_cbranch_execz .LBB6_5897
.LBB6_7929:                             ;   in Loop: Header=BB6_5548 Depth=3
	v_cmp_ne_u16_sdwa s23, v38, v2 src0_sel:BYTE_1 src1_sel:DWORD
	v_mov_b32_e32 v4, 0
	s_andn2_b32 s22, s22, exec_lo
	s_and_b32 s23, s23, exec_lo
	s_or_b32 s22, s22, s23
	s_or_b32 exec_lo, exec_lo, s16
	s_and_saveexec_b32 s16, s22
	s_cbranch_execnz .LBB6_5898
	s_branch .LBB6_5899
.LBB6_7930:                             ;   in Loop: Header=BB6_5548 Depth=3
	s_or_saveexec_b32 s16, s16
	v_mov_b32_e32 v4, 0x7f800001
	s_xor_b32 exec_lo, exec_lo, s16
	s_cbranch_execz .LBB6_5913
.LBB6_7931:                             ;   in Loop: Header=BB6_5548 Depth=3
	v_cmp_ne_u16_e32 vcc_lo, 0, v1
	v_mov_b32_e32 v4, 0
	s_andn2_b32 s22, s22, exec_lo
	s_and_b32 s23, vcc_lo, exec_lo
	s_or_b32 s22, s22, s23
	s_or_b32 exec_lo, exec_lo, s16
	s_and_saveexec_b32 s16, s22
	s_cbranch_execnz .LBB6_5914
	s_branch .LBB6_5915
.LBB6_7932:                             ;   in Loop: Header=BB6_5548 Depth=3
	s_or_saveexec_b32 s16, s16
	v_mov_b32_e32 v5, 0x7f800001
	s_xor_b32 exec_lo, exec_lo, s16
	s_cbranch_execz .LBB6_5919
.LBB6_7933:                             ;   in Loop: Header=BB6_5548 Depth=3
	v_cmp_ne_u16_e32 vcc_lo, 0, v28
	v_mov_b32_e32 v5, 0
	s_andn2_b32 s22, s22, exec_lo
	s_and_b32 s23, vcc_lo, exec_lo
	s_or_b32 s22, s22, s23
	s_or_b32 exec_lo, exec_lo, s16
	s_and_saveexec_b32 s16, s22
	s_cbranch_execnz .LBB6_5920
	s_branch .LBB6_5921
.LBB6_7934:                             ;   in Loop: Header=BB6_5548 Depth=3
	s_or_saveexec_b32 s16, s16
	v_mov_b32_e32 v4, 0x7f800001
	s_xor_b32 exec_lo, exec_lo, s16
	s_cbranch_execz .LBB6_5927
.LBB6_7935:                             ;   in Loop: Header=BB6_5548 Depth=3
	v_cmp_ne_u16_e32 vcc_lo, 0, v1
	v_mov_b32_e32 v4, 0
	s_andn2_b32 s22, s22, exec_lo
	s_and_b32 s23, vcc_lo, exec_lo
	s_or_b32 s22, s22, s23
	s_or_b32 exec_lo, exec_lo, s16
	s_and_saveexec_b32 s16, s22
	s_cbranch_execnz .LBB6_5928
	s_branch .LBB6_5929
.LBB6_7936:                             ;   in Loop: Header=BB6_5548 Depth=3
	s_or_saveexec_b32 s16, s16
	v_mov_b32_e32 v1, 0x7f800001
	s_xor_b32 exec_lo, exec_lo, s16
	s_cbranch_execz .LBB6_5933
.LBB6_7937:                             ;   in Loop: Header=BB6_5548 Depth=3
	v_cmp_ne_u16_e32 vcc_lo, 0, v5
	v_mov_b32_e32 v1, 0
	s_andn2_b32 s22, s22, exec_lo
	s_and_b32 s23, vcc_lo, exec_lo
	s_or_b32 s22, s22, s23
	s_or_b32 exec_lo, exec_lo, s16
	s_and_saveexec_b32 s16, s22
	s_cbranch_execnz .LBB6_5934
	s_branch .LBB6_5935
.LBB6_7938:                             ;   in Loop: Header=BB6_5548 Depth=3
	s_or_saveexec_b32 s16, s16
	v_mov_b32_e32 v1, 0x7f800001
	s_xor_b32 exec_lo, exec_lo, s16
	s_cbranch_execz .LBB6_5949
.LBB6_7939:                             ;   in Loop: Header=BB6_5548 Depth=3
	v_cmp_ne_u16_sdwa s23, v50, v2 src0_sel:BYTE_3 src1_sel:DWORD
	v_mov_b32_e32 v1, 0
	s_andn2_b32 s22, s22, exec_lo
	s_and_b32 s23, s23, exec_lo
	s_or_b32 s22, s22, s23
	s_or_b32 exec_lo, exec_lo, s16
	s_and_saveexec_b32 s16, s22
	s_cbranch_execnz .LBB6_5950
	s_branch .LBB6_5951
.LBB6_7940:                             ;   in Loop: Header=BB6_5548 Depth=3
	s_or_saveexec_b32 s16, s16
	v_mov_b32_e32 v4, 0x7f800001
	s_xor_b32 exec_lo, exec_lo, s16
	s_cbranch_execz .LBB6_5955
.LBB6_7941:                             ;   in Loop: Header=BB6_5548 Depth=3
	v_cmp_ne_u16_sdwa s23, v38, v2 src0_sel:BYTE_3 src1_sel:DWORD
	v_mov_b32_e32 v4, 0
	s_andn2_b32 s22, s22, exec_lo
	s_and_b32 s23, s23, exec_lo
	s_or_b32 s22, s22, s23
	s_or_b32 exec_lo, exec_lo, s16
	s_and_saveexec_b32 s16, s22
	s_cbranch_execnz .LBB6_5956
	s_branch .LBB6_5957
.LBB6_7942:                             ;   in Loop: Header=BB6_5548 Depth=3
	s_or_saveexec_b32 s16, s16
	v_mov_b32_e32 v1, 0x7f800001
	s_xor_b32 exec_lo, exec_lo, s16
	s_cbranch_execz .LBB6_5963
.LBB6_7943:                             ;   in Loop: Header=BB6_5548 Depth=3
	v_cmp_ne_u16_sdwa s23, v50, v2 src0_sel:BYTE_3 src1_sel:DWORD
	v_mov_b32_e32 v1, 0
	s_andn2_b32 s22, s22, exec_lo
	s_and_b32 s23, s23, exec_lo
	s_or_b32 s22, s22, s23
	s_or_b32 exec_lo, exec_lo, s16
	s_and_saveexec_b32 s16, s22
	s_cbranch_execnz .LBB6_5964
	s_branch .LBB6_5965
.LBB6_7944:                             ;   in Loop: Header=BB6_5548 Depth=3
	s_or_saveexec_b32 s16, s16
	v_mov_b32_e32 v4, 0x7f800001
	s_xor_b32 exec_lo, exec_lo, s16
	s_cbranch_execz .LBB6_5969
.LBB6_7945:                             ;   in Loop: Header=BB6_5548 Depth=3
	v_cmp_ne_u16_sdwa s23, v38, v2 src0_sel:BYTE_3 src1_sel:DWORD
	v_mov_b32_e32 v4, 0
	s_andn2_b32 s22, s22, exec_lo
	s_and_b32 s23, s23, exec_lo
	s_or_b32 s22, s22, s23
	s_or_b32 exec_lo, exec_lo, s16
	s_and_saveexec_b32 s16, s22
	s_cbranch_execnz .LBB6_5970
	s_branch .LBB6_5971
.LBB6_7946:                             ;   in Loop: Header=BB6_5548 Depth=3
	s_or_saveexec_b32 s16, s16
	v_mov_b32_e32 v1, 0x7f800001
	s_xor_b32 exec_lo, exec_lo, s16
	s_cbranch_execz .LBB6_5985
.LBB6_7947:                             ;   in Loop: Header=BB6_5548 Depth=3
	v_cmp_ne_u16_sdwa s23, v51, v2 src0_sel:BYTE_0 src1_sel:DWORD
	v_mov_b32_e32 v1, 0
	s_andn2_b32 s22, s22, exec_lo
	s_and_b32 s23, s23, exec_lo
	s_or_b32 s22, s22, s23
	s_or_b32 exec_lo, exec_lo, s16
	s_and_saveexec_b32 s16, s22
	s_cbranch_execnz .LBB6_5986
	s_branch .LBB6_5987
.LBB6_7948:                             ;   in Loop: Header=BB6_5548 Depth=3
	s_or_saveexec_b32 s16, s16
	v_mov_b32_e32 v4, 0x7f800001
	s_xor_b32 exec_lo, exec_lo, s16
	s_cbranch_execz .LBB6_5991
.LBB6_7949:                             ;   in Loop: Header=BB6_5548 Depth=3
	v_cmp_ne_u16_sdwa s23, v39, v2 src0_sel:BYTE_0 src1_sel:DWORD
	v_mov_b32_e32 v4, 0
	s_andn2_b32 s22, s22, exec_lo
	s_and_b32 s23, s23, exec_lo
	s_or_b32 s22, s22, s23
	s_or_b32 exec_lo, exec_lo, s16
	s_and_saveexec_b32 s16, s22
	s_cbranch_execnz .LBB6_5992
	s_branch .LBB6_5993
.LBB6_7950:                             ;   in Loop: Header=BB6_5548 Depth=3
	s_or_saveexec_b32 s16, s16
	v_mov_b32_e32 v1, 0x7f800001
	s_xor_b32 exec_lo, exec_lo, s16
	s_cbranch_execz .LBB6_5999
.LBB6_7951:                             ;   in Loop: Header=BB6_5548 Depth=3
	v_cmp_ne_u16_sdwa s23, v51, v2 src0_sel:BYTE_0 src1_sel:DWORD
	v_mov_b32_e32 v1, 0
	s_andn2_b32 s22, s22, exec_lo
	s_and_b32 s23, s23, exec_lo
	s_or_b32 s22, s22, s23
	s_or_b32 exec_lo, exec_lo, s16
	s_and_saveexec_b32 s16, s22
	s_cbranch_execnz .LBB6_6000
	s_branch .LBB6_6001
.LBB6_7952:                             ;   in Loop: Header=BB6_5548 Depth=3
	s_or_saveexec_b32 s16, s16
	v_mov_b32_e32 v4, 0x7f800001
	s_xor_b32 exec_lo, exec_lo, s16
	s_cbranch_execz .LBB6_6005
.LBB6_7953:                             ;   in Loop: Header=BB6_5548 Depth=3
	v_cmp_ne_u16_sdwa s23, v39, v2 src0_sel:BYTE_0 src1_sel:DWORD
	v_mov_b32_e32 v4, 0
	s_andn2_b32 s22, s22, exec_lo
	s_and_b32 s23, s23, exec_lo
	s_or_b32 s22, s22, s23
	s_or_b32 exec_lo, exec_lo, s16
	s_and_saveexec_b32 s16, s22
	s_cbranch_execnz .LBB6_6006
	s_branch .LBB6_6007
.LBB6_7954:                             ;   in Loop: Header=BB6_5548 Depth=3
	s_or_saveexec_b32 s16, s16
	v_mov_b32_e32 v1, 0x7f800001
	s_xor_b32 exec_lo, exec_lo, s16
	s_cbranch_execz .LBB6_6021
.LBB6_7955:                             ;   in Loop: Header=BB6_5548 Depth=3
	v_cmp_ne_u16_sdwa s23, v51, v2 src0_sel:BYTE_1 src1_sel:DWORD
	v_mov_b32_e32 v1, 0
	s_andn2_b32 s22, s22, exec_lo
	s_and_b32 s23, s23, exec_lo
	s_or_b32 s22, s22, s23
	s_or_b32 exec_lo, exec_lo, s16
	s_and_saveexec_b32 s16, s22
	s_cbranch_execnz .LBB6_6022
	s_branch .LBB6_6023
.LBB6_7956:                             ;   in Loop: Header=BB6_5548 Depth=3
	s_or_saveexec_b32 s16, s16
	v_mov_b32_e32 v4, 0x7f800001
	s_xor_b32 exec_lo, exec_lo, s16
	s_cbranch_execz .LBB6_6027
.LBB6_7957:                             ;   in Loop: Header=BB6_5548 Depth=3
	v_cmp_ne_u16_sdwa s23, v39, v2 src0_sel:BYTE_1 src1_sel:DWORD
	v_mov_b32_e32 v4, 0
	s_andn2_b32 s22, s22, exec_lo
	s_and_b32 s23, s23, exec_lo
	s_or_b32 s22, s22, s23
	s_or_b32 exec_lo, exec_lo, s16
	s_and_saveexec_b32 s16, s22
	s_cbranch_execnz .LBB6_6028
	s_branch .LBB6_6029
.LBB6_7958:                             ;   in Loop: Header=BB6_5548 Depth=3
	s_or_saveexec_b32 s16, s16
	v_mov_b32_e32 v1, 0x7f800001
	s_xor_b32 exec_lo, exec_lo, s16
	s_cbranch_execz .LBB6_6035
.LBB6_7959:                             ;   in Loop: Header=BB6_5548 Depth=3
	v_cmp_ne_u16_sdwa s23, v51, v2 src0_sel:BYTE_1 src1_sel:DWORD
	v_mov_b32_e32 v1, 0
	s_andn2_b32 s22, s22, exec_lo
	s_and_b32 s23, s23, exec_lo
	s_or_b32 s22, s22, s23
	s_or_b32 exec_lo, exec_lo, s16
	s_and_saveexec_b32 s16, s22
	s_cbranch_execnz .LBB6_6036
	s_branch .LBB6_6037
.LBB6_7960:                             ;   in Loop: Header=BB6_5548 Depth=3
	s_or_saveexec_b32 s16, s16
	v_mov_b32_e32 v4, 0x7f800001
	s_xor_b32 exec_lo, exec_lo, s16
	s_cbranch_execz .LBB6_6041
.LBB6_7961:                             ;   in Loop: Header=BB6_5548 Depth=3
	v_cmp_ne_u16_sdwa s23, v39, v2 src0_sel:BYTE_1 src1_sel:DWORD
	v_mov_b32_e32 v4, 0
	s_andn2_b32 s22, s22, exec_lo
	s_and_b32 s23, s23, exec_lo
	s_or_b32 s22, s22, s23
	s_or_b32 exec_lo, exec_lo, s16
	s_and_saveexec_b32 s16, s22
	s_cbranch_execnz .LBB6_6042
	s_branch .LBB6_6043
.LBB6_7962:                             ;   in Loop: Header=BB6_5548 Depth=3
	s_or_saveexec_b32 s16, s16
	v_mov_b32_e32 v4, 0x7f800001
	s_xor_b32 exec_lo, exec_lo, s16
	s_cbranch_execz .LBB6_6057
.LBB6_7963:                             ;   in Loop: Header=BB6_5548 Depth=3
	v_cmp_ne_u16_e32 vcc_lo, 0, v1
	v_mov_b32_e32 v4, 0
	s_andn2_b32 s22, s22, exec_lo
	s_and_b32 s23, vcc_lo, exec_lo
	s_or_b32 s22, s22, s23
	s_or_b32 exec_lo, exec_lo, s16
	s_and_saveexec_b32 s16, s22
	s_cbranch_execnz .LBB6_6058
	s_branch .LBB6_6059
.LBB6_7964:                             ;   in Loop: Header=BB6_5548 Depth=3
	s_or_saveexec_b32 s16, s16
	v_mov_b32_e32 v5, 0x7f800001
	s_xor_b32 exec_lo, exec_lo, s16
	s_cbranch_execz .LBB6_6063
.LBB6_7965:                             ;   in Loop: Header=BB6_5548 Depth=3
	v_cmp_ne_u16_e32 vcc_lo, 0, v28
	v_mov_b32_e32 v5, 0
	s_andn2_b32 s22, s22, exec_lo
	s_and_b32 s23, vcc_lo, exec_lo
	s_or_b32 s22, s22, s23
	s_or_b32 exec_lo, exec_lo, s16
	s_and_saveexec_b32 s16, s22
	s_cbranch_execnz .LBB6_6064
	s_branch .LBB6_6065
.LBB6_7966:                             ;   in Loop: Header=BB6_5548 Depth=3
	s_or_saveexec_b32 s16, s16
	v_mov_b32_e32 v4, 0x7f800001
	s_xor_b32 exec_lo, exec_lo, s16
	s_cbranch_execz .LBB6_6071
.LBB6_7967:                             ;   in Loop: Header=BB6_5548 Depth=3
	v_cmp_ne_u16_e32 vcc_lo, 0, v1
	v_mov_b32_e32 v4, 0
	s_andn2_b32 s22, s22, exec_lo
	s_and_b32 s23, vcc_lo, exec_lo
	s_or_b32 s22, s22, s23
	s_or_b32 exec_lo, exec_lo, s16
	s_and_saveexec_b32 s16, s22
	s_cbranch_execnz .LBB6_6072
	s_branch .LBB6_6073
.LBB6_7968:                             ;   in Loop: Header=BB6_5548 Depth=3
	s_or_saveexec_b32 s16, s16
	v_mov_b32_e32 v1, 0x7f800001
	s_xor_b32 exec_lo, exec_lo, s16
	s_cbranch_execz .LBB6_6077
.LBB6_7969:                             ;   in Loop: Header=BB6_5548 Depth=3
	v_cmp_ne_u16_e32 vcc_lo, 0, v5
	v_mov_b32_e32 v1, 0
	s_andn2_b32 s22, s22, exec_lo
	s_and_b32 s23, vcc_lo, exec_lo
	s_or_b32 s22, s22, s23
	s_or_b32 exec_lo, exec_lo, s16
	s_and_saveexec_b32 s16, s22
	s_cbranch_execnz .LBB6_6078
	s_branch .LBB6_6079
.LBB6_7970:                             ;   in Loop: Header=BB6_5548 Depth=3
	s_or_saveexec_b32 s16, s16
	v_mov_b32_e32 v1, 0x7f800001
	s_xor_b32 exec_lo, exec_lo, s16
	s_cbranch_execz .LBB6_6093
.LBB6_7971:                             ;   in Loop: Header=BB6_5548 Depth=3
	v_cmp_ne_u16_sdwa s23, v51, v2 src0_sel:BYTE_3 src1_sel:DWORD
	v_mov_b32_e32 v1, 0
	s_andn2_b32 s22, s22, exec_lo
	s_and_b32 s23, s23, exec_lo
	s_or_b32 s22, s22, s23
	s_or_b32 exec_lo, exec_lo, s16
	s_and_saveexec_b32 s16, s22
	s_cbranch_execnz .LBB6_6094
	s_branch .LBB6_6095
.LBB6_7972:                             ;   in Loop: Header=BB6_5548 Depth=3
	s_or_saveexec_b32 s16, s16
	v_mov_b32_e32 v4, 0x7f800001
	s_xor_b32 exec_lo, exec_lo, s16
	s_cbranch_execz .LBB6_6099
.LBB6_7973:                             ;   in Loop: Header=BB6_5548 Depth=3
	v_cmp_ne_u16_sdwa s23, v39, v2 src0_sel:BYTE_3 src1_sel:DWORD
	v_mov_b32_e32 v4, 0
	s_andn2_b32 s22, s22, exec_lo
	s_and_b32 s23, s23, exec_lo
	s_or_b32 s22, s22, s23
	s_or_b32 exec_lo, exec_lo, s16
	s_and_saveexec_b32 s16, s22
	s_cbranch_execnz .LBB6_6100
	s_branch .LBB6_6101
.LBB6_7974:                             ;   in Loop: Header=BB6_5548 Depth=3
	s_or_saveexec_b32 s16, s16
	v_mov_b32_e32 v1, 0x7f800001
	s_xor_b32 exec_lo, exec_lo, s16
	s_cbranch_execz .LBB6_6107
.LBB6_7975:                             ;   in Loop: Header=BB6_5548 Depth=3
	v_cmp_ne_u16_sdwa s23, v51, v2 src0_sel:BYTE_3 src1_sel:DWORD
	v_mov_b32_e32 v1, 0
	s_andn2_b32 s22, s22, exec_lo
	s_and_b32 s23, s23, exec_lo
	s_or_b32 s22, s22, s23
	s_or_b32 exec_lo, exec_lo, s16
	s_and_saveexec_b32 s16, s22
	s_cbranch_execnz .LBB6_6108
	s_branch .LBB6_6109
.LBB6_7976:                             ;   in Loop: Header=BB6_5548 Depth=3
	s_or_saveexec_b32 s16, s16
	v_mov_b32_e32 v4, 0x7f800001
	s_xor_b32 exec_lo, exec_lo, s16
	s_cbranch_execz .LBB6_6113
.LBB6_7977:                             ;   in Loop: Header=BB6_5548 Depth=3
	v_cmp_ne_u16_sdwa s23, v39, v2 src0_sel:BYTE_3 src1_sel:DWORD
	v_mov_b32_e32 v4, 0
	s_andn2_b32 s22, s22, exec_lo
	s_and_b32 s23, s23, exec_lo
	s_or_b32 s22, s22, s23
	s_or_b32 exec_lo, exec_lo, s16
	s_and_saveexec_b32 s16, s22
	s_cbranch_execnz .LBB6_6114
	s_branch .LBB6_6115
.LBB6_7978:                             ;   in Loop: Header=BB6_5548 Depth=3
	s_or_saveexec_b32 s16, s16
	v_mov_b32_e32 v1, 0x7f800001
	s_xor_b32 exec_lo, exec_lo, s16
	s_cbranch_execz .LBB6_6129
.LBB6_7979:                             ;   in Loop: Header=BB6_5548 Depth=3
	v_cmp_ne_u16_sdwa s23, v32, v2 src0_sel:BYTE_0 src1_sel:DWORD
	v_mov_b32_e32 v1, 0
	s_andn2_b32 s22, s22, exec_lo
	s_and_b32 s23, s23, exec_lo
	s_or_b32 s22, s22, s23
	s_or_b32 exec_lo, exec_lo, s16
	s_and_saveexec_b32 s16, s22
	s_cbranch_execnz .LBB6_6130
	s_branch .LBB6_6131
.LBB6_7980:                             ;   in Loop: Header=BB6_5548 Depth=3
	s_or_saveexec_b32 s16, s16
	v_mov_b32_e32 v4, 0x7f800001
	s_xor_b32 exec_lo, exec_lo, s16
	s_cbranch_execz .LBB6_6135
.LBB6_7981:                             ;   in Loop: Header=BB6_5548 Depth=3
	v_cmp_ne_u16_sdwa s23, v24, v2 src0_sel:BYTE_0 src1_sel:DWORD
	v_mov_b32_e32 v4, 0
	s_andn2_b32 s22, s22, exec_lo
	s_and_b32 s23, s23, exec_lo
	s_or_b32 s22, s22, s23
	s_or_b32 exec_lo, exec_lo, s16
	s_and_saveexec_b32 s16, s22
	s_cbranch_execnz .LBB6_6136
	s_branch .LBB6_6137
.LBB6_7982:                             ;   in Loop: Header=BB6_5548 Depth=3
	s_or_saveexec_b32 s16, s16
	v_mov_b32_e32 v1, 0x7f800001
	s_xor_b32 exec_lo, exec_lo, s16
	s_cbranch_execz .LBB6_6143
.LBB6_7983:                             ;   in Loop: Header=BB6_5548 Depth=3
	v_cmp_ne_u16_sdwa s23, v32, v2 src0_sel:BYTE_0 src1_sel:DWORD
	v_mov_b32_e32 v1, 0
	s_andn2_b32 s22, s22, exec_lo
	s_and_b32 s23, s23, exec_lo
	s_or_b32 s22, s22, s23
	s_or_b32 exec_lo, exec_lo, s16
	s_and_saveexec_b32 s16, s22
	s_cbranch_execnz .LBB6_6144
	s_branch .LBB6_6145
.LBB6_7984:                             ;   in Loop: Header=BB6_5548 Depth=3
	s_or_saveexec_b32 s16, s16
	v_mov_b32_e32 v4, 0x7f800001
	s_xor_b32 exec_lo, exec_lo, s16
	s_cbranch_execz .LBB6_6149
.LBB6_7985:                             ;   in Loop: Header=BB6_5548 Depth=3
	v_cmp_ne_u16_sdwa s23, v24, v2 src0_sel:BYTE_0 src1_sel:DWORD
	v_mov_b32_e32 v4, 0
	s_andn2_b32 s22, s22, exec_lo
	s_and_b32 s23, s23, exec_lo
	s_or_b32 s22, s22, s23
	s_or_b32 exec_lo, exec_lo, s16
	s_and_saveexec_b32 s16, s22
	s_cbranch_execnz .LBB6_6150
	s_branch .LBB6_6151
.LBB6_7986:                             ;   in Loop: Header=BB6_5548 Depth=3
	s_or_saveexec_b32 s22, s22
	v_mov_b32_e32 v1, 0x7f800001
	s_xor_b32 exec_lo, exec_lo, s22
	s_cbranch_execz .LBB6_6165
.LBB6_7987:                             ;   in Loop: Header=BB6_5548 Depth=3
	v_cmp_ne_u16_sdwa s23, v32, v2 src0_sel:BYTE_1 src1_sel:DWORD
	v_mov_b32_e32 v1, 0
	s_andn2_b32 s16, s16, exec_lo
	s_and_b32 s23, s23, exec_lo
	s_or_b32 s16, s16, s23
	s_or_b32 exec_lo, exec_lo, s22
	s_and_saveexec_b32 s22, s16
	s_cbranch_execnz .LBB6_6166
	s_branch .LBB6_6167
.LBB6_7988:                             ;   in Loop: Header=BB6_5548 Depth=3
	s_or_saveexec_b32 s22, s22
	v_mov_b32_e32 v4, 0x7f800001
	s_xor_b32 exec_lo, exec_lo, s22
	s_cbranch_execz .LBB6_6171
.LBB6_7989:                             ;   in Loop: Header=BB6_5548 Depth=3
	v_cmp_ne_u16_sdwa s23, v24, v2 src0_sel:BYTE_1 src1_sel:DWORD
	v_mov_b32_e32 v4, 0
	s_andn2_b32 s16, s16, exec_lo
	s_and_b32 s23, s23, exec_lo
	s_or_b32 s16, s16, s23
	s_or_b32 exec_lo, exec_lo, s22
	s_and_saveexec_b32 s22, s16
	s_cbranch_execnz .LBB6_6172
	s_branch .LBB6_6173
.LBB6_7990:                             ;   in Loop: Header=BB6_5548 Depth=3
	s_or_saveexec_b32 s22, s22
	v_mov_b32_e32 v1, 0x7f800001
	s_xor_b32 exec_lo, exec_lo, s22
	s_cbranch_execz .LBB6_6179
.LBB6_7991:                             ;   in Loop: Header=BB6_5548 Depth=3
	v_cmp_ne_u16_sdwa s23, v32, v2 src0_sel:BYTE_1 src1_sel:DWORD
	v_mov_b32_e32 v1, 0
	s_andn2_b32 s16, s16, exec_lo
	s_and_b32 s23, s23, exec_lo
	s_or_b32 s16, s16, s23
	s_or_b32 exec_lo, exec_lo, s22
	s_and_saveexec_b32 s22, s16
	s_cbranch_execnz .LBB6_6180
	s_branch .LBB6_6181
.LBB6_7992:                             ;   in Loop: Header=BB6_5548 Depth=3
	s_or_saveexec_b32 s22, s22
	v_mov_b32_e32 v4, 0x7f800001
	s_xor_b32 exec_lo, exec_lo, s22
	s_cbranch_execz .LBB6_6185
.LBB6_7993:                             ;   in Loop: Header=BB6_5548 Depth=3
	v_cmp_ne_u16_sdwa s23, v24, v2 src0_sel:BYTE_1 src1_sel:DWORD
	v_mov_b32_e32 v4, 0
	s_andn2_b32 s16, s16, exec_lo
	s_and_b32 s23, s23, exec_lo
	s_or_b32 s16, s16, s23
	s_or_b32 exec_lo, exec_lo, s22
	s_and_saveexec_b32 s22, s16
	s_cbranch_execnz .LBB6_6186
	s_branch .LBB6_6187
.LBB6_7994:                             ;   in Loop: Header=BB6_5548 Depth=3
	s_or_saveexec_b32 s16, s16
	v_mov_b32_e32 v4, 0x7f800001
	s_xor_b32 exec_lo, exec_lo, s16
	s_cbranch_execz .LBB6_6201
.LBB6_7995:                             ;   in Loop: Header=BB6_5548 Depth=3
	v_cmp_ne_u16_e32 vcc_lo, 0, v1
	v_mov_b32_e32 v4, 0
	s_andn2_b32 s22, s22, exec_lo
	s_and_b32 s23, vcc_lo, exec_lo
	s_or_b32 s22, s22, s23
	s_or_b32 exec_lo, exec_lo, s16
	s_and_saveexec_b32 s16, s22
	s_cbranch_execnz .LBB6_6202
	s_branch .LBB6_6203
.LBB6_7996:                             ;   in Loop: Header=BB6_5548 Depth=3
	s_or_saveexec_b32 s16, s16
	v_mov_b32_e32 v5, 0x7f800001
	s_xor_b32 exec_lo, exec_lo, s16
	s_cbranch_execz .LBB6_6207
.LBB6_7997:                             ;   in Loop: Header=BB6_5548 Depth=3
	v_cmp_ne_u16_e32 vcc_lo, 0, v28
	v_mov_b32_e32 v5, 0
	s_andn2_b32 s22, s22, exec_lo
	s_and_b32 s23, vcc_lo, exec_lo
	s_or_b32 s22, s22, s23
	s_or_b32 exec_lo, exec_lo, s16
	s_and_saveexec_b32 s16, s22
	s_cbranch_execnz .LBB6_6208
	s_branch .LBB6_6209
.LBB6_7998:                             ;   in Loop: Header=BB6_5548 Depth=3
	s_or_saveexec_b32 s16, s16
	v_mov_b32_e32 v4, 0x7f800001
	s_xor_b32 exec_lo, exec_lo, s16
	s_cbranch_execz .LBB6_6215
.LBB6_7999:                             ;   in Loop: Header=BB6_5548 Depth=3
	v_cmp_ne_u16_e32 vcc_lo, 0, v1
	v_mov_b32_e32 v4, 0
	s_andn2_b32 s22, s22, exec_lo
	s_and_b32 s23, vcc_lo, exec_lo
	s_or_b32 s22, s22, s23
	s_or_b32 exec_lo, exec_lo, s16
	s_and_saveexec_b32 s16, s22
	s_cbranch_execnz .LBB6_6216
	s_branch .LBB6_6217
.LBB6_8000:                             ;   in Loop: Header=BB6_5548 Depth=3
	s_or_saveexec_b32 s16, s16
	v_mov_b32_e32 v1, 0x7f800001
	s_xor_b32 exec_lo, exec_lo, s16
	s_cbranch_execz .LBB6_6221
.LBB6_8001:                             ;   in Loop: Header=BB6_5548 Depth=3
	v_cmp_ne_u16_e32 vcc_lo, 0, v5
	v_mov_b32_e32 v1, 0
	s_andn2_b32 s22, s22, exec_lo
	s_and_b32 s23, vcc_lo, exec_lo
	s_or_b32 s22, s22, s23
	s_or_b32 exec_lo, exec_lo, s16
	s_and_saveexec_b32 s16, s22
	s_cbranch_execnz .LBB6_6222
	s_branch .LBB6_6223
.LBB6_8002:                             ;   in Loop: Header=BB6_5548 Depth=3
	s_or_saveexec_b32 s22, s22
	v_mov_b32_e32 v1, 0x7f800001
	s_xor_b32 exec_lo, exec_lo, s22
	s_cbranch_execz .LBB6_6237
.LBB6_8003:                             ;   in Loop: Header=BB6_5548 Depth=3
	v_cmp_ne_u16_sdwa s23, v32, v2 src0_sel:BYTE_3 src1_sel:DWORD
	v_mov_b32_e32 v1, 0
	s_andn2_b32 s16, s16, exec_lo
	s_and_b32 s23, s23, exec_lo
	s_or_b32 s16, s16, s23
	s_or_b32 exec_lo, exec_lo, s22
	s_and_saveexec_b32 s22, s16
	s_cbranch_execnz .LBB6_6238
	s_branch .LBB6_6239
.LBB6_8004:                             ;   in Loop: Header=BB6_5548 Depth=3
	s_or_saveexec_b32 s22, s22
	v_mov_b32_e32 v4, 0x7f800001
	s_xor_b32 exec_lo, exec_lo, s22
	s_cbranch_execz .LBB6_6243
.LBB6_8005:                             ;   in Loop: Header=BB6_5548 Depth=3
	v_cmp_ne_u16_sdwa s23, v24, v2 src0_sel:BYTE_3 src1_sel:DWORD
	v_mov_b32_e32 v4, 0
	s_andn2_b32 s16, s16, exec_lo
	s_and_b32 s23, s23, exec_lo
	s_or_b32 s16, s16, s23
	s_or_b32 exec_lo, exec_lo, s22
	s_and_saveexec_b32 s22, s16
	s_cbranch_execnz .LBB6_6244
	s_branch .LBB6_6245
.LBB6_8006:                             ;   in Loop: Header=BB6_5548 Depth=3
	s_or_saveexec_b32 s22, s22
	v_mov_b32_e32 v1, 0x7f800001
	s_xor_b32 exec_lo, exec_lo, s22
	s_cbranch_execz .LBB6_6251
.LBB6_8007:                             ;   in Loop: Header=BB6_5548 Depth=3
	v_cmp_ne_u16_sdwa s23, v32, v2 src0_sel:BYTE_3 src1_sel:DWORD
	v_mov_b32_e32 v1, 0
	s_andn2_b32 s16, s16, exec_lo
	s_and_b32 s23, s23, exec_lo
	s_or_b32 s16, s16, s23
	s_or_b32 exec_lo, exec_lo, s22
	s_and_saveexec_b32 s22, s16
	s_cbranch_execnz .LBB6_6252
	s_branch .LBB6_6253
.LBB6_8008:                             ;   in Loop: Header=BB6_5548 Depth=3
	s_or_saveexec_b32 s22, s22
	v_mov_b32_e32 v4, 0x7f800001
	s_xor_b32 exec_lo, exec_lo, s22
	s_cbranch_execz .LBB6_6257
.LBB6_8009:                             ;   in Loop: Header=BB6_5548 Depth=3
	v_cmp_ne_u16_sdwa s23, v24, v2 src0_sel:BYTE_3 src1_sel:DWORD
	v_mov_b32_e32 v4, 0
	s_andn2_b32 s16, s16, exec_lo
	s_and_b32 s23, s23, exec_lo
	s_or_b32 s16, s16, s23
	s_or_b32 exec_lo, exec_lo, s22
	s_and_saveexec_b32 s22, s16
	s_cbranch_execnz .LBB6_6258
	s_branch .LBB6_6259
.LBB6_8010:                             ;   in Loop: Header=BB6_5548 Depth=3
	s_or_saveexec_b32 s16, s16
	v_mov_b32_e32 v1, 0x7f800001
	s_xor_b32 exec_lo, exec_lo, s16
	s_cbranch_execz .LBB6_6273
.LBB6_8011:                             ;   in Loop: Header=BB6_5548 Depth=3
	v_cmp_ne_u16_sdwa s23, v33, v2 src0_sel:BYTE_0 src1_sel:DWORD
	v_mov_b32_e32 v1, 0
	s_andn2_b32 s22, s22, exec_lo
	s_and_b32 s23, s23, exec_lo
	s_or_b32 s22, s22, s23
	s_or_b32 exec_lo, exec_lo, s16
	s_and_saveexec_b32 s16, s22
	s_cbranch_execnz .LBB6_6274
	s_branch .LBB6_6275
.LBB6_8012:                             ;   in Loop: Header=BB6_5548 Depth=3
	s_or_saveexec_b32 s16, s16
	v_mov_b32_e32 v4, 0x7f800001
	s_xor_b32 exec_lo, exec_lo, s16
	s_cbranch_execz .LBB6_6279
.LBB6_8013:                             ;   in Loop: Header=BB6_5548 Depth=3
	v_cmp_ne_u16_sdwa s23, v25, v2 src0_sel:BYTE_0 src1_sel:DWORD
	v_mov_b32_e32 v4, 0
	s_andn2_b32 s22, s22, exec_lo
	s_and_b32 s23, s23, exec_lo
	s_or_b32 s22, s22, s23
	s_or_b32 exec_lo, exec_lo, s16
	s_and_saveexec_b32 s16, s22
	s_cbranch_execnz .LBB6_6280
	s_branch .LBB6_6281
.LBB6_8014:                             ;   in Loop: Header=BB6_5548 Depth=3
	s_or_saveexec_b32 s16, s16
	v_mov_b32_e32 v1, 0x7f800001
	s_xor_b32 exec_lo, exec_lo, s16
	s_cbranch_execz .LBB6_6287
.LBB6_8015:                             ;   in Loop: Header=BB6_5548 Depth=3
	v_cmp_ne_u16_sdwa s23, v33, v2 src0_sel:BYTE_0 src1_sel:DWORD
	v_mov_b32_e32 v1, 0
	s_andn2_b32 s22, s22, exec_lo
	s_and_b32 s23, s23, exec_lo
	s_or_b32 s22, s22, s23
	s_or_b32 exec_lo, exec_lo, s16
	s_and_saveexec_b32 s16, s22
	s_cbranch_execnz .LBB6_6288
	s_branch .LBB6_6289
.LBB6_8016:                             ;   in Loop: Header=BB6_5548 Depth=3
	s_or_saveexec_b32 s16, s16
	v_mov_b32_e32 v4, 0x7f800001
	s_xor_b32 exec_lo, exec_lo, s16
	s_cbranch_execz .LBB6_6293
.LBB6_8017:                             ;   in Loop: Header=BB6_5548 Depth=3
	v_cmp_ne_u16_sdwa s23, v25, v2 src0_sel:BYTE_0 src1_sel:DWORD
	v_mov_b32_e32 v4, 0
	s_andn2_b32 s22, s22, exec_lo
	s_and_b32 s23, s23, exec_lo
	s_or_b32 s22, s22, s23
	s_or_b32 exec_lo, exec_lo, s16
	s_and_saveexec_b32 s16, s22
	s_cbranch_execnz .LBB6_6294
	s_branch .LBB6_6295
.LBB6_8018:                             ;   in Loop: Header=BB6_5548 Depth=3
	s_or_saveexec_b32 s22, s22
	v_mov_b32_e32 v1, 0x7f800001
	s_xor_b32 exec_lo, exec_lo, s22
	s_cbranch_execz .LBB6_6309
.LBB6_8019:                             ;   in Loop: Header=BB6_5548 Depth=3
	v_cmp_ne_u16_sdwa s23, v33, v2 src0_sel:BYTE_1 src1_sel:DWORD
	v_mov_b32_e32 v1, 0
	s_andn2_b32 s16, s16, exec_lo
	s_and_b32 s23, s23, exec_lo
	s_or_b32 s16, s16, s23
	s_or_b32 exec_lo, exec_lo, s22
	s_and_saveexec_b32 s22, s16
	s_cbranch_execnz .LBB6_6310
	s_branch .LBB6_6311
.LBB6_8020:                             ;   in Loop: Header=BB6_5548 Depth=3
	s_or_saveexec_b32 s22, s22
	v_mov_b32_e32 v4, 0x7f800001
	s_xor_b32 exec_lo, exec_lo, s22
	s_cbranch_execz .LBB6_6315
.LBB6_8021:                             ;   in Loop: Header=BB6_5548 Depth=3
	v_cmp_ne_u16_sdwa s23, v25, v2 src0_sel:BYTE_1 src1_sel:DWORD
	v_mov_b32_e32 v4, 0
	s_andn2_b32 s16, s16, exec_lo
	s_and_b32 s23, s23, exec_lo
	s_or_b32 s16, s16, s23
	s_or_b32 exec_lo, exec_lo, s22
	s_and_saveexec_b32 s22, s16
	s_cbranch_execnz .LBB6_6316
	s_branch .LBB6_6317
.LBB6_8022:                             ;   in Loop: Header=BB6_5548 Depth=3
	s_or_saveexec_b32 s22, s22
	v_mov_b32_e32 v1, 0x7f800001
	s_xor_b32 exec_lo, exec_lo, s22
	s_cbranch_execz .LBB6_6323
.LBB6_8023:                             ;   in Loop: Header=BB6_5548 Depth=3
	v_cmp_ne_u16_sdwa s23, v33, v2 src0_sel:BYTE_1 src1_sel:DWORD
	v_mov_b32_e32 v1, 0
	s_andn2_b32 s16, s16, exec_lo
	s_and_b32 s23, s23, exec_lo
	s_or_b32 s16, s16, s23
	s_or_b32 exec_lo, exec_lo, s22
	s_and_saveexec_b32 s22, s16
	s_cbranch_execnz .LBB6_6324
	s_branch .LBB6_6325
.LBB6_8024:                             ;   in Loop: Header=BB6_5548 Depth=3
	s_or_saveexec_b32 s22, s22
	v_mov_b32_e32 v4, 0x7f800001
	s_xor_b32 exec_lo, exec_lo, s22
	s_cbranch_execz .LBB6_6329
.LBB6_8025:                             ;   in Loop: Header=BB6_5548 Depth=3
	v_cmp_ne_u16_sdwa s23, v25, v2 src0_sel:BYTE_1 src1_sel:DWORD
	v_mov_b32_e32 v4, 0
	s_andn2_b32 s16, s16, exec_lo
	s_and_b32 s23, s23, exec_lo
	s_or_b32 s16, s16, s23
	s_or_b32 exec_lo, exec_lo, s22
	s_and_saveexec_b32 s22, s16
	s_cbranch_execnz .LBB6_6330
	s_branch .LBB6_6331
.LBB6_8026:                             ;   in Loop: Header=BB6_5548 Depth=3
	s_or_saveexec_b32 s16, s16
	v_mov_b32_e32 v4, 0x7f800001
	s_xor_b32 exec_lo, exec_lo, s16
	s_cbranch_execz .LBB6_6345
.LBB6_8027:                             ;   in Loop: Header=BB6_5548 Depth=3
	v_cmp_ne_u16_e32 vcc_lo, 0, v1
	v_mov_b32_e32 v4, 0
	s_andn2_b32 s22, s22, exec_lo
	s_and_b32 s23, vcc_lo, exec_lo
	s_or_b32 s22, s22, s23
	s_or_b32 exec_lo, exec_lo, s16
	s_and_saveexec_b32 s16, s22
	s_cbranch_execnz .LBB6_6346
	s_branch .LBB6_6347
.LBB6_8028:                             ;   in Loop: Header=BB6_5548 Depth=3
	s_or_saveexec_b32 s16, s16
	v_mov_b32_e32 v5, 0x7f800001
	s_xor_b32 exec_lo, exec_lo, s16
	s_cbranch_execz .LBB6_6351
.LBB6_8029:                             ;   in Loop: Header=BB6_5548 Depth=3
	v_cmp_ne_u16_e32 vcc_lo, 0, v28
	v_mov_b32_e32 v5, 0
	s_andn2_b32 s22, s22, exec_lo
	s_and_b32 s23, vcc_lo, exec_lo
	s_or_b32 s22, s22, s23
	s_or_b32 exec_lo, exec_lo, s16
	s_and_saveexec_b32 s16, s22
	s_cbranch_execnz .LBB6_6352
	s_branch .LBB6_6353
.LBB6_8030:                             ;   in Loop: Header=BB6_5548 Depth=3
	s_or_saveexec_b32 s16, s16
	v_mov_b32_e32 v4, 0x7f800001
	s_xor_b32 exec_lo, exec_lo, s16
	s_cbranch_execz .LBB6_6359
.LBB6_8031:                             ;   in Loop: Header=BB6_5548 Depth=3
	v_cmp_ne_u16_e32 vcc_lo, 0, v1
	v_mov_b32_e32 v4, 0
	s_andn2_b32 s22, s22, exec_lo
	s_and_b32 s23, vcc_lo, exec_lo
	s_or_b32 s22, s22, s23
	s_or_b32 exec_lo, exec_lo, s16
	s_and_saveexec_b32 s16, s22
	s_cbranch_execnz .LBB6_6360
	s_branch .LBB6_6361
.LBB6_8032:                             ;   in Loop: Header=BB6_5548 Depth=3
	s_or_saveexec_b32 s16, s16
	v_mov_b32_e32 v1, 0x7f800001
	s_xor_b32 exec_lo, exec_lo, s16
	s_cbranch_execz .LBB6_6365
.LBB6_8033:                             ;   in Loop: Header=BB6_5548 Depth=3
	v_cmp_ne_u16_e32 vcc_lo, 0, v5
	v_mov_b32_e32 v1, 0
	s_andn2_b32 s22, s22, exec_lo
	s_and_b32 s23, vcc_lo, exec_lo
	s_or_b32 s22, s22, s23
	s_or_b32 exec_lo, exec_lo, s16
	s_and_saveexec_b32 s16, s22
	s_cbranch_execnz .LBB6_6366
	s_branch .LBB6_6367
.LBB6_8034:                             ;   in Loop: Header=BB6_5548 Depth=3
	s_or_saveexec_b32 s22, s22
	v_mov_b32_e32 v1, 0x7f800001
	s_xor_b32 exec_lo, exec_lo, s22
	s_cbranch_execz .LBB6_6381
.LBB6_8035:                             ;   in Loop: Header=BB6_5548 Depth=3
	v_cmp_ne_u16_sdwa s23, v33, v2 src0_sel:BYTE_3 src1_sel:DWORD
	v_mov_b32_e32 v1, 0
	s_andn2_b32 s16, s16, exec_lo
	s_and_b32 s23, s23, exec_lo
	s_or_b32 s16, s16, s23
	s_or_b32 exec_lo, exec_lo, s22
	s_and_saveexec_b32 s22, s16
	s_cbranch_execnz .LBB6_6382
	s_branch .LBB6_6383
.LBB6_8036:                             ;   in Loop: Header=BB6_5548 Depth=3
	s_or_saveexec_b32 s22, s22
	v_mov_b32_e32 v4, 0x7f800001
	s_xor_b32 exec_lo, exec_lo, s22
	s_cbranch_execz .LBB6_6387
.LBB6_8037:                             ;   in Loop: Header=BB6_5548 Depth=3
	v_cmp_ne_u16_sdwa s23, v25, v2 src0_sel:BYTE_3 src1_sel:DWORD
	v_mov_b32_e32 v4, 0
	s_andn2_b32 s16, s16, exec_lo
	s_and_b32 s23, s23, exec_lo
	s_or_b32 s16, s16, s23
	s_or_b32 exec_lo, exec_lo, s22
	s_and_saveexec_b32 s22, s16
	s_cbranch_execnz .LBB6_6388
	s_branch .LBB6_6389
.LBB6_8038:                             ;   in Loop: Header=BB6_5548 Depth=3
	s_or_saveexec_b32 s22, s22
	v_mov_b32_e32 v1, 0x7f800001
	s_xor_b32 exec_lo, exec_lo, s22
	s_cbranch_execz .LBB6_6395
.LBB6_8039:                             ;   in Loop: Header=BB6_5548 Depth=3
	v_cmp_ne_u16_sdwa s23, v33, v2 src0_sel:BYTE_3 src1_sel:DWORD
	v_mov_b32_e32 v1, 0
	s_andn2_b32 s16, s16, exec_lo
	s_and_b32 s23, s23, exec_lo
	s_or_b32 s16, s16, s23
	s_or_b32 exec_lo, exec_lo, s22
	s_and_saveexec_b32 s22, s16
	s_cbranch_execnz .LBB6_6396
	s_branch .LBB6_6397
.LBB6_8040:                             ;   in Loop: Header=BB6_5548 Depth=3
	s_or_saveexec_b32 s22, s22
	v_mov_b32_e32 v4, 0x7f800001
	s_xor_b32 exec_lo, exec_lo, s22
	s_cbranch_execz .LBB6_6401
.LBB6_8041:                             ;   in Loop: Header=BB6_5548 Depth=3
	v_cmp_ne_u16_sdwa s23, v25, v2 src0_sel:BYTE_3 src1_sel:DWORD
	v_mov_b32_e32 v4, 0
	s_andn2_b32 s16, s16, exec_lo
	s_and_b32 s23, s23, exec_lo
	s_or_b32 s16, s16, s23
	s_or_b32 exec_lo, exec_lo, s22
	s_and_saveexec_b32 s22, s16
	s_cbranch_execnz .LBB6_6402
	s_branch .LBB6_6403
.LBB6_8042:                             ;   in Loop: Header=BB6_5548 Depth=3
	s_or_saveexec_b32 s16, s16
	v_mov_b32_e32 v1, 0x7f800001
	s_xor_b32 exec_lo, exec_lo, s16
	s_cbranch_execz .LBB6_6417
.LBB6_8043:                             ;   in Loop: Header=BB6_5548 Depth=3
	v_cmp_ne_u16_sdwa s23, v34, v2 src0_sel:BYTE_0 src1_sel:DWORD
	v_mov_b32_e32 v1, 0
	s_andn2_b32 s22, s22, exec_lo
	s_and_b32 s23, s23, exec_lo
	s_or_b32 s22, s22, s23
	s_or_b32 exec_lo, exec_lo, s16
	s_and_saveexec_b32 s16, s22
	s_cbranch_execnz .LBB6_6418
	s_branch .LBB6_6419
.LBB6_8044:                             ;   in Loop: Header=BB6_5548 Depth=3
	s_or_saveexec_b32 s16, s16
	v_mov_b32_e32 v4, 0x7f800001
	s_xor_b32 exec_lo, exec_lo, s16
	s_cbranch_execz .LBB6_6423
.LBB6_8045:                             ;   in Loop: Header=BB6_5548 Depth=3
	v_cmp_ne_u16_sdwa s23, v26, v2 src0_sel:BYTE_0 src1_sel:DWORD
	v_mov_b32_e32 v4, 0
	s_andn2_b32 s22, s22, exec_lo
	s_and_b32 s23, s23, exec_lo
	s_or_b32 s22, s22, s23
	s_or_b32 exec_lo, exec_lo, s16
	s_and_saveexec_b32 s16, s22
	s_cbranch_execnz .LBB6_6424
	s_branch .LBB6_6425
.LBB6_8046:                             ;   in Loop: Header=BB6_5548 Depth=3
	s_or_saveexec_b32 s16, s16
	v_mov_b32_e32 v1, 0x7f800001
	s_xor_b32 exec_lo, exec_lo, s16
	s_cbranch_execz .LBB6_6431
.LBB6_8047:                             ;   in Loop: Header=BB6_5548 Depth=3
	v_cmp_ne_u16_sdwa s23, v34, v2 src0_sel:BYTE_0 src1_sel:DWORD
	v_mov_b32_e32 v1, 0
	s_andn2_b32 s22, s22, exec_lo
	s_and_b32 s23, s23, exec_lo
	s_or_b32 s22, s22, s23
	s_or_b32 exec_lo, exec_lo, s16
	s_and_saveexec_b32 s16, s22
	s_cbranch_execnz .LBB6_6432
	s_branch .LBB6_6433
.LBB6_8048:                             ;   in Loop: Header=BB6_5548 Depth=3
	s_or_saveexec_b32 s16, s16
	v_mov_b32_e32 v4, 0x7f800001
	s_xor_b32 exec_lo, exec_lo, s16
	s_cbranch_execz .LBB6_6437
.LBB6_8049:                             ;   in Loop: Header=BB6_5548 Depth=3
	v_cmp_ne_u16_sdwa s23, v26, v2 src0_sel:BYTE_0 src1_sel:DWORD
	v_mov_b32_e32 v4, 0
	s_andn2_b32 s22, s22, exec_lo
	s_and_b32 s23, s23, exec_lo
	s_or_b32 s22, s22, s23
	s_or_b32 exec_lo, exec_lo, s16
	s_and_saveexec_b32 s16, s22
	s_cbranch_execnz .LBB6_6438
	s_branch .LBB6_6439
.LBB6_8050:                             ;   in Loop: Header=BB6_5548 Depth=3
	s_or_saveexec_b32 s22, s22
	v_mov_b32_e32 v1, 0x7f800001
	s_xor_b32 exec_lo, exec_lo, s22
	s_cbranch_execz .LBB6_6453
.LBB6_8051:                             ;   in Loop: Header=BB6_5548 Depth=3
	v_cmp_ne_u16_sdwa s23, v34, v2 src0_sel:BYTE_1 src1_sel:DWORD
	v_mov_b32_e32 v1, 0
	s_andn2_b32 s16, s16, exec_lo
	s_and_b32 s23, s23, exec_lo
	s_or_b32 s16, s16, s23
	s_or_b32 exec_lo, exec_lo, s22
	s_and_saveexec_b32 s22, s16
	s_cbranch_execnz .LBB6_6454
	s_branch .LBB6_6455
.LBB6_8052:                             ;   in Loop: Header=BB6_5548 Depth=3
	s_or_saveexec_b32 s22, s22
	v_mov_b32_e32 v4, 0x7f800001
	s_xor_b32 exec_lo, exec_lo, s22
	s_cbranch_execz .LBB6_6459
.LBB6_8053:                             ;   in Loop: Header=BB6_5548 Depth=3
	v_cmp_ne_u16_sdwa s23, v26, v2 src0_sel:BYTE_1 src1_sel:DWORD
	v_mov_b32_e32 v4, 0
	s_andn2_b32 s16, s16, exec_lo
	s_and_b32 s23, s23, exec_lo
	s_or_b32 s16, s16, s23
	s_or_b32 exec_lo, exec_lo, s22
	s_and_saveexec_b32 s22, s16
	s_cbranch_execnz .LBB6_6460
	s_branch .LBB6_6461
.LBB6_8054:                             ;   in Loop: Header=BB6_5548 Depth=3
	s_or_saveexec_b32 s22, s22
	v_mov_b32_e32 v1, 0x7f800001
	s_xor_b32 exec_lo, exec_lo, s22
	s_cbranch_execz .LBB6_6467
.LBB6_8055:                             ;   in Loop: Header=BB6_5548 Depth=3
	v_cmp_ne_u16_sdwa s23, v34, v2 src0_sel:BYTE_1 src1_sel:DWORD
	v_mov_b32_e32 v1, 0
	s_andn2_b32 s16, s16, exec_lo
	s_and_b32 s23, s23, exec_lo
	s_or_b32 s16, s16, s23
	s_or_b32 exec_lo, exec_lo, s22
	s_and_saveexec_b32 s22, s16
	s_cbranch_execnz .LBB6_6468
	s_branch .LBB6_6469
.LBB6_8056:                             ;   in Loop: Header=BB6_5548 Depth=3
	s_or_saveexec_b32 s22, s22
	v_mov_b32_e32 v4, 0x7f800001
	s_xor_b32 exec_lo, exec_lo, s22
	s_cbranch_execz .LBB6_6473
.LBB6_8057:                             ;   in Loop: Header=BB6_5548 Depth=3
	v_cmp_ne_u16_sdwa s23, v26, v2 src0_sel:BYTE_1 src1_sel:DWORD
	v_mov_b32_e32 v4, 0
	s_andn2_b32 s16, s16, exec_lo
	s_and_b32 s23, s23, exec_lo
	s_or_b32 s16, s16, s23
	s_or_b32 exec_lo, exec_lo, s22
	s_and_saveexec_b32 s22, s16
	s_cbranch_execnz .LBB6_6474
	s_branch .LBB6_6475
.LBB6_8058:                             ;   in Loop: Header=BB6_5548 Depth=3
	s_or_saveexec_b32 s16, s16
	v_mov_b32_e32 v4, 0x7f800001
	s_xor_b32 exec_lo, exec_lo, s16
	s_cbranch_execz .LBB6_6489
.LBB6_8059:                             ;   in Loop: Header=BB6_5548 Depth=3
	v_cmp_ne_u16_e32 vcc_lo, 0, v1
	v_mov_b32_e32 v4, 0
	s_andn2_b32 s22, s22, exec_lo
	s_and_b32 s23, vcc_lo, exec_lo
	s_or_b32 s22, s22, s23
	s_or_b32 exec_lo, exec_lo, s16
	s_and_saveexec_b32 s16, s22
	s_cbranch_execnz .LBB6_6490
	s_branch .LBB6_6491
.LBB6_8060:                             ;   in Loop: Header=BB6_5548 Depth=3
	s_or_saveexec_b32 s16, s16
	v_mov_b32_e32 v5, 0x7f800001
	s_xor_b32 exec_lo, exec_lo, s16
	s_cbranch_execz .LBB6_6495
.LBB6_8061:                             ;   in Loop: Header=BB6_5548 Depth=3
	v_cmp_ne_u16_e32 vcc_lo, 0, v31
	v_mov_b32_e32 v5, 0
	s_andn2_b32 s22, s22, exec_lo
	s_and_b32 s23, vcc_lo, exec_lo
	s_or_b32 s22, s22, s23
	s_or_b32 exec_lo, exec_lo, s16
	s_and_saveexec_b32 s16, s22
	s_cbranch_execnz .LBB6_6496
	s_branch .LBB6_6497
.LBB6_8062:                             ;   in Loop: Header=BB6_5548 Depth=3
	s_or_saveexec_b32 s16, s16
	v_mov_b32_e32 v4, 0x7f800001
	s_xor_b32 exec_lo, exec_lo, s16
	s_cbranch_execz .LBB6_6503
.LBB6_8063:                             ;   in Loop: Header=BB6_5548 Depth=3
	v_cmp_ne_u16_e32 vcc_lo, 0, v1
	v_mov_b32_e32 v4, 0
	s_andn2_b32 s22, s22, exec_lo
	s_and_b32 s23, vcc_lo, exec_lo
	s_or_b32 s22, s22, s23
	s_or_b32 exec_lo, exec_lo, s16
	s_and_saveexec_b32 s16, s22
	s_cbranch_execnz .LBB6_6504
	s_branch .LBB6_6505
.LBB6_8064:                             ;   in Loop: Header=BB6_5548 Depth=3
	s_or_saveexec_b32 s16, s16
	v_mov_b32_e32 v1, 0x7f800001
	s_xor_b32 exec_lo, exec_lo, s16
	s_cbranch_execz .LBB6_6509
.LBB6_8065:                             ;   in Loop: Header=BB6_5548 Depth=3
	v_cmp_ne_u16_e32 vcc_lo, 0, v5
	v_mov_b32_e32 v1, 0
	s_andn2_b32 s22, s22, exec_lo
	s_and_b32 s23, vcc_lo, exec_lo
	s_or_b32 s22, s22, s23
	s_or_b32 exec_lo, exec_lo, s16
	s_and_saveexec_b32 s16, s22
	s_cbranch_execnz .LBB6_6510
	s_branch .LBB6_6511
.LBB6_8066:                             ;   in Loop: Header=BB6_5548 Depth=3
	s_or_saveexec_b32 s22, s22
	v_mov_b32_e32 v1, 0x7f800001
	s_xor_b32 exec_lo, exec_lo, s22
	s_cbranch_execz .LBB6_6525
.LBB6_8067:                             ;   in Loop: Header=BB6_5548 Depth=3
	v_cmp_ne_u16_sdwa s23, v34, v2 src0_sel:BYTE_3 src1_sel:DWORD
	v_mov_b32_e32 v1, 0
	s_andn2_b32 s16, s16, exec_lo
	s_and_b32 s23, s23, exec_lo
	s_or_b32 s16, s16, s23
	s_or_b32 exec_lo, exec_lo, s22
	s_and_saveexec_b32 s22, s16
	s_cbranch_execnz .LBB6_6526
	s_branch .LBB6_6527
.LBB6_8068:                             ;   in Loop: Header=BB6_5548 Depth=3
	s_or_saveexec_b32 s22, s22
	v_mov_b32_e32 v4, 0x7f800001
	s_xor_b32 exec_lo, exec_lo, s22
	s_cbranch_execz .LBB6_6531
.LBB6_8069:                             ;   in Loop: Header=BB6_5548 Depth=3
	v_cmp_ne_u16_sdwa s23, v26, v2 src0_sel:BYTE_3 src1_sel:DWORD
	v_mov_b32_e32 v4, 0
	s_andn2_b32 s16, s16, exec_lo
	s_and_b32 s23, s23, exec_lo
	s_or_b32 s16, s16, s23
	s_or_b32 exec_lo, exec_lo, s22
	s_and_saveexec_b32 s22, s16
	s_cbranch_execnz .LBB6_6532
	s_branch .LBB6_6533
.LBB6_8070:                             ;   in Loop: Header=BB6_5548 Depth=3
	s_or_saveexec_b32 s22, s22
	v_mov_b32_e32 v1, 0x7f800001
	s_xor_b32 exec_lo, exec_lo, s22
	s_cbranch_execz .LBB6_6539
.LBB6_8071:                             ;   in Loop: Header=BB6_5548 Depth=3
	v_cmp_ne_u16_sdwa s23, v34, v2 src0_sel:BYTE_3 src1_sel:DWORD
	v_mov_b32_e32 v1, 0
	s_andn2_b32 s16, s16, exec_lo
	s_and_b32 s23, s23, exec_lo
	s_or_b32 s16, s16, s23
	s_or_b32 exec_lo, exec_lo, s22
	s_and_saveexec_b32 s22, s16
	s_cbranch_execnz .LBB6_6540
	s_branch .LBB6_6541
.LBB6_8072:                             ;   in Loop: Header=BB6_5548 Depth=3
	s_or_saveexec_b32 s22, s22
	v_mov_b32_e32 v4, 0x7f800001
	s_xor_b32 exec_lo, exec_lo, s22
	s_cbranch_execz .LBB6_6545
.LBB6_8073:                             ;   in Loop: Header=BB6_5548 Depth=3
	v_cmp_ne_u16_sdwa s23, v26, v2 src0_sel:BYTE_3 src1_sel:DWORD
	v_mov_b32_e32 v4, 0
	s_andn2_b32 s16, s16, exec_lo
	s_and_b32 s23, s23, exec_lo
	s_or_b32 s16, s16, s23
	s_or_b32 exec_lo, exec_lo, s22
	s_and_saveexec_b32 s22, s16
	s_cbranch_execnz .LBB6_6546
	s_branch .LBB6_6547
.LBB6_8074:                             ;   in Loop: Header=BB6_5548 Depth=3
	s_or_saveexec_b32 s16, s16
	v_mov_b32_e32 v1, 0x7f800001
	s_xor_b32 exec_lo, exec_lo, s16
	s_cbranch_execz .LBB6_6561
.LBB6_8075:                             ;   in Loop: Header=BB6_5548 Depth=3
	v_cmp_ne_u16_sdwa s23, v35, v2 src0_sel:BYTE_0 src1_sel:DWORD
	v_mov_b32_e32 v1, 0
	s_andn2_b32 s22, s22, exec_lo
	s_and_b32 s23, s23, exec_lo
	s_or_b32 s22, s22, s23
	s_or_b32 exec_lo, exec_lo, s16
	s_and_saveexec_b32 s16, s22
	s_cbranch_execnz .LBB6_6562
	s_branch .LBB6_6563
.LBB6_8076:                             ;   in Loop: Header=BB6_5548 Depth=3
	s_or_saveexec_b32 s16, s16
	v_mov_b32_e32 v4, 0x7f800001
	s_xor_b32 exec_lo, exec_lo, s16
	s_cbranch_execz .LBB6_6567
.LBB6_8077:                             ;   in Loop: Header=BB6_5548 Depth=3
	v_cmp_ne_u16_sdwa s23, v27, v2 src0_sel:BYTE_0 src1_sel:DWORD
	v_mov_b32_e32 v4, 0
	s_andn2_b32 s22, s22, exec_lo
	s_and_b32 s23, s23, exec_lo
	s_or_b32 s22, s22, s23
	s_or_b32 exec_lo, exec_lo, s16
	s_and_saveexec_b32 s16, s22
	s_cbranch_execnz .LBB6_6568
	s_branch .LBB6_6569
.LBB6_8078:                             ;   in Loop: Header=BB6_5548 Depth=3
	s_or_saveexec_b32 s16, s16
	v_mov_b32_e32 v1, 0x7f800001
	s_xor_b32 exec_lo, exec_lo, s16
	s_cbranch_execz .LBB6_6575
.LBB6_8079:                             ;   in Loop: Header=BB6_5548 Depth=3
	v_cmp_ne_u16_sdwa s23, v35, v2 src0_sel:BYTE_0 src1_sel:DWORD
	v_mov_b32_e32 v1, 0
	s_andn2_b32 s22, s22, exec_lo
	s_and_b32 s23, s23, exec_lo
	s_or_b32 s22, s22, s23
	s_or_b32 exec_lo, exec_lo, s16
	s_and_saveexec_b32 s16, s22
	s_cbranch_execnz .LBB6_6576
	s_branch .LBB6_6577
.LBB6_8080:                             ;   in Loop: Header=BB6_5548 Depth=3
	s_or_saveexec_b32 s16, s16
	v_mov_b32_e32 v4, 0x7f800001
	s_xor_b32 exec_lo, exec_lo, s16
	s_cbranch_execz .LBB6_6581
.LBB6_8081:                             ;   in Loop: Header=BB6_5548 Depth=3
	v_cmp_ne_u16_sdwa s23, v27, v2 src0_sel:BYTE_0 src1_sel:DWORD
	v_mov_b32_e32 v4, 0
	s_andn2_b32 s22, s22, exec_lo
	s_and_b32 s23, s23, exec_lo
	s_or_b32 s22, s22, s23
	s_or_b32 exec_lo, exec_lo, s16
	s_and_saveexec_b32 s16, s22
	s_cbranch_execnz .LBB6_6582
	s_branch .LBB6_6583
.LBB6_8082:                             ;   in Loop: Header=BB6_5548 Depth=3
	s_or_saveexec_b32 s22, s22
	v_mov_b32_e32 v1, 0x7f800001
	s_xor_b32 exec_lo, exec_lo, s22
	s_cbranch_execz .LBB6_6597
.LBB6_8083:                             ;   in Loop: Header=BB6_5548 Depth=3
	v_cmp_ne_u16_sdwa s23, v35, v2 src0_sel:BYTE_1 src1_sel:DWORD
	v_mov_b32_e32 v1, 0
	s_andn2_b32 s16, s16, exec_lo
	s_and_b32 s23, s23, exec_lo
	s_or_b32 s16, s16, s23
	s_or_b32 exec_lo, exec_lo, s22
	s_and_saveexec_b32 s22, s16
	s_cbranch_execnz .LBB6_6598
	s_branch .LBB6_6599
.LBB6_8084:                             ;   in Loop: Header=BB6_5548 Depth=3
	s_or_saveexec_b32 s22, s22
	v_mov_b32_e32 v4, 0x7f800001
	s_xor_b32 exec_lo, exec_lo, s22
	s_cbranch_execz .LBB6_6603
.LBB6_8085:                             ;   in Loop: Header=BB6_5548 Depth=3
	v_cmp_ne_u16_sdwa s23, v27, v2 src0_sel:BYTE_1 src1_sel:DWORD
	v_mov_b32_e32 v4, 0
	s_andn2_b32 s16, s16, exec_lo
	s_and_b32 s23, s23, exec_lo
	s_or_b32 s16, s16, s23
	s_or_b32 exec_lo, exec_lo, s22
	s_and_saveexec_b32 s22, s16
	s_cbranch_execnz .LBB6_6604
	s_branch .LBB6_6605
.LBB6_8086:                             ;   in Loop: Header=BB6_5548 Depth=3
	s_or_saveexec_b32 s22, s22
	v_mov_b32_e32 v1, 0x7f800001
	s_xor_b32 exec_lo, exec_lo, s22
	s_cbranch_execz .LBB6_6611
.LBB6_8087:                             ;   in Loop: Header=BB6_5548 Depth=3
	v_cmp_ne_u16_sdwa s23, v35, v2 src0_sel:BYTE_1 src1_sel:DWORD
	v_mov_b32_e32 v1, 0
	s_andn2_b32 s16, s16, exec_lo
	s_and_b32 s23, s23, exec_lo
	s_or_b32 s16, s16, s23
	s_or_b32 exec_lo, exec_lo, s22
	s_and_saveexec_b32 s22, s16
	s_cbranch_execnz .LBB6_6612
	s_branch .LBB6_6613
.LBB6_8088:                             ;   in Loop: Header=BB6_5548 Depth=3
	s_or_saveexec_b32 s22, s22
	v_mov_b32_e32 v4, 0x7f800001
	s_xor_b32 exec_lo, exec_lo, s22
	s_cbranch_execz .LBB6_6617
.LBB6_8089:                             ;   in Loop: Header=BB6_5548 Depth=3
	v_cmp_ne_u16_sdwa s23, v27, v2 src0_sel:BYTE_1 src1_sel:DWORD
	v_mov_b32_e32 v4, 0
	s_andn2_b32 s16, s16, exec_lo
	s_and_b32 s23, s23, exec_lo
	s_or_b32 s16, s16, s23
	s_or_b32 exec_lo, exec_lo, s22
	s_and_saveexec_b32 s22, s16
	s_cbranch_execnz .LBB6_6618
	s_branch .LBB6_6619
.LBB6_8090:                             ;   in Loop: Header=BB6_5548 Depth=3
	s_or_saveexec_b32 s16, s16
	v_mov_b32_e32 v4, 0x7f800001
	s_xor_b32 exec_lo, exec_lo, s16
	s_cbranch_execz .LBB6_6633
.LBB6_8091:                             ;   in Loop: Header=BB6_5548 Depth=3
	v_cmp_ne_u16_e32 vcc_lo, 0, v1
	v_mov_b32_e32 v4, 0
	s_andn2_b32 s22, s22, exec_lo
	s_and_b32 s23, vcc_lo, exec_lo
	s_or_b32 s22, s22, s23
	s_or_b32 exec_lo, exec_lo, s16
	s_and_saveexec_b32 s16, s22
	s_cbranch_execnz .LBB6_6634
	s_branch .LBB6_6635
.LBB6_8092:                             ;   in Loop: Header=BB6_5548 Depth=3
	s_or_saveexec_b32 s16, s16
	v_mov_b32_e32 v5, 0x7f800001
	s_xor_b32 exec_lo, exec_lo, s16
	s_cbranch_execz .LBB6_6639
.LBB6_8093:                             ;   in Loop: Header=BB6_5548 Depth=3
	v_cmp_ne_u16_e32 vcc_lo, 0, v31
	v_mov_b32_e32 v5, 0
	s_andn2_b32 s22, s22, exec_lo
	s_and_b32 s23, vcc_lo, exec_lo
	s_or_b32 s22, s22, s23
	s_or_b32 exec_lo, exec_lo, s16
	s_and_saveexec_b32 s16, s22
	s_cbranch_execnz .LBB6_6640
	s_branch .LBB6_6641
.LBB6_8094:                             ;   in Loop: Header=BB6_5548 Depth=3
	s_or_saveexec_b32 s16, s16
	v_mov_b32_e32 v4, 0x7f800001
	s_xor_b32 exec_lo, exec_lo, s16
	s_cbranch_execz .LBB6_6647
.LBB6_8095:                             ;   in Loop: Header=BB6_5548 Depth=3
	v_cmp_ne_u16_e32 vcc_lo, 0, v1
	v_mov_b32_e32 v4, 0
	s_andn2_b32 s22, s22, exec_lo
	s_and_b32 s23, vcc_lo, exec_lo
	s_or_b32 s22, s22, s23
	s_or_b32 exec_lo, exec_lo, s16
	s_and_saveexec_b32 s16, s22
	s_cbranch_execnz .LBB6_6648
	s_branch .LBB6_6649
.LBB6_8096:                             ;   in Loop: Header=BB6_5548 Depth=3
	s_or_saveexec_b32 s16, s16
	v_mov_b32_e32 v1, 0x7f800001
	s_xor_b32 exec_lo, exec_lo, s16
	s_cbranch_execz .LBB6_6653
.LBB6_8097:                             ;   in Loop: Header=BB6_5548 Depth=3
	v_cmp_ne_u16_e32 vcc_lo, 0, v5
	v_mov_b32_e32 v1, 0
	s_andn2_b32 s22, s22, exec_lo
	s_and_b32 s23, vcc_lo, exec_lo
	s_or_b32 s22, s22, s23
	s_or_b32 exec_lo, exec_lo, s16
	s_and_saveexec_b32 s16, s22
	s_cbranch_execnz .LBB6_6654
	s_branch .LBB6_6655
.LBB6_8098:                             ;   in Loop: Header=BB6_5548 Depth=3
	s_or_saveexec_b32 s22, s22
	v_mov_b32_e32 v1, 0x7f800001
	s_xor_b32 exec_lo, exec_lo, s22
	s_cbranch_execz .LBB6_6669
.LBB6_8099:                             ;   in Loop: Header=BB6_5548 Depth=3
	v_cmp_ne_u16_sdwa s23, v35, v2 src0_sel:BYTE_3 src1_sel:DWORD
	v_mov_b32_e32 v1, 0
	s_andn2_b32 s16, s16, exec_lo
	s_and_b32 s23, s23, exec_lo
	s_or_b32 s16, s16, s23
	s_or_b32 exec_lo, exec_lo, s22
	s_and_saveexec_b32 s22, s16
	s_cbranch_execnz .LBB6_6670
	s_branch .LBB6_6671
.LBB6_8100:                             ;   in Loop: Header=BB6_5548 Depth=3
	s_or_saveexec_b32 s22, s22
	v_mov_b32_e32 v5, 0x7f800001
	s_xor_b32 exec_lo, exec_lo, s22
	s_cbranch_execz .LBB6_6675
.LBB6_8101:                             ;   in Loop: Header=BB6_5548 Depth=3
	v_cmp_ne_u16_sdwa s23, v27, v2 src0_sel:BYTE_3 src1_sel:DWORD
	v_mov_b32_e32 v5, 0
	s_andn2_b32 s16, s16, exec_lo
	s_and_b32 s23, s23, exec_lo
	s_or_b32 s16, s16, s23
	s_or_b32 exec_lo, exec_lo, s22
	s_and_saveexec_b32 s22, s16
	s_cbranch_execnz .LBB6_6676
	s_branch .LBB6_6677
.LBB6_8102:                             ;   in Loop: Header=BB6_5548 Depth=3
	s_or_saveexec_b32 s22, s22
	v_mov_b32_e32 v1, 0x7f800001
	s_xor_b32 exec_lo, exec_lo, s22
	s_cbranch_execz .LBB6_6683
.LBB6_8103:                             ;   in Loop: Header=BB6_5548 Depth=3
	v_cmp_ne_u16_sdwa s23, v35, v2 src0_sel:BYTE_3 src1_sel:DWORD
	v_mov_b32_e32 v1, 0
	s_andn2_b32 s16, s16, exec_lo
	s_and_b32 s23, s23, exec_lo
	s_or_b32 s16, s16, s23
	s_or_b32 exec_lo, exec_lo, s22
	s_and_saveexec_b32 s22, s16
	s_cbranch_execnz .LBB6_6684
	s_branch .LBB6_6685
.LBB6_8104:                             ;   in Loop: Header=BB6_5548 Depth=3
	s_or_saveexec_b32 s22, s22
	v_mov_b32_e32 v5, 0x7f800001
	s_xor_b32 exec_lo, exec_lo, s22
	s_cbranch_execz .LBB6_6689
.LBB6_8105:                             ;   in Loop: Header=BB6_5548 Depth=3
	v_cmp_ne_u16_sdwa s23, v27, v2 src0_sel:BYTE_3 src1_sel:DWORD
	v_mov_b32_e32 v5, 0
	s_andn2_b32 s16, s16, exec_lo
	s_and_b32 s23, s23, exec_lo
	s_or_b32 s16, s16, s23
	s_or_b32 exec_lo, exec_lo, s22
	s_and_saveexec_b32 s22, s16
	s_cbranch_execnz .LBB6_6690
	s_branch .LBB6_6691
.LBB6_8106:                             ;   in Loop: Header=BB6_5548 Depth=3
	s_or_saveexec_b32 s16, s16
	v_mov_b32_e32 v1, 0x7f800001
	s_xor_b32 exec_lo, exec_lo, s16
	s_cbranch_execz .LBB6_6705
.LBB6_8107:                             ;   in Loop: Header=BB6_5548 Depth=3
	v_cmp_ne_u16_sdwa s23, v20, v2 src0_sel:BYTE_0 src1_sel:DWORD
	v_mov_b32_e32 v1, 0
	s_andn2_b32 s22, s22, exec_lo
	s_and_b32 s23, s23, exec_lo
	s_or_b32 s22, s22, s23
	s_or_b32 exec_lo, exec_lo, s16
	s_and_saveexec_b32 s16, s22
	s_cbranch_execnz .LBB6_6706
	s_branch .LBB6_6707
.LBB6_8108:                             ;   in Loop: Header=BB6_5548 Depth=3
	s_or_saveexec_b32 s16, s16
	v_mov_b32_e32 v27, 0x7f800001
	s_xor_b32 exec_lo, exec_lo, s16
	s_cbranch_execz .LBB6_6711
.LBB6_8109:                             ;   in Loop: Header=BB6_5548 Depth=3
	v_cmp_ne_u16_sdwa s23, v16, v2 src0_sel:BYTE_0 src1_sel:DWORD
	v_mov_b32_e32 v27, 0
	s_andn2_b32 s22, s22, exec_lo
	s_and_b32 s23, s23, exec_lo
	s_or_b32 s22, s22, s23
	s_or_b32 exec_lo, exec_lo, s16
	s_and_saveexec_b32 s16, s22
	s_cbranch_execnz .LBB6_6712
	s_branch .LBB6_6713
.LBB6_8110:                             ;   in Loop: Header=BB6_5548 Depth=3
	s_or_saveexec_b32 s16, s16
	v_mov_b32_e32 v1, 0x7f800001
	s_xor_b32 exec_lo, exec_lo, s16
	s_cbranch_execz .LBB6_6719
.LBB6_8111:                             ;   in Loop: Header=BB6_5548 Depth=3
	v_cmp_ne_u16_sdwa s23, v20, v2 src0_sel:BYTE_0 src1_sel:DWORD
	v_mov_b32_e32 v1, 0
	s_andn2_b32 s22, s22, exec_lo
	s_and_b32 s23, s23, exec_lo
	s_or_b32 s22, s22, s23
	s_or_b32 exec_lo, exec_lo, s16
	s_and_saveexec_b32 s16, s22
	s_cbranch_execnz .LBB6_6720
	s_branch .LBB6_6721
.LBB6_8112:                             ;   in Loop: Header=BB6_5548 Depth=3
	s_or_saveexec_b32 s16, s16
	v_mov_b32_e32 v27, 0x7f800001
	s_xor_b32 exec_lo, exec_lo, s16
	s_cbranch_execz .LBB6_6725
.LBB6_8113:                             ;   in Loop: Header=BB6_5548 Depth=3
	v_cmp_ne_u16_sdwa s23, v16, v2 src0_sel:BYTE_0 src1_sel:DWORD
	v_mov_b32_e32 v27, 0
	s_andn2_b32 s22, s22, exec_lo
	s_and_b32 s23, s23, exec_lo
	s_or_b32 s22, s22, s23
	s_or_b32 exec_lo, exec_lo, s16
	s_and_saveexec_b32 s16, s22
	s_cbranch_execnz .LBB6_6726
	s_branch .LBB6_6727
.LBB6_8114:                             ;   in Loop: Header=BB6_5548 Depth=3
	s_or_saveexec_b32 s22, s22
	v_mov_b32_e32 v1, 0x7f800001
	s_xor_b32 exec_lo, exec_lo, s22
	s_cbranch_execz .LBB6_6741
.LBB6_8115:                             ;   in Loop: Header=BB6_5548 Depth=3
	v_cmp_ne_u16_sdwa s23, v20, v2 src0_sel:BYTE_1 src1_sel:DWORD
	v_mov_b32_e32 v1, 0
	s_andn2_b32 s16, s16, exec_lo
	s_and_b32 s23, s23, exec_lo
	s_or_b32 s16, s16, s23
	s_or_b32 exec_lo, exec_lo, s22
	s_and_saveexec_b32 s22, s16
	s_cbranch_execnz .LBB6_6742
	s_branch .LBB6_6743
.LBB6_8116:                             ;   in Loop: Header=BB6_5548 Depth=3
	s_or_saveexec_b32 s22, s22
	v_mov_b32_e32 v31, 0x7f800001
	s_xor_b32 exec_lo, exec_lo, s22
	s_cbranch_execz .LBB6_6747
.LBB6_8117:                             ;   in Loop: Header=BB6_5548 Depth=3
	v_cmp_ne_u16_sdwa s23, v16, v2 src0_sel:BYTE_1 src1_sel:DWORD
	v_mov_b32_e32 v31, 0
	s_andn2_b32 s16, s16, exec_lo
	s_and_b32 s23, s23, exec_lo
	s_or_b32 s16, s16, s23
	s_or_b32 exec_lo, exec_lo, s22
	s_and_saveexec_b32 s22, s16
	s_cbranch_execnz .LBB6_6748
	s_branch .LBB6_6749
.LBB6_8118:                             ;   in Loop: Header=BB6_5548 Depth=3
	s_or_saveexec_b32 s22, s22
	v_mov_b32_e32 v1, 0x7f800001
	s_xor_b32 exec_lo, exec_lo, s22
	s_cbranch_execz .LBB6_6755
.LBB6_8119:                             ;   in Loop: Header=BB6_5548 Depth=3
	v_cmp_ne_u16_sdwa s23, v20, v2 src0_sel:BYTE_1 src1_sel:DWORD
	v_mov_b32_e32 v1, 0
	s_andn2_b32 s16, s16, exec_lo
	s_and_b32 s23, s23, exec_lo
	s_or_b32 s16, s16, s23
	s_or_b32 exec_lo, exec_lo, s22
	s_and_saveexec_b32 s22, s16
	s_cbranch_execnz .LBB6_6756
	s_branch .LBB6_6757
.LBB6_8120:                             ;   in Loop: Header=BB6_5548 Depth=3
	s_or_saveexec_b32 s22, s22
	v_mov_b32_e32 v31, 0x7f800001
	s_xor_b32 exec_lo, exec_lo, s22
	s_cbranch_execz .LBB6_6761
.LBB6_8121:                             ;   in Loop: Header=BB6_5548 Depth=3
	v_cmp_ne_u16_sdwa s23, v16, v2 src0_sel:BYTE_1 src1_sel:DWORD
	v_mov_b32_e32 v31, 0
	s_andn2_b32 s16, s16, exec_lo
	s_and_b32 s23, s23, exec_lo
	s_or_b32 s16, s16, s23
	s_or_b32 exec_lo, exec_lo, s22
	s_and_saveexec_b32 s22, s16
	s_cbranch_execnz .LBB6_6762
	s_branch .LBB6_6763
.LBB6_8122:                             ;   in Loop: Header=BB6_5548 Depth=3
	s_or_saveexec_b32 s16, s16
	v_mov_b32_e32 v31, 0x7f800001
	s_xor_b32 exec_lo, exec_lo, s16
	s_cbranch_execz .LBB6_6777
.LBB6_8123:                             ;   in Loop: Header=BB6_5548 Depth=3
	v_cmp_ne_u16_e32 vcc_lo, 0, v1
	v_mov_b32_e32 v31, 0
	s_andn2_b32 s22, s22, exec_lo
	s_and_b32 s23, vcc_lo, exec_lo
	s_or_b32 s22, s22, s23
	s_or_b32 exec_lo, exec_lo, s16
	s_and_saveexec_b32 s16, s22
	s_cbranch_execnz .LBB6_6778
	s_branch .LBB6_6779
.LBB6_8124:                             ;   in Loop: Header=BB6_5548 Depth=3
	s_or_saveexec_b32 s16, s16
	v_mov_b32_e32 v82, 0x7f800001
	s_xor_b32 exec_lo, exec_lo, s16
	s_cbranch_execz .LBB6_6783
.LBB6_8125:                             ;   in Loop: Header=BB6_5548 Depth=3
	v_cmp_ne_u16_e32 vcc_lo, 0, v83
	v_mov_b32_e32 v82, 0
	s_andn2_b32 s22, s22, exec_lo
	s_and_b32 s23, vcc_lo, exec_lo
	s_or_b32 s22, s22, s23
	s_or_b32 exec_lo, exec_lo, s16
	s_and_saveexec_b32 s16, s22
	s_cbranch_execnz .LBB6_6784
	s_branch .LBB6_6785
.LBB6_8126:                             ;   in Loop: Header=BB6_5548 Depth=3
	s_or_saveexec_b32 s16, s16
	v_mov_b32_e32 v31, 0x7f800001
	s_xor_b32 exec_lo, exec_lo, s16
	s_cbranch_execz .LBB6_6791
.LBB6_8127:                             ;   in Loop: Header=BB6_5548 Depth=3
	v_cmp_ne_u16_e32 vcc_lo, 0, v1
	v_mov_b32_e32 v31, 0
	s_andn2_b32 s22, s22, exec_lo
	s_and_b32 s23, vcc_lo, exec_lo
	s_or_b32 s22, s22, s23
	s_or_b32 exec_lo, exec_lo, s16
	s_and_saveexec_b32 s16, s22
	s_cbranch_execnz .LBB6_6792
	s_branch .LBB6_6793
.LBB6_8128:                             ;   in Loop: Header=BB6_5548 Depth=3
	s_or_saveexec_b32 s16, s16
	v_mov_b32_e32 v1, 0x7f800001
	s_xor_b32 exec_lo, exec_lo, s16
	s_cbranch_execz .LBB6_6797
.LBB6_8129:                             ;   in Loop: Header=BB6_5548 Depth=3
	v_cmp_ne_u16_e32 vcc_lo, 0, v82
	v_mov_b32_e32 v1, 0
	s_andn2_b32 s22, s22, exec_lo
	s_and_b32 s23, vcc_lo, exec_lo
	s_or_b32 s22, s22, s23
	s_or_b32 exec_lo, exec_lo, s16
	s_and_saveexec_b32 s16, s22
	s_cbranch_execnz .LBB6_6798
	s_branch .LBB6_6799
.LBB6_8130:                             ;   in Loop: Header=BB6_5548 Depth=3
	s_or_saveexec_b32 s22, s22
	v_mov_b32_e32 v1, 0x7f800001
	s_xor_b32 exec_lo, exec_lo, s22
	s_cbranch_execz .LBB6_6813
.LBB6_8131:                             ;   in Loop: Header=BB6_5548 Depth=3
	v_cmp_ne_u16_sdwa s23, v20, v2 src0_sel:BYTE_3 src1_sel:DWORD
	v_mov_b32_e32 v1, 0
	s_andn2_b32 s16, s16, exec_lo
	s_and_b32 s23, s23, exec_lo
	s_or_b32 s16, s16, s23
	s_or_b32 exec_lo, exec_lo, s22
	s_and_saveexec_b32 s22, s16
	s_cbranch_execnz .LBB6_6814
	s_branch .LBB6_6815
.LBB6_8132:                             ;   in Loop: Header=BB6_5548 Depth=3
	s_or_saveexec_b32 s22, s22
	v_mov_b32_e32 v31, 0x7f800001
	s_xor_b32 exec_lo, exec_lo, s22
	s_cbranch_execz .LBB6_6819
.LBB6_8133:                             ;   in Loop: Header=BB6_5548 Depth=3
	v_cmp_ne_u16_sdwa s23, v16, v2 src0_sel:BYTE_3 src1_sel:DWORD
	v_mov_b32_e32 v31, 0
	s_andn2_b32 s16, s16, exec_lo
	s_and_b32 s23, s23, exec_lo
	s_or_b32 s16, s16, s23
	s_or_b32 exec_lo, exec_lo, s22
	s_and_saveexec_b32 s22, s16
	s_cbranch_execnz .LBB6_6820
	s_branch .LBB6_6821
.LBB6_8134:                             ;   in Loop: Header=BB6_5548 Depth=3
	s_or_saveexec_b32 s22, s22
	v_mov_b32_e32 v1, 0x7f800001
	s_xor_b32 exec_lo, exec_lo, s22
	s_cbranch_execz .LBB6_6827
.LBB6_8135:                             ;   in Loop: Header=BB6_5548 Depth=3
	v_cmp_ne_u16_sdwa s23, v20, v2 src0_sel:BYTE_3 src1_sel:DWORD
	v_mov_b32_e32 v1, 0
	s_andn2_b32 s16, s16, exec_lo
	s_and_b32 s23, s23, exec_lo
	s_or_b32 s16, s16, s23
	s_or_b32 exec_lo, exec_lo, s22
	s_and_saveexec_b32 s22, s16
	s_cbranch_execnz .LBB6_6828
	s_branch .LBB6_6829
.LBB6_8136:                             ;   in Loop: Header=BB6_5548 Depth=3
	s_or_saveexec_b32 s22, s22
	v_mov_b32_e32 v20, 0x7f800001
	s_xor_b32 exec_lo, exec_lo, s22
	s_cbranch_execz .LBB6_6833
.LBB6_8137:                             ;   in Loop: Header=BB6_5548 Depth=3
	v_cmp_ne_u16_sdwa s23, v16, v2 src0_sel:BYTE_3 src1_sel:DWORD
	v_mov_b32_e32 v20, 0
	s_andn2_b32 s16, s16, exec_lo
	s_and_b32 s23, s23, exec_lo
	s_or_b32 s16, s16, s23
	s_or_b32 exec_lo, exec_lo, s22
	s_and_saveexec_b32 s22, s16
	s_cbranch_execnz .LBB6_6834
	s_branch .LBB6_6835
.LBB6_8138:                             ;   in Loop: Header=BB6_5548 Depth=3
	s_or_saveexec_b32 s16, s16
	v_mov_b32_e32 v1, 0x7f800001
	s_xor_b32 exec_lo, exec_lo, s16
	s_cbranch_execz .LBB6_6849
.LBB6_8139:                             ;   in Loop: Header=BB6_5548 Depth=3
	v_cmp_ne_u16_sdwa s23, v21, v2 src0_sel:BYTE_0 src1_sel:DWORD
	v_mov_b32_e32 v1, 0
	s_andn2_b32 s22, s22, exec_lo
	s_and_b32 s23, s23, exec_lo
	s_or_b32 s22, s22, s23
	s_or_b32 exec_lo, exec_lo, s16
	s_and_saveexec_b32 s16, s22
	s_cbranch_execnz .LBB6_6850
	s_branch .LBB6_6851
.LBB6_8140:                             ;   in Loop: Header=BB6_5548 Depth=3
	s_or_saveexec_b32 s16, s16
	v_mov_b32_e32 v20, 0x7f800001
	s_xor_b32 exec_lo, exec_lo, s16
	s_cbranch_execz .LBB6_6855
.LBB6_8141:                             ;   in Loop: Header=BB6_5548 Depth=3
	v_cmp_ne_u16_sdwa s23, v17, v2 src0_sel:BYTE_0 src1_sel:DWORD
	v_mov_b32_e32 v20, 0
	s_andn2_b32 s22, s22, exec_lo
	s_and_b32 s23, s23, exec_lo
	s_or_b32 s22, s22, s23
	s_or_b32 exec_lo, exec_lo, s16
	s_and_saveexec_b32 s16, s22
	s_cbranch_execnz .LBB6_6856
	s_branch .LBB6_6857
.LBB6_8142:                             ;   in Loop: Header=BB6_5548 Depth=3
	s_or_saveexec_b32 s16, s16
	v_mov_b32_e32 v1, 0x7f800001
	s_xor_b32 exec_lo, exec_lo, s16
	s_cbranch_execz .LBB6_6863
.LBB6_8143:                             ;   in Loop: Header=BB6_5548 Depth=3
	v_cmp_ne_u16_sdwa s23, v21, v2 src0_sel:BYTE_0 src1_sel:DWORD
	v_mov_b32_e32 v1, 0
	s_andn2_b32 s22, s22, exec_lo
	s_and_b32 s23, s23, exec_lo
	s_or_b32 s22, s22, s23
	s_or_b32 exec_lo, exec_lo, s16
	s_and_saveexec_b32 s16, s22
	s_cbranch_execnz .LBB6_6864
	s_branch .LBB6_6865
.LBB6_8144:                             ;   in Loop: Header=BB6_5548 Depth=3
	s_or_saveexec_b32 s16, s16
	v_mov_b32_e32 v20, 0x7f800001
	s_xor_b32 exec_lo, exec_lo, s16
	s_cbranch_execz .LBB6_6869
.LBB6_8145:                             ;   in Loop: Header=BB6_5548 Depth=3
	v_cmp_ne_u16_sdwa s23, v17, v2 src0_sel:BYTE_0 src1_sel:DWORD
	v_mov_b32_e32 v20, 0
	s_andn2_b32 s22, s22, exec_lo
	s_and_b32 s23, s23, exec_lo
	s_or_b32 s22, s22, s23
	s_or_b32 exec_lo, exec_lo, s16
	s_and_saveexec_b32 s16, s22
	s_cbranch_execnz .LBB6_6870
	s_branch .LBB6_6871
.LBB6_8146:                             ;   in Loop: Header=BB6_5548 Depth=3
	s_or_saveexec_b32 s22, s22
	v_mov_b32_e32 v1, 0x7f800001
	s_xor_b32 exec_lo, exec_lo, s22
	s_cbranch_execz .LBB6_6885
.LBB6_8147:                             ;   in Loop: Header=BB6_5548 Depth=3
	v_cmp_ne_u16_sdwa s23, v21, v2 src0_sel:BYTE_1 src1_sel:DWORD
	v_mov_b32_e32 v1, 0
	s_andn2_b32 s16, s16, exec_lo
	s_and_b32 s23, s23, exec_lo
	s_or_b32 s16, s16, s23
	s_or_b32 exec_lo, exec_lo, s22
	s_and_saveexec_b32 s22, s16
	s_cbranch_execnz .LBB6_6886
	s_branch .LBB6_6887
.LBB6_8148:                             ;   in Loop: Header=BB6_5548 Depth=3
	s_or_saveexec_b32 s22, s22
	v_mov_b32_e32 v31, 0x7f800001
	s_xor_b32 exec_lo, exec_lo, s22
	s_cbranch_execz .LBB6_6891
.LBB6_8149:                             ;   in Loop: Header=BB6_5548 Depth=3
	v_cmp_ne_u16_sdwa s23, v17, v2 src0_sel:BYTE_1 src1_sel:DWORD
	v_mov_b32_e32 v31, 0
	s_andn2_b32 s16, s16, exec_lo
	s_and_b32 s23, s23, exec_lo
	s_or_b32 s16, s16, s23
	s_or_b32 exec_lo, exec_lo, s22
	s_and_saveexec_b32 s22, s16
	s_cbranch_execnz .LBB6_6892
	s_branch .LBB6_6893
.LBB6_8150:                             ;   in Loop: Header=BB6_5548 Depth=3
	s_or_saveexec_b32 s22, s22
	v_mov_b32_e32 v1, 0x7f800001
	s_xor_b32 exec_lo, exec_lo, s22
	s_cbranch_execz .LBB6_6899
.LBB6_8151:                             ;   in Loop: Header=BB6_5548 Depth=3
	v_cmp_ne_u16_sdwa s23, v21, v2 src0_sel:BYTE_1 src1_sel:DWORD
	v_mov_b32_e32 v1, 0
	s_andn2_b32 s16, s16, exec_lo
	s_and_b32 s23, s23, exec_lo
	s_or_b32 s16, s16, s23
	s_or_b32 exec_lo, exec_lo, s22
	s_and_saveexec_b32 s22, s16
	s_cbranch_execnz .LBB6_6900
	s_branch .LBB6_6901
.LBB6_8152:                             ;   in Loop: Header=BB6_5548 Depth=3
	s_or_saveexec_b32 s22, s22
	v_mov_b32_e32 v31, 0x7f800001
	s_xor_b32 exec_lo, exec_lo, s22
	s_cbranch_execz .LBB6_6905
.LBB6_8153:                             ;   in Loop: Header=BB6_5548 Depth=3
	v_cmp_ne_u16_sdwa s23, v17, v2 src0_sel:BYTE_1 src1_sel:DWORD
	v_mov_b32_e32 v31, 0
	s_andn2_b32 s16, s16, exec_lo
	s_and_b32 s23, s23, exec_lo
	s_or_b32 s16, s16, s23
	s_or_b32 exec_lo, exec_lo, s22
	s_and_saveexec_b32 s22, s16
	s_cbranch_execnz .LBB6_6906
	s_branch .LBB6_6907
.LBB6_8154:                             ;   in Loop: Header=BB6_5548 Depth=3
	s_or_saveexec_b32 s16, s16
	v_mov_b32_e32 v31, 0x7f800001
	s_xor_b32 exec_lo, exec_lo, s16
	s_cbranch_execz .LBB6_6921
.LBB6_8155:                             ;   in Loop: Header=BB6_5548 Depth=3
	v_cmp_ne_u16_e32 vcc_lo, 0, v1
	v_mov_b32_e32 v31, 0
	s_andn2_b32 s22, s22, exec_lo
	s_and_b32 s23, vcc_lo, exec_lo
	s_or_b32 s22, s22, s23
	s_or_b32 exec_lo, exec_lo, s16
	s_and_saveexec_b32 s16, s22
	s_cbranch_execnz .LBB6_6922
	s_branch .LBB6_6923
.LBB6_8156:                             ;   in Loop: Header=BB6_5548 Depth=3
	s_or_saveexec_b32 s16, s16
	v_mov_b32_e32 v86, 0x7f800001
	s_xor_b32 exec_lo, exec_lo, s16
	s_cbranch_execz .LBB6_6927
.LBB6_8157:                             ;   in Loop: Header=BB6_5548 Depth=3
	v_cmp_ne_u16_e32 vcc_lo, 0, v87
	v_mov_b32_e32 v86, 0
	s_andn2_b32 s22, s22, exec_lo
	s_and_b32 s23, vcc_lo, exec_lo
	s_or_b32 s22, s22, s23
	s_or_b32 exec_lo, exec_lo, s16
	s_and_saveexec_b32 s16, s22
	s_cbranch_execnz .LBB6_6928
	s_branch .LBB6_6929
.LBB6_8158:                             ;   in Loop: Header=BB6_5548 Depth=3
	s_or_saveexec_b32 s16, s16
	v_mov_b32_e32 v31, 0x7f800001
	s_xor_b32 exec_lo, exec_lo, s16
	s_cbranch_execz .LBB6_6935
.LBB6_8159:                             ;   in Loop: Header=BB6_5548 Depth=3
	v_cmp_ne_u16_e32 vcc_lo, 0, v1
	v_mov_b32_e32 v31, 0
	s_andn2_b32 s22, s22, exec_lo
	s_and_b32 s23, vcc_lo, exec_lo
	s_or_b32 s22, s22, s23
	s_or_b32 exec_lo, exec_lo, s16
	s_and_saveexec_b32 s16, s22
	s_cbranch_execnz .LBB6_6936
	s_branch .LBB6_6937
.LBB6_8160:                             ;   in Loop: Header=BB6_5548 Depth=3
	s_or_saveexec_b32 s16, s16
	v_mov_b32_e32 v1, 0x7f800001
	s_xor_b32 exec_lo, exec_lo, s16
	s_cbranch_execz .LBB6_6941
.LBB6_8161:                             ;   in Loop: Header=BB6_5548 Depth=3
	v_cmp_ne_u16_e32 vcc_lo, 0, v86
	v_mov_b32_e32 v1, 0
	s_andn2_b32 s22, s22, exec_lo
	s_and_b32 s23, vcc_lo, exec_lo
	s_or_b32 s22, s22, s23
	s_or_b32 exec_lo, exec_lo, s16
	s_and_saveexec_b32 s16, s22
	s_cbranch_execnz .LBB6_6942
	s_branch .LBB6_6943
.LBB6_8162:                             ;   in Loop: Header=BB6_5548 Depth=3
	s_or_saveexec_b32 s22, s22
	v_mov_b32_e32 v1, 0x7f800001
	s_xor_b32 exec_lo, exec_lo, s22
	s_cbranch_execz .LBB6_6957
.LBB6_8163:                             ;   in Loop: Header=BB6_5548 Depth=3
	v_cmp_ne_u16_sdwa s23, v21, v2 src0_sel:BYTE_3 src1_sel:DWORD
	v_mov_b32_e32 v1, 0
	s_andn2_b32 s16, s16, exec_lo
	s_and_b32 s23, s23, exec_lo
	s_or_b32 s16, s16, s23
	s_or_b32 exec_lo, exec_lo, s22
	s_and_saveexec_b32 s22, s16
	s_cbranch_execnz .LBB6_6958
	s_branch .LBB6_6959
.LBB6_8164:                             ;   in Loop: Header=BB6_5548 Depth=3
	s_or_saveexec_b32 s22, s22
	v_mov_b32_e32 v31, 0x7f800001
	s_xor_b32 exec_lo, exec_lo, s22
	s_cbranch_execz .LBB6_6963
.LBB6_8165:                             ;   in Loop: Header=BB6_5548 Depth=3
	v_cmp_ne_u16_sdwa s23, v17, v2 src0_sel:BYTE_3 src1_sel:DWORD
	v_mov_b32_e32 v31, 0
	s_andn2_b32 s16, s16, exec_lo
	s_and_b32 s23, s23, exec_lo
	s_or_b32 s16, s16, s23
	s_or_b32 exec_lo, exec_lo, s22
	s_and_saveexec_b32 s22, s16
	s_cbranch_execnz .LBB6_6964
	s_branch .LBB6_6965
.LBB6_8166:                             ;   in Loop: Header=BB6_5548 Depth=3
	s_or_saveexec_b32 s22, s22
	v_mov_b32_e32 v1, 0x7f800001
	s_xor_b32 exec_lo, exec_lo, s22
	s_cbranch_execz .LBB6_6971
.LBB6_8167:                             ;   in Loop: Header=BB6_5548 Depth=3
	v_cmp_ne_u16_sdwa s23, v21, v2 src0_sel:BYTE_3 src1_sel:DWORD
	v_mov_b32_e32 v1, 0
	s_andn2_b32 s16, s16, exec_lo
	s_and_b32 s23, s23, exec_lo
	s_or_b32 s16, s16, s23
	s_or_b32 exec_lo, exec_lo, s22
	s_and_saveexec_b32 s22, s16
	s_cbranch_execnz .LBB6_6972
	s_branch .LBB6_6973
.LBB6_8168:                             ;   in Loop: Header=BB6_5548 Depth=3
	s_or_saveexec_b32 s22, s22
	v_mov_b32_e32 v21, 0x7f800001
	s_xor_b32 exec_lo, exec_lo, s22
	s_cbranch_execz .LBB6_6977
.LBB6_8169:                             ;   in Loop: Header=BB6_5548 Depth=3
	v_cmp_ne_u16_sdwa s23, v17, v2 src0_sel:BYTE_3 src1_sel:DWORD
	v_mov_b32_e32 v21, 0
	s_andn2_b32 s16, s16, exec_lo
	s_and_b32 s23, s23, exec_lo
	s_or_b32 s16, s16, s23
	s_or_b32 exec_lo, exec_lo, s22
	s_and_saveexec_b32 s22, s16
	s_cbranch_execnz .LBB6_6978
	s_branch .LBB6_6979
.LBB6_8170:                             ;   in Loop: Header=BB6_5548 Depth=3
	s_or_saveexec_b32 s16, s16
	v_mov_b32_e32 v1, 0x7f800001
	s_xor_b32 exec_lo, exec_lo, s16
	s_cbranch_execz .LBB6_6993
.LBB6_8171:                             ;   in Loop: Header=BB6_5548 Depth=3
	v_cmp_ne_u16_sdwa s23, v22, v2 src0_sel:BYTE_0 src1_sel:DWORD
	v_mov_b32_e32 v1, 0
	s_andn2_b32 s22, s22, exec_lo
	s_and_b32 s23, s23, exec_lo
	s_or_b32 s22, s22, s23
	s_or_b32 exec_lo, exec_lo, s16
	s_and_saveexec_b32 s16, s22
	s_cbranch_execnz .LBB6_6994
	s_branch .LBB6_6995
.LBB6_8172:                             ;   in Loop: Header=BB6_5548 Depth=3
	s_or_saveexec_b32 s16, s16
	v_mov_b32_e32 v21, 0x7f800001
	s_xor_b32 exec_lo, exec_lo, s16
	s_cbranch_execz .LBB6_6999
.LBB6_8173:                             ;   in Loop: Header=BB6_5548 Depth=3
	v_cmp_ne_u16_sdwa s23, v18, v2 src0_sel:BYTE_0 src1_sel:DWORD
	v_mov_b32_e32 v21, 0
	s_andn2_b32 s22, s22, exec_lo
	s_and_b32 s23, s23, exec_lo
	s_or_b32 s22, s22, s23
	s_or_b32 exec_lo, exec_lo, s16
	s_and_saveexec_b32 s16, s22
	s_cbranch_execnz .LBB6_7000
	s_branch .LBB6_7001
.LBB6_8174:                             ;   in Loop: Header=BB6_5548 Depth=3
	s_or_saveexec_b32 s16, s16
	v_mov_b32_e32 v1, 0x7f800001
	s_xor_b32 exec_lo, exec_lo, s16
	s_cbranch_execz .LBB6_7007
.LBB6_8175:                             ;   in Loop: Header=BB6_5548 Depth=3
	v_cmp_ne_u16_sdwa s23, v22, v2 src0_sel:BYTE_0 src1_sel:DWORD
	v_mov_b32_e32 v1, 0
	s_andn2_b32 s22, s22, exec_lo
	s_and_b32 s23, s23, exec_lo
	s_or_b32 s22, s22, s23
	s_or_b32 exec_lo, exec_lo, s16
	s_and_saveexec_b32 s16, s22
	s_cbranch_execnz .LBB6_7008
	s_branch .LBB6_7009
.LBB6_8176:                             ;   in Loop: Header=BB6_5548 Depth=3
	s_or_saveexec_b32 s16, s16
	v_mov_b32_e32 v21, 0x7f800001
	s_xor_b32 exec_lo, exec_lo, s16
	s_cbranch_execz .LBB6_7013
.LBB6_8177:                             ;   in Loop: Header=BB6_5548 Depth=3
	v_cmp_ne_u16_sdwa s23, v18, v2 src0_sel:BYTE_0 src1_sel:DWORD
	v_mov_b32_e32 v21, 0
	s_andn2_b32 s22, s22, exec_lo
	s_and_b32 s23, s23, exec_lo
	s_or_b32 s22, s22, s23
	s_or_b32 exec_lo, exec_lo, s16
	s_and_saveexec_b32 s16, s22
	s_cbranch_execnz .LBB6_7014
	s_branch .LBB6_7015
.LBB6_8178:                             ;   in Loop: Header=BB6_5548 Depth=3
	s_or_saveexec_b32 s22, s22
	v_mov_b32_e32 v1, 0x7f800001
	s_xor_b32 exec_lo, exec_lo, s22
	s_cbranch_execz .LBB6_7029
.LBB6_8179:                             ;   in Loop: Header=BB6_5548 Depth=3
	v_cmp_ne_u16_sdwa s23, v22, v2 src0_sel:BYTE_1 src1_sel:DWORD
	v_mov_b32_e32 v1, 0
	s_andn2_b32 s16, s16, exec_lo
	s_and_b32 s23, s23, exec_lo
	s_or_b32 s16, s16, s23
	s_or_b32 exec_lo, exec_lo, s22
	s_and_saveexec_b32 s22, s16
	s_cbranch_execnz .LBB6_7030
	s_branch .LBB6_7031
.LBB6_8180:                             ;   in Loop: Header=BB6_5548 Depth=3
	s_or_saveexec_b32 s22, s22
	v_mov_b32_e32 v31, 0x7f800001
	s_xor_b32 exec_lo, exec_lo, s22
	s_cbranch_execz .LBB6_7035
.LBB6_8181:                             ;   in Loop: Header=BB6_5548 Depth=3
	v_cmp_ne_u16_sdwa s23, v18, v2 src0_sel:BYTE_1 src1_sel:DWORD
	v_mov_b32_e32 v31, 0
	s_andn2_b32 s16, s16, exec_lo
	s_and_b32 s23, s23, exec_lo
	s_or_b32 s16, s16, s23
	s_or_b32 exec_lo, exec_lo, s22
	s_and_saveexec_b32 s22, s16
	s_cbranch_execnz .LBB6_7036
	s_branch .LBB6_7037
.LBB6_8182:                             ;   in Loop: Header=BB6_5548 Depth=3
	s_or_saveexec_b32 s22, s22
	v_mov_b32_e32 v1, 0x7f800001
	s_xor_b32 exec_lo, exec_lo, s22
	s_cbranch_execz .LBB6_7043
.LBB6_8183:                             ;   in Loop: Header=BB6_5548 Depth=3
	v_cmp_ne_u16_sdwa s23, v22, v2 src0_sel:BYTE_1 src1_sel:DWORD
	v_mov_b32_e32 v1, 0
	s_andn2_b32 s16, s16, exec_lo
	s_and_b32 s23, s23, exec_lo
	s_or_b32 s16, s16, s23
	s_or_b32 exec_lo, exec_lo, s22
	s_and_saveexec_b32 s22, s16
	s_cbranch_execnz .LBB6_7044
	s_branch .LBB6_7045
.LBB6_8184:                             ;   in Loop: Header=BB6_5548 Depth=3
	s_or_saveexec_b32 s22, s22
	v_mov_b32_e32 v31, 0x7f800001
	s_xor_b32 exec_lo, exec_lo, s22
	s_cbranch_execz .LBB6_7049
.LBB6_8185:                             ;   in Loop: Header=BB6_5548 Depth=3
	v_cmp_ne_u16_sdwa s23, v18, v2 src0_sel:BYTE_1 src1_sel:DWORD
	v_mov_b32_e32 v31, 0
	s_andn2_b32 s16, s16, exec_lo
	s_and_b32 s23, s23, exec_lo
	s_or_b32 s16, s16, s23
	s_or_b32 exec_lo, exec_lo, s22
	s_and_saveexec_b32 s22, s16
	s_cbranch_execnz .LBB6_7050
	s_branch .LBB6_7051
.LBB6_8186:                             ;   in Loop: Header=BB6_5548 Depth=3
	s_or_saveexec_b32 s16, s16
	v_mov_b32_e32 v98, 0x7f800001
	s_xor_b32 exec_lo, exec_lo, s16
	s_cbranch_execz .LBB6_7065
.LBB6_8187:                             ;   in Loop: Header=BB6_5548 Depth=3
	v_cmp_ne_u16_e32 vcc_lo, 0, v1
	v_mov_b32_e32 v98, 0
	s_andn2_b32 s22, s22, exec_lo
	s_and_b32 s23, vcc_lo, exec_lo
	s_or_b32 s22, s22, s23
	s_or_b32 exec_lo, exec_lo, s16
	s_and_saveexec_b32 s16, s22
	s_cbranch_execnz .LBB6_7066
	s_branch .LBB6_7067
.LBB6_8188:                             ;   in Loop: Header=BB6_5548 Depth=3
	s_or_saveexec_b32 s16, s16
	v_mov_b32_e32 v86, 0x7f800001
	s_xor_b32 exec_lo, exec_lo, s16
	s_cbranch_execz .LBB6_7071
.LBB6_8189:                             ;   in Loop: Header=BB6_5548 Depth=3
	v_cmp_ne_u16_e32 vcc_lo, 0, v87
	v_mov_b32_e32 v86, 0
	s_andn2_b32 s22, s22, exec_lo
	s_and_b32 s23, vcc_lo, exec_lo
	s_or_b32 s22, s22, s23
	s_or_b32 exec_lo, exec_lo, s16
	s_and_saveexec_b32 s16, s22
	s_cbranch_execnz .LBB6_7072
	s_branch .LBB6_7073
.LBB6_8190:                             ;   in Loop: Header=BB6_5548 Depth=3
	s_or_saveexec_b32 s16, s16
	v_mov_b32_e32 v98, 0x7f800001
	s_xor_b32 exec_lo, exec_lo, s16
	s_cbranch_execz .LBB6_7079
.LBB6_8191:                             ;   in Loop: Header=BB6_5548 Depth=3
	v_cmp_ne_u16_e32 vcc_lo, 0, v1
	v_mov_b32_e32 v98, 0
	s_andn2_b32 s22, s22, exec_lo
	s_and_b32 s23, vcc_lo, exec_lo
	s_or_b32 s22, s22, s23
	s_or_b32 exec_lo, exec_lo, s16
	s_and_saveexec_b32 s16, s22
	s_cbranch_execnz .LBB6_7080
	s_branch .LBB6_7081
.LBB6_8192:                             ;   in Loop: Header=BB6_5548 Depth=3
	s_or_saveexec_b32 s16, s16
	v_mov_b32_e32 v1, 0x7f800001
	s_xor_b32 exec_lo, exec_lo, s16
	s_cbranch_execz .LBB6_7085
.LBB6_8193:                             ;   in Loop: Header=BB6_5548 Depth=3
	v_cmp_ne_u16_e32 vcc_lo, 0, v86
	v_mov_b32_e32 v1, 0
	s_andn2_b32 s22, s22, exec_lo
	s_and_b32 s23, vcc_lo, exec_lo
	s_or_b32 s22, s22, s23
	s_or_b32 exec_lo, exec_lo, s16
	s_and_saveexec_b32 s16, s22
	s_cbranch_execnz .LBB6_7086
	s_branch .LBB6_7087
.LBB6_8194:                             ;   in Loop: Header=BB6_5548 Depth=3
	s_or_saveexec_b32 s22, s22
	v_mov_b32_e32 v98, 0x7f800001
	s_xor_b32 exec_lo, exec_lo, s22
	s_cbranch_execz .LBB6_7101
.LBB6_8195:                             ;   in Loop: Header=BB6_5548 Depth=3
	v_cmp_ne_u16_sdwa s23, v22, v2 src0_sel:BYTE_3 src1_sel:DWORD
	v_mov_b32_e32 v98, 0
	s_andn2_b32 s16, s16, exec_lo
	s_and_b32 s23, s23, exec_lo
	s_or_b32 s16, s16, s23
	s_or_b32 exec_lo, exec_lo, s22
	s_and_saveexec_b32 s22, s16
	s_cbranch_execnz .LBB6_7102
	s_branch .LBB6_7103
.LBB6_8196:                             ;   in Loop: Header=BB6_5548 Depth=3
	s_or_saveexec_b32 s22, s22
	v_mov_b32_e32 v86, 0x7f800001
	s_xor_b32 exec_lo, exec_lo, s22
	s_cbranch_execz .LBB6_7107
.LBB6_8197:                             ;   in Loop: Header=BB6_5548 Depth=3
	v_cmp_ne_u16_sdwa s23, v18, v2 src0_sel:BYTE_3 src1_sel:DWORD
	v_mov_b32_e32 v86, 0
	s_andn2_b32 s16, s16, exec_lo
	s_and_b32 s23, s23, exec_lo
	s_or_b32 s16, s16, s23
	s_or_b32 exec_lo, exec_lo, s22
	s_and_saveexec_b32 s22, s16
	s_cbranch_execnz .LBB6_7108
	s_branch .LBB6_7109
.LBB6_8198:                             ;   in Loop: Header=BB6_5548 Depth=3
	s_or_saveexec_b32 s22, s22
	v_mov_b32_e32 v98, 0x7f800001
	s_xor_b32 exec_lo, exec_lo, s22
	s_cbranch_execz .LBB6_7115
.LBB6_8199:                             ;   in Loop: Header=BB6_5548 Depth=3
	v_cmp_ne_u16_sdwa s23, v22, v2 src0_sel:BYTE_3 src1_sel:DWORD
	v_mov_b32_e32 v98, 0
	s_andn2_b32 s16, s16, exec_lo
	s_and_b32 s23, s23, exec_lo
	s_or_b32 s16, s16, s23
	s_or_b32 exec_lo, exec_lo, s22
	s_and_saveexec_b32 s22, s16
	s_cbranch_execnz .LBB6_7116
	s_branch .LBB6_7117
.LBB6_8200:                             ;   in Loop: Header=BB6_5548 Depth=3
	s_or_saveexec_b32 s22, s22
	v_mov_b32_e32 v22, 0x7f800001
	s_xor_b32 exec_lo, exec_lo, s22
	s_cbranch_execz .LBB6_7121
.LBB6_8201:                             ;   in Loop: Header=BB6_5548 Depth=3
	v_cmp_ne_u16_sdwa s23, v18, v2 src0_sel:BYTE_3 src1_sel:DWORD
	v_mov_b32_e32 v22, 0
	s_andn2_b32 s16, s16, exec_lo
	s_and_b32 s23, s23, exec_lo
	s_or_b32 s16, s16, s23
	s_or_b32 exec_lo, exec_lo, s22
	s_and_saveexec_b32 s22, s16
	s_cbranch_execnz .LBB6_7122
	s_branch .LBB6_7123
.LBB6_8202:                             ;   in Loop: Header=BB6_5548 Depth=3
	s_or_saveexec_b32 s16, s16
	v_mov_b32_e32 v22, 0x7f800001
	s_xor_b32 exec_lo, exec_lo, s16
	s_cbranch_execz .LBB6_7137
.LBB6_8203:                             ;   in Loop: Header=BB6_5548 Depth=3
	v_cmp_ne_u16_sdwa s23, v23, v2 src0_sel:BYTE_0 src1_sel:DWORD
	v_mov_b32_e32 v22, 0
	s_andn2_b32 s22, s22, exec_lo
	s_and_b32 s23, s23, exec_lo
	s_or_b32 s22, s22, s23
	s_or_b32 exec_lo, exec_lo, s16
	s_and_saveexec_b32 s16, s22
	s_cbranch_execnz .LBB6_7138
	s_branch .LBB6_7139
.LBB6_8204:                             ;   in Loop: Header=BB6_5548 Depth=3
	s_or_saveexec_b32 s16, s16
	v_mov_b32_e32 v86, 0x7f800001
	s_xor_b32 exec_lo, exec_lo, s16
	s_cbranch_execz .LBB6_7143
.LBB6_8205:                             ;   in Loop: Header=BB6_5548 Depth=3
	v_cmp_ne_u16_sdwa s23, v19, v2 src0_sel:BYTE_0 src1_sel:DWORD
	v_mov_b32_e32 v86, 0
	s_andn2_b32 s22, s22, exec_lo
	s_and_b32 s23, s23, exec_lo
	s_or_b32 s22, s22, s23
	s_or_b32 exec_lo, exec_lo, s16
	s_and_saveexec_b32 s16, s22
	s_cbranch_execnz .LBB6_7144
	s_branch .LBB6_7145
.LBB6_8206:                             ;   in Loop: Header=BB6_5548 Depth=3
	s_or_saveexec_b32 s16, s16
	v_mov_b32_e32 v22, 0x7f800001
	s_xor_b32 exec_lo, exec_lo, s16
	s_cbranch_execz .LBB6_7151
.LBB6_8207:                             ;   in Loop: Header=BB6_5548 Depth=3
	v_cmp_ne_u16_sdwa s23, v23, v2 src0_sel:BYTE_0 src1_sel:DWORD
	v_mov_b32_e32 v22, 0
	s_andn2_b32 s22, s22, exec_lo
	s_and_b32 s23, s23, exec_lo
	s_or_b32 s22, s22, s23
	s_or_b32 exec_lo, exec_lo, s16
	s_and_saveexec_b32 s16, s22
	s_cbranch_execnz .LBB6_7152
	s_branch .LBB6_7153
.LBB6_8208:                             ;   in Loop: Header=BB6_5548 Depth=3
	s_or_saveexec_b32 s16, s16
	v_mov_b32_e32 v86, 0x7f800001
	s_xor_b32 exec_lo, exec_lo, s16
	s_cbranch_execz .LBB6_7157
.LBB6_8209:                             ;   in Loop: Header=BB6_5548 Depth=3
	v_cmp_ne_u16_sdwa s23, v19, v2 src0_sel:BYTE_0 src1_sel:DWORD
	v_mov_b32_e32 v86, 0
	s_andn2_b32 s22, s22, exec_lo
	s_and_b32 s23, s23, exec_lo
	s_or_b32 s22, s22, s23
	s_or_b32 exec_lo, exec_lo, s16
	s_and_saveexec_b32 s16, s22
	s_cbranch_execnz .LBB6_7158
	s_branch .LBB6_7159
.LBB6_8210:                             ;   in Loop: Header=BB6_5548 Depth=3
	s_or_saveexec_b32 s22, s22
	v_mov_b32_e32 v98, 0x7f800001
	s_xor_b32 exec_lo, exec_lo, s22
	s_cbranch_execz .LBB6_7173
.LBB6_8211:                             ;   in Loop: Header=BB6_5548 Depth=3
	v_cmp_ne_u16_sdwa s23, v23, v2 src0_sel:BYTE_1 src1_sel:DWORD
	v_mov_b32_e32 v98, 0
	s_andn2_b32 s16, s16, exec_lo
	s_and_b32 s23, s23, exec_lo
	s_or_b32 s16, s16, s23
	s_or_b32 exec_lo, exec_lo, s22
	s_and_saveexec_b32 s22, s16
	s_cbranch_execnz .LBB6_7174
	s_branch .LBB6_7175
.LBB6_8212:                             ;   in Loop: Header=BB6_5548 Depth=3
	s_or_saveexec_b32 s22, s22
	v_mov_b32_e32 v86, 0x7f800001
	s_xor_b32 exec_lo, exec_lo, s22
	s_cbranch_execz .LBB6_7179
.LBB6_8213:                             ;   in Loop: Header=BB6_5548 Depth=3
	v_cmp_ne_u16_sdwa s23, v19, v2 src0_sel:BYTE_1 src1_sel:DWORD
	v_mov_b32_e32 v86, 0
	s_andn2_b32 s16, s16, exec_lo
	s_and_b32 s23, s23, exec_lo
	s_or_b32 s16, s16, s23
	s_or_b32 exec_lo, exec_lo, s22
	s_and_saveexec_b32 s22, s16
	s_cbranch_execnz .LBB6_7180
	s_branch .LBB6_7181
.LBB6_8214:                             ;   in Loop: Header=BB6_5548 Depth=3
	s_or_saveexec_b32 s22, s22
	v_mov_b32_e32 v98, 0x7f800001
	s_xor_b32 exec_lo, exec_lo, s22
	s_cbranch_execz .LBB6_7187
.LBB6_8215:                             ;   in Loop: Header=BB6_5548 Depth=3
	v_cmp_ne_u16_sdwa s23, v23, v2 src0_sel:BYTE_1 src1_sel:DWORD
	v_mov_b32_e32 v98, 0
	s_andn2_b32 s16, s16, exec_lo
	s_and_b32 s23, s23, exec_lo
	s_or_b32 s16, s16, s23
	s_or_b32 exec_lo, exec_lo, s22
	s_and_saveexec_b32 s22, s16
	s_cbranch_execnz .LBB6_7188
	s_branch .LBB6_7189
.LBB6_8216:                             ;   in Loop: Header=BB6_5548 Depth=3
	s_or_saveexec_b32 s22, s22
	v_mov_b32_e32 v86, 0x7f800001
	s_xor_b32 exec_lo, exec_lo, s22
	s_cbranch_execz .LBB6_7193
.LBB6_8217:                             ;   in Loop: Header=BB6_5548 Depth=3
	v_cmp_ne_u16_sdwa s23, v19, v2 src0_sel:BYTE_1 src1_sel:DWORD
	v_mov_b32_e32 v86, 0
	s_andn2_b32 s16, s16, exec_lo
	s_and_b32 s23, s23, exec_lo
	s_or_b32 s16, s16, s23
	s_or_b32 exec_lo, exec_lo, s22
	s_and_saveexec_b32 s22, s16
	s_cbranch_execnz .LBB6_7194
	s_branch .LBB6_7195
.LBB6_8218:                             ;   in Loop: Header=BB6_5548 Depth=3
	s_or_saveexec_b32 s16, s16
	v_mov_b32_e32 v99, 0x7f800001
	s_xor_b32 exec_lo, exec_lo, s16
	s_cbranch_execz .LBB6_7209
.LBB6_8219:                             ;   in Loop: Header=BB6_5548 Depth=3
	v_cmp_ne_u16_e32 vcc_lo, 0, v98
	v_mov_b32_e32 v99, 0
	s_andn2_b32 s22, s22, exec_lo
	s_and_b32 s23, vcc_lo, exec_lo
	s_or_b32 s22, s22, s23
	s_or_b32 exec_lo, exec_lo, s16
	s_and_saveexec_b32 s16, s22
	s_cbranch_execnz .LBB6_7210
	s_branch .LBB6_7211
.LBB6_8220:                             ;   in Loop: Header=BB6_5548 Depth=3
	s_or_saveexec_b32 s16, s16
	v_mov_b32_e32 v86, 0x7f800001
	s_xor_b32 exec_lo, exec_lo, s16
	s_cbranch_execz .LBB6_7215
.LBB6_8221:                             ;   in Loop: Header=BB6_5548 Depth=3
	v_cmp_ne_u16_e32 vcc_lo, 0, v87
	v_mov_b32_e32 v86, 0
	s_andn2_b32 s22, s22, exec_lo
	s_and_b32 s23, vcc_lo, exec_lo
	s_or_b32 s22, s22, s23
	s_or_b32 exec_lo, exec_lo, s16
	s_and_saveexec_b32 s16, s22
	s_cbranch_execnz .LBB6_7216
	s_branch .LBB6_7217
.LBB6_8222:                             ;   in Loop: Header=BB6_5548 Depth=3
	s_or_saveexec_b32 s16, s16
	v_mov_b32_e32 v99, 0x7f800001
	s_xor_b32 exec_lo, exec_lo, s16
	s_cbranch_execz .LBB6_7223
.LBB6_8223:                             ;   in Loop: Header=BB6_5548 Depth=3
	v_cmp_ne_u16_e32 vcc_lo, 0, v98
	v_mov_b32_e32 v99, 0
	s_andn2_b32 s22, s22, exec_lo
	s_and_b32 s23, vcc_lo, exec_lo
	s_or_b32 s22, s22, s23
	s_or_b32 exec_lo, exec_lo, s16
	s_and_saveexec_b32 s16, s22
	s_cbranch_execnz .LBB6_7224
	s_branch .LBB6_7225
.LBB6_8224:                             ;   in Loop: Header=BB6_5548 Depth=3
	s_or_saveexec_b32 s16, s16
	v_mov_b32_e32 v86, 0x7f800001
	s_xor_b32 exec_lo, exec_lo, s16
	s_cbranch_execz .LBB6_7229
.LBB6_8225:                             ;   in Loop: Header=BB6_5548 Depth=3
	v_cmp_ne_u16_e32 vcc_lo, 0, v87
	v_mov_b32_e32 v86, 0
	s_andn2_b32 s22, s22, exec_lo
	s_and_b32 s23, vcc_lo, exec_lo
	s_or_b32 s22, s22, s23
	s_or_b32 exec_lo, exec_lo, s16
	s_and_saveexec_b32 s16, s22
	s_cbranch_execnz .LBB6_7230
	s_branch .LBB6_7231
.LBB6_8226:                             ;   in Loop: Header=BB6_5548 Depth=3
	s_or_saveexec_b32 s22, s22
	v_mov_b32_e32 v98, 0x7f800001
	s_xor_b32 exec_lo, exec_lo, s22
	s_cbranch_execz .LBB6_7245
.LBB6_8227:                             ;   in Loop: Header=BB6_5548 Depth=3
	v_cmp_ne_u16_sdwa s23, v23, v2 src0_sel:BYTE_3 src1_sel:DWORD
	v_mov_b32_e32 v98, 0
	s_andn2_b32 s16, s16, exec_lo
	s_and_b32 s23, s23, exec_lo
	s_or_b32 s16, s16, s23
	s_or_b32 exec_lo, exec_lo, s22
	s_and_saveexec_b32 s22, s16
	s_cbranch_execnz .LBB6_7246
	s_branch .LBB6_7247
.LBB6_8228:                             ;   in Loop: Header=BB6_5548 Depth=3
	s_or_saveexec_b32 s22, s22
	v_mov_b32_e32 v86, 0x7f800001
	s_xor_b32 exec_lo, exec_lo, s22
	s_cbranch_execz .LBB6_7251
.LBB6_8229:                             ;   in Loop: Header=BB6_5548 Depth=3
	v_cmp_ne_u16_sdwa s23, v19, v2 src0_sel:BYTE_3 src1_sel:DWORD
	v_mov_b32_e32 v86, 0
	s_andn2_b32 s16, s16, exec_lo
	s_and_b32 s23, s23, exec_lo
	s_or_b32 s16, s16, s23
	s_or_b32 exec_lo, exec_lo, s22
	s_and_saveexec_b32 s22, s16
	s_cbranch_execnz .LBB6_7252
	s_branch .LBB6_7253
.LBB6_8230:                             ;   in Loop: Header=BB6_5548 Depth=3
	s_or_saveexec_b32 s22, s22
	v_mov_b32_e32 v98, 0x7f800001
	s_xor_b32 exec_lo, exec_lo, s22
	s_cbranch_execz .LBB6_7259
.LBB6_8231:                             ;   in Loop: Header=BB6_5548 Depth=3
	v_cmp_ne_u16_sdwa s23, v23, v2 src0_sel:BYTE_3 src1_sel:DWORD
	v_mov_b32_e32 v98, 0
	s_andn2_b32 s16, s16, exec_lo
	s_and_b32 s23, s23, exec_lo
	s_or_b32 s16, s16, s23
	s_or_b32 exec_lo, exec_lo, s22
	s_and_saveexec_b32 s22, s16
	s_cbranch_execnz .LBB6_7260
	s_branch .LBB6_7261
.LBB6_8232:                             ;   in Loop: Header=BB6_5548 Depth=3
	s_or_saveexec_b32 s22, s22
	v_mov_b32_e32 v23, 0x7f800001
	s_xor_b32 exec_lo, exec_lo, s22
	s_cbranch_execz .LBB6_7265
.LBB6_8233:                             ;   in Loop: Header=BB6_5548 Depth=3
	v_cmp_ne_u16_sdwa s23, v19, v2 src0_sel:BYTE_3 src1_sel:DWORD
	v_mov_b32_e32 v23, 0
	s_andn2_b32 s16, s16, exec_lo
	s_and_b32 s23, s23, exec_lo
	s_or_b32 s16, s16, s23
	s_or_b32 exec_lo, exec_lo, s22
	s_and_saveexec_b32 s22, s16
	s_cbranch_execnz .LBB6_7266
	s_branch .LBB6_7267
.LBB6_8234:                             ;   in Loop: Header=BB6_5548 Depth=3
	s_or_saveexec_b32 s16, s16
	v_mov_b32_e32 v23, 0x7f800001
	s_xor_b32 exec_lo, exec_lo, s16
	s_cbranch_execz .LBB6_7281
.LBB6_8235:                             ;   in Loop: Header=BB6_5548 Depth=3
	v_cmp_ne_u16_sdwa s23, v12, v2 src0_sel:BYTE_0 src1_sel:DWORD
	v_mov_b32_e32 v23, 0
	s_andn2_b32 s22, s22, exec_lo
	s_and_b32 s23, s23, exec_lo
	s_or_b32 s22, s22, s23
	s_or_b32 exec_lo, exec_lo, s16
	s_and_saveexec_b32 s16, s22
	s_cbranch_execnz .LBB6_7282
	s_branch .LBB6_7283
.LBB6_8236:                             ;   in Loop: Header=BB6_5548 Depth=3
	s_or_saveexec_b32 s16, s16
	v_mov_b32_e32 v86, 0x7f800001
	s_xor_b32 exec_lo, exec_lo, s16
	s_cbranch_execz .LBB6_7287
.LBB6_8237:                             ;   in Loop: Header=BB6_5548 Depth=3
	v_cmp_ne_u16_sdwa s23, v8, v2 src0_sel:BYTE_0 src1_sel:DWORD
	v_mov_b32_e32 v86, 0
	s_andn2_b32 s22, s22, exec_lo
	s_and_b32 s23, s23, exec_lo
	s_or_b32 s22, s22, s23
	s_or_b32 exec_lo, exec_lo, s16
	s_and_saveexec_b32 s16, s22
	s_cbranch_execnz .LBB6_7288
	s_branch .LBB6_7289
.LBB6_8238:                             ;   in Loop: Header=BB6_5548 Depth=3
	s_or_saveexec_b32 s16, s16
	v_mov_b32_e32 v23, 0x7f800001
	s_xor_b32 exec_lo, exec_lo, s16
	s_cbranch_execz .LBB6_7295
.LBB6_8239:                             ;   in Loop: Header=BB6_5548 Depth=3
	v_cmp_ne_u16_sdwa s23, v12, v2 src0_sel:BYTE_0 src1_sel:DWORD
	v_mov_b32_e32 v23, 0
	s_andn2_b32 s22, s22, exec_lo
	s_and_b32 s23, s23, exec_lo
	s_or_b32 s22, s22, s23
	s_or_b32 exec_lo, exec_lo, s16
	s_and_saveexec_b32 s16, s22
	s_cbranch_execnz .LBB6_7296
	s_branch .LBB6_7297
.LBB6_8240:                             ;   in Loop: Header=BB6_5548 Depth=3
	s_or_saveexec_b32 s16, s16
	v_mov_b32_e32 v86, 0x7f800001
	s_xor_b32 exec_lo, exec_lo, s16
	s_cbranch_execz .LBB6_7301
.LBB6_8241:                             ;   in Loop: Header=BB6_5548 Depth=3
	v_cmp_ne_u16_sdwa s23, v8, v2 src0_sel:BYTE_0 src1_sel:DWORD
	v_mov_b32_e32 v86, 0
	s_andn2_b32 s22, s22, exec_lo
	s_and_b32 s23, s23, exec_lo
	s_or_b32 s22, s22, s23
	s_or_b32 exec_lo, exec_lo, s16
	s_and_saveexec_b32 s16, s22
	s_cbranch_execnz .LBB6_7302
	s_branch .LBB6_7303
.LBB6_8242:                             ;   in Loop: Header=BB6_5548 Depth=3
	s_or_saveexec_b32 s22, s22
	v_mov_b32_e32 v98, 0x7f800001
	s_xor_b32 exec_lo, exec_lo, s22
	s_cbranch_execz .LBB6_7317
.LBB6_8243:                             ;   in Loop: Header=BB6_5548 Depth=3
	v_cmp_ne_u16_sdwa s23, v12, v2 src0_sel:BYTE_1 src1_sel:DWORD
	v_mov_b32_e32 v98, 0
	s_andn2_b32 s16, s16, exec_lo
	s_and_b32 s23, s23, exec_lo
	s_or_b32 s16, s16, s23
	s_or_b32 exec_lo, exec_lo, s22
	s_and_saveexec_b32 s22, s16
	s_cbranch_execnz .LBB6_7318
	s_branch .LBB6_7319
.LBB6_8244:                             ;   in Loop: Header=BB6_5548 Depth=3
	s_or_saveexec_b32 s22, s22
	v_mov_b32_e32 v86, 0x7f800001
	s_xor_b32 exec_lo, exec_lo, s22
	s_cbranch_execz .LBB6_7323
.LBB6_8245:                             ;   in Loop: Header=BB6_5548 Depth=3
	v_cmp_ne_u16_sdwa s23, v8, v2 src0_sel:BYTE_1 src1_sel:DWORD
	v_mov_b32_e32 v86, 0
	s_andn2_b32 s16, s16, exec_lo
	s_and_b32 s23, s23, exec_lo
	s_or_b32 s16, s16, s23
	s_or_b32 exec_lo, exec_lo, s22
	s_and_saveexec_b32 s22, s16
	s_cbranch_execnz .LBB6_7324
	s_branch .LBB6_7325
.LBB6_8246:                             ;   in Loop: Header=BB6_5548 Depth=3
	s_or_saveexec_b32 s22, s22
	v_mov_b32_e32 v98, 0x7f800001
	s_xor_b32 exec_lo, exec_lo, s22
	s_cbranch_execz .LBB6_7331
.LBB6_8247:                             ;   in Loop: Header=BB6_5548 Depth=3
	v_cmp_ne_u16_sdwa s23, v12, v2 src0_sel:BYTE_1 src1_sel:DWORD
	v_mov_b32_e32 v98, 0
	s_andn2_b32 s16, s16, exec_lo
	s_and_b32 s23, s23, exec_lo
	s_or_b32 s16, s16, s23
	s_or_b32 exec_lo, exec_lo, s22
	s_and_saveexec_b32 s22, s16
	s_cbranch_execnz .LBB6_7332
	s_branch .LBB6_7333
.LBB6_8248:                             ;   in Loop: Header=BB6_5548 Depth=3
	s_or_saveexec_b32 s22, s22
	v_mov_b32_e32 v86, 0x7f800001
	s_xor_b32 exec_lo, exec_lo, s22
	s_cbranch_execz .LBB6_7337
.LBB6_8249:                             ;   in Loop: Header=BB6_5548 Depth=3
	v_cmp_ne_u16_sdwa s23, v8, v2 src0_sel:BYTE_1 src1_sel:DWORD
	v_mov_b32_e32 v86, 0
	s_andn2_b32 s16, s16, exec_lo
	s_and_b32 s23, s23, exec_lo
	s_or_b32 s16, s16, s23
	s_or_b32 exec_lo, exec_lo, s22
	s_and_saveexec_b32 s22, s16
	s_cbranch_execnz .LBB6_7338
	s_branch .LBB6_7339
.LBB6_8250:                             ;   in Loop: Header=BB6_5548 Depth=3
	s_or_saveexec_b32 s16, s16
	v_mov_b32_e32 v99, 0x7f800001
	s_xor_b32 exec_lo, exec_lo, s16
	s_cbranch_execz .LBB6_7353
.LBB6_8251:                             ;   in Loop: Header=BB6_5548 Depth=3
	v_cmp_ne_u16_e32 vcc_lo, 0, v98
	v_mov_b32_e32 v99, 0
	s_andn2_b32 s22, s22, exec_lo
	s_and_b32 s23, vcc_lo, exec_lo
	s_or_b32 s22, s22, s23
	s_or_b32 exec_lo, exec_lo, s16
	s_and_saveexec_b32 s16, s22
	s_cbranch_execnz .LBB6_7354
	s_branch .LBB6_7355
.LBB6_8252:                             ;   in Loop: Header=BB6_5548 Depth=3
	s_or_saveexec_b32 s16, s16
	v_mov_b32_e32 v86, 0x7f800001
	s_xor_b32 exec_lo, exec_lo, s16
	s_cbranch_execz .LBB6_7359
.LBB6_8253:                             ;   in Loop: Header=BB6_5548 Depth=3
	v_cmp_ne_u16_e32 vcc_lo, 0, v87
	v_mov_b32_e32 v86, 0
	s_andn2_b32 s22, s22, exec_lo
	s_and_b32 s23, vcc_lo, exec_lo
	s_or_b32 s22, s22, s23
	s_or_b32 exec_lo, exec_lo, s16
	s_and_saveexec_b32 s16, s22
	s_cbranch_execnz .LBB6_7360
	s_branch .LBB6_7361
.LBB6_8254:                             ;   in Loop: Header=BB6_5548 Depth=3
	s_or_saveexec_b32 s16, s16
	v_mov_b32_e32 v99, 0x7f800001
	s_xor_b32 exec_lo, exec_lo, s16
	s_cbranch_execz .LBB6_7367
.LBB6_8255:                             ;   in Loop: Header=BB6_5548 Depth=3
	v_cmp_ne_u16_e32 vcc_lo, 0, v98
	v_mov_b32_e32 v99, 0
	s_andn2_b32 s22, s22, exec_lo
	s_and_b32 s23, vcc_lo, exec_lo
	s_or_b32 s22, s22, s23
	s_or_b32 exec_lo, exec_lo, s16
	s_and_saveexec_b32 s16, s22
	s_cbranch_execnz .LBB6_7368
	s_branch .LBB6_7369
.LBB6_8256:                             ;   in Loop: Header=BB6_5548 Depth=3
	s_or_saveexec_b32 s16, s16
	v_mov_b32_e32 v86, 0x7f800001
	s_xor_b32 exec_lo, exec_lo, s16
	s_cbranch_execz .LBB6_7373
.LBB6_8257:                             ;   in Loop: Header=BB6_5548 Depth=3
	v_cmp_ne_u16_e32 vcc_lo, 0, v87
	v_mov_b32_e32 v86, 0
	s_andn2_b32 s22, s22, exec_lo
	s_and_b32 s23, vcc_lo, exec_lo
	s_or_b32 s22, s22, s23
	s_or_b32 exec_lo, exec_lo, s16
	s_and_saveexec_b32 s16, s22
	s_cbranch_execnz .LBB6_7374
	s_branch .LBB6_7375
.LBB6_8258:                             ;   in Loop: Header=BB6_5548 Depth=3
	s_or_saveexec_b32 s22, s22
	v_mov_b32_e32 v98, 0x7f800001
	s_xor_b32 exec_lo, exec_lo, s22
	s_cbranch_execz .LBB6_7389
.LBB6_8259:                             ;   in Loop: Header=BB6_5548 Depth=3
	v_cmp_ne_u16_sdwa s23, v12, v2 src0_sel:BYTE_3 src1_sel:DWORD
	v_mov_b32_e32 v98, 0
	s_andn2_b32 s16, s16, exec_lo
	s_and_b32 s23, s23, exec_lo
	s_or_b32 s16, s16, s23
	s_or_b32 exec_lo, exec_lo, s22
	s_and_saveexec_b32 s22, s16
	s_cbranch_execnz .LBB6_7390
	s_branch .LBB6_7391
.LBB6_8260:                             ;   in Loop: Header=BB6_5548 Depth=3
	s_or_saveexec_b32 s22, s22
	v_mov_b32_e32 v86, 0x7f800001
	s_xor_b32 exec_lo, exec_lo, s22
	s_cbranch_execz .LBB6_7395
.LBB6_8261:                             ;   in Loop: Header=BB6_5548 Depth=3
	v_cmp_ne_u16_sdwa s23, v8, v2 src0_sel:BYTE_3 src1_sel:DWORD
	v_mov_b32_e32 v86, 0
	s_andn2_b32 s16, s16, exec_lo
	s_and_b32 s23, s23, exec_lo
	s_or_b32 s16, s16, s23
	s_or_b32 exec_lo, exec_lo, s22
	s_and_saveexec_b32 s22, s16
	s_cbranch_execnz .LBB6_7396
	s_branch .LBB6_7397
.LBB6_8262:                             ;   in Loop: Header=BB6_5548 Depth=3
	s_or_saveexec_b32 s22, s22
	v_mov_b32_e32 v98, 0x7f800001
	s_xor_b32 exec_lo, exec_lo, s22
	s_cbranch_execz .LBB6_7403
.LBB6_8263:                             ;   in Loop: Header=BB6_5548 Depth=3
	v_cmp_ne_u16_sdwa s23, v12, v2 src0_sel:BYTE_3 src1_sel:DWORD
	v_mov_b32_e32 v98, 0
	s_andn2_b32 s16, s16, exec_lo
	s_and_b32 s23, s23, exec_lo
	s_or_b32 s16, s16, s23
	s_or_b32 exec_lo, exec_lo, s22
	s_and_saveexec_b32 s22, s16
	s_cbranch_execnz .LBB6_7404
	s_branch .LBB6_7405
.LBB6_8264:                             ;   in Loop: Header=BB6_5548 Depth=3
	s_or_saveexec_b32 s22, s22
	v_mov_b32_e32 v12, 0x7f800001
	s_xor_b32 exec_lo, exec_lo, s22
	s_cbranch_execz .LBB6_7409
.LBB6_8265:                             ;   in Loop: Header=BB6_5548 Depth=3
	v_cmp_ne_u16_sdwa s23, v8, v2 src0_sel:BYTE_3 src1_sel:DWORD
	v_mov_b32_e32 v12, 0
	s_andn2_b32 s16, s16, exec_lo
	s_and_b32 s23, s23, exec_lo
	s_or_b32 s16, s16, s23
	s_or_b32 exec_lo, exec_lo, s22
	s_and_saveexec_b32 s22, s16
	s_cbranch_execnz .LBB6_7410
	s_branch .LBB6_7411
.LBB6_8266:                             ;   in Loop: Header=BB6_5548 Depth=3
	s_or_saveexec_b32 s16, s16
	v_mov_b32_e32 v12, 0x7f800001
	s_xor_b32 exec_lo, exec_lo, s16
	s_cbranch_execz .LBB6_7425
.LBB6_8267:                             ;   in Loop: Header=BB6_5548 Depth=3
	v_cmp_ne_u16_sdwa s23, v13, v2 src0_sel:BYTE_0 src1_sel:DWORD
	v_mov_b32_e32 v12, 0
	s_andn2_b32 s22, s22, exec_lo
	s_and_b32 s23, s23, exec_lo
	s_or_b32 s22, s22, s23
	s_or_b32 exec_lo, exec_lo, s16
	s_and_saveexec_b32 s16, s22
	s_cbranch_execnz .LBB6_7426
	s_branch .LBB6_7427
.LBB6_8268:                             ;   in Loop: Header=BB6_5548 Depth=3
	s_or_saveexec_b32 s16, s16
	v_mov_b32_e32 v86, 0x7f800001
	s_xor_b32 exec_lo, exec_lo, s16
	s_cbranch_execz .LBB6_7431
.LBB6_8269:                             ;   in Loop: Header=BB6_5548 Depth=3
	v_cmp_ne_u16_sdwa s23, v9, v2 src0_sel:BYTE_0 src1_sel:DWORD
	v_mov_b32_e32 v86, 0
	s_andn2_b32 s22, s22, exec_lo
	s_and_b32 s23, s23, exec_lo
	s_or_b32 s22, s22, s23
	s_or_b32 exec_lo, exec_lo, s16
	s_and_saveexec_b32 s16, s22
	s_cbranch_execnz .LBB6_7432
	s_branch .LBB6_7433
.LBB6_8270:                             ;   in Loop: Header=BB6_5548 Depth=3
	s_or_saveexec_b32 s16, s16
	v_mov_b32_e32 v12, 0x7f800001
	s_xor_b32 exec_lo, exec_lo, s16
	s_cbranch_execz .LBB6_7439
.LBB6_8271:                             ;   in Loop: Header=BB6_5548 Depth=3
	v_cmp_ne_u16_sdwa s23, v13, v2 src0_sel:BYTE_0 src1_sel:DWORD
	v_mov_b32_e32 v12, 0
	s_andn2_b32 s22, s22, exec_lo
	s_and_b32 s23, s23, exec_lo
	s_or_b32 s22, s22, s23
	s_or_b32 exec_lo, exec_lo, s16
	s_and_saveexec_b32 s16, s22
	s_cbranch_execnz .LBB6_7440
	s_branch .LBB6_7441
.LBB6_8272:                             ;   in Loop: Header=BB6_5548 Depth=3
	s_or_saveexec_b32 s16, s16
	v_mov_b32_e32 v86, 0x7f800001
	s_xor_b32 exec_lo, exec_lo, s16
	s_cbranch_execz .LBB6_7445
.LBB6_8273:                             ;   in Loop: Header=BB6_5548 Depth=3
	v_cmp_ne_u16_sdwa s23, v9, v2 src0_sel:BYTE_0 src1_sel:DWORD
	v_mov_b32_e32 v86, 0
	s_andn2_b32 s22, s22, exec_lo
	s_and_b32 s23, s23, exec_lo
	s_or_b32 s22, s22, s23
	s_or_b32 exec_lo, exec_lo, s16
	s_and_saveexec_b32 s16, s22
	s_cbranch_execnz .LBB6_7446
	s_branch .LBB6_7447
.LBB6_8274:                             ;   in Loop: Header=BB6_5548 Depth=3
	s_or_saveexec_b32 s22, s22
	v_mov_b32_e32 v98, 0x7f800001
	s_xor_b32 exec_lo, exec_lo, s22
	s_cbranch_execz .LBB6_7461
.LBB6_8275:                             ;   in Loop: Header=BB6_5548 Depth=3
	v_cmp_ne_u16_sdwa s23, v13, v2 src0_sel:BYTE_1 src1_sel:DWORD
	v_mov_b32_e32 v98, 0
	s_andn2_b32 s16, s16, exec_lo
	s_and_b32 s23, s23, exec_lo
	s_or_b32 s16, s16, s23
	s_or_b32 exec_lo, exec_lo, s22
	s_and_saveexec_b32 s22, s16
	s_cbranch_execnz .LBB6_7462
	s_branch .LBB6_7463
.LBB6_8276:                             ;   in Loop: Header=BB6_5548 Depth=3
	s_or_saveexec_b32 s22, s22
	v_mov_b32_e32 v86, 0x7f800001
	s_xor_b32 exec_lo, exec_lo, s22
	s_cbranch_execz .LBB6_7467
.LBB6_8277:                             ;   in Loop: Header=BB6_5548 Depth=3
	v_cmp_ne_u16_sdwa s23, v9, v2 src0_sel:BYTE_1 src1_sel:DWORD
	v_mov_b32_e32 v86, 0
	s_andn2_b32 s16, s16, exec_lo
	s_and_b32 s23, s23, exec_lo
	s_or_b32 s16, s16, s23
	s_or_b32 exec_lo, exec_lo, s22
	s_and_saveexec_b32 s22, s16
	s_cbranch_execnz .LBB6_7468
	s_branch .LBB6_7469
.LBB6_8278:                             ;   in Loop: Header=BB6_5548 Depth=3
	s_or_saveexec_b32 s22, s22
	v_mov_b32_e32 v98, 0x7f800001
	s_xor_b32 exec_lo, exec_lo, s22
	s_cbranch_execz .LBB6_7475
.LBB6_8279:                             ;   in Loop: Header=BB6_5548 Depth=3
	v_cmp_ne_u16_sdwa s23, v13, v2 src0_sel:BYTE_1 src1_sel:DWORD
	v_mov_b32_e32 v98, 0
	s_andn2_b32 s16, s16, exec_lo
	s_and_b32 s23, s23, exec_lo
	s_or_b32 s16, s16, s23
	s_or_b32 exec_lo, exec_lo, s22
	s_and_saveexec_b32 s22, s16
	s_cbranch_execnz .LBB6_7476
	s_branch .LBB6_7477
.LBB6_8280:                             ;   in Loop: Header=BB6_5548 Depth=3
	s_or_saveexec_b32 s22, s22
	v_mov_b32_e32 v86, 0x7f800001
	s_xor_b32 exec_lo, exec_lo, s22
	s_cbranch_execz .LBB6_7481
.LBB6_8281:                             ;   in Loop: Header=BB6_5548 Depth=3
	v_cmp_ne_u16_sdwa s23, v9, v2 src0_sel:BYTE_1 src1_sel:DWORD
	v_mov_b32_e32 v86, 0
	s_andn2_b32 s16, s16, exec_lo
	s_and_b32 s23, s23, exec_lo
	s_or_b32 s16, s16, s23
	s_or_b32 exec_lo, exec_lo, s22
	s_and_saveexec_b32 s22, s16
	s_cbranch_execnz .LBB6_7482
	s_branch .LBB6_7483
.LBB6_8282:                             ;   in Loop: Header=BB6_5548 Depth=3
	s_or_saveexec_b32 s16, s16
	v_mov_b32_e32 v99, 0x7f800001
	s_xor_b32 exec_lo, exec_lo, s16
	s_cbranch_execz .LBB6_7497
.LBB6_8283:                             ;   in Loop: Header=BB6_5548 Depth=3
	v_cmp_ne_u16_e32 vcc_lo, 0, v98
	v_mov_b32_e32 v99, 0
	s_andn2_b32 s22, s22, exec_lo
	s_and_b32 s23, vcc_lo, exec_lo
	s_or_b32 s22, s22, s23
	s_or_b32 exec_lo, exec_lo, s16
	s_and_saveexec_b32 s16, s22
	s_cbranch_execnz .LBB6_7498
	s_branch .LBB6_7499
.LBB6_8284:                             ;   in Loop: Header=BB6_5548 Depth=3
	s_or_saveexec_b32 s16, s16
	v_mov_b32_e32 v86, 0x7f800001
	s_xor_b32 exec_lo, exec_lo, s16
	s_cbranch_execz .LBB6_7503
.LBB6_8285:                             ;   in Loop: Header=BB6_5548 Depth=3
	v_cmp_ne_u16_e32 vcc_lo, 0, v87
	v_mov_b32_e32 v86, 0
	s_andn2_b32 s22, s22, exec_lo
	s_and_b32 s23, vcc_lo, exec_lo
	s_or_b32 s22, s22, s23
	s_or_b32 exec_lo, exec_lo, s16
	s_and_saveexec_b32 s16, s22
	s_cbranch_execnz .LBB6_7504
	s_branch .LBB6_7505
.LBB6_8286:                             ;   in Loop: Header=BB6_5548 Depth=3
	s_or_saveexec_b32 s16, s16
	v_mov_b32_e32 v99, 0x7f800001
	s_xor_b32 exec_lo, exec_lo, s16
	s_cbranch_execz .LBB6_7511
.LBB6_8287:                             ;   in Loop: Header=BB6_5548 Depth=3
	v_cmp_ne_u16_e32 vcc_lo, 0, v98
	v_mov_b32_e32 v99, 0
	s_andn2_b32 s22, s22, exec_lo
	s_and_b32 s23, vcc_lo, exec_lo
	s_or_b32 s22, s22, s23
	s_or_b32 exec_lo, exec_lo, s16
	s_and_saveexec_b32 s16, s22
	s_cbranch_execnz .LBB6_7512
	s_branch .LBB6_7513
.LBB6_8288:                             ;   in Loop: Header=BB6_5548 Depth=3
	s_or_saveexec_b32 s16, s16
	v_mov_b32_e32 v86, 0x7f800001
	s_xor_b32 exec_lo, exec_lo, s16
	s_cbranch_execz .LBB6_7517
.LBB6_8289:                             ;   in Loop: Header=BB6_5548 Depth=3
	v_cmp_ne_u16_e32 vcc_lo, 0, v87
	v_mov_b32_e32 v86, 0
	s_andn2_b32 s22, s22, exec_lo
	s_and_b32 s23, vcc_lo, exec_lo
	s_or_b32 s22, s22, s23
	s_or_b32 exec_lo, exec_lo, s16
	s_and_saveexec_b32 s16, s22
	s_cbranch_execnz .LBB6_7518
	s_branch .LBB6_7519
.LBB6_8290:                             ;   in Loop: Header=BB6_5548 Depth=3
	s_or_saveexec_b32 s22, s22
	v_mov_b32_e32 v99, 0x7f800001
	s_xor_b32 exec_lo, exec_lo, s22
	s_cbranch_execz .LBB6_7533
.LBB6_8291:                             ;   in Loop: Header=BB6_5548 Depth=3
	v_cmp_ne_u16_sdwa s23, v13, v2 src0_sel:BYTE_3 src1_sel:DWORD
	v_mov_b32_e32 v99, 0
	s_andn2_b32 s16, s16, exec_lo
	s_and_b32 s23, s23, exec_lo
	s_or_b32 s16, s16, s23
	s_or_b32 exec_lo, exec_lo, s22
	s_and_saveexec_b32 s22, s16
	s_cbranch_execnz .LBB6_7534
	s_branch .LBB6_7535
.LBB6_8292:                             ;   in Loop: Header=BB6_5548 Depth=3
	s_or_saveexec_b32 s22, s22
	v_mov_b32_e32 v86, 0x7f800001
	s_xor_b32 exec_lo, exec_lo, s22
	s_cbranch_execz .LBB6_7539
.LBB6_8293:                             ;   in Loop: Header=BB6_5548 Depth=3
	v_cmp_ne_u16_sdwa s23, v9, v2 src0_sel:BYTE_3 src1_sel:DWORD
	v_mov_b32_e32 v86, 0
	s_andn2_b32 s16, s16, exec_lo
	s_and_b32 s23, s23, exec_lo
	s_or_b32 s16, s16, s23
	s_or_b32 exec_lo, exec_lo, s22
	s_and_saveexec_b32 s22, s16
	s_cbranch_execnz .LBB6_7540
	s_branch .LBB6_7541
.LBB6_8294:                             ;   in Loop: Header=BB6_5548 Depth=3
	s_or_saveexec_b32 s22, s22
	v_mov_b32_e32 v99, 0x7f800001
	s_xor_b32 exec_lo, exec_lo, s22
	s_cbranch_execz .LBB6_7547
.LBB6_8295:                             ;   in Loop: Header=BB6_5548 Depth=3
	v_cmp_ne_u16_sdwa s23, v13, v2 src0_sel:BYTE_3 src1_sel:DWORD
	v_mov_b32_e32 v99, 0
	s_andn2_b32 s16, s16, exec_lo
	s_and_b32 s23, s23, exec_lo
	s_or_b32 s16, s16, s23
	s_or_b32 exec_lo, exec_lo, s22
	s_and_saveexec_b32 s22, s16
	s_cbranch_execnz .LBB6_7548
	s_branch .LBB6_7549
.LBB6_8296:                             ;   in Loop: Header=BB6_5548 Depth=3
	s_or_saveexec_b32 s22, s22
	v_mov_b32_e32 v13, 0x7f800001
	s_xor_b32 exec_lo, exec_lo, s22
	s_cbranch_execz .LBB6_7553
.LBB6_8297:                             ;   in Loop: Header=BB6_5548 Depth=3
	v_cmp_ne_u16_sdwa s23, v9, v2 src0_sel:BYTE_3 src1_sel:DWORD
	v_mov_b32_e32 v13, 0
	s_andn2_b32 s16, s16, exec_lo
	s_and_b32 s23, s23, exec_lo
	s_or_b32 s16, s16, s23
	s_or_b32 exec_lo, exec_lo, s22
	s_and_saveexec_b32 s22, s16
	s_cbranch_execnz .LBB6_7554
	s_branch .LBB6_7555
.LBB6_8298:                             ;   in Loop: Header=BB6_5548 Depth=3
	s_or_saveexec_b32 s16, s16
	v_mov_b32_e32 v13, 0x7f800001
	s_xor_b32 exec_lo, exec_lo, s16
	s_cbranch_execz .LBB6_7569
.LBB6_8299:                             ;   in Loop: Header=BB6_5548 Depth=3
	v_cmp_ne_u16_sdwa s23, v14, v2 src0_sel:BYTE_0 src1_sel:DWORD
	v_mov_b32_e32 v13, 0
	s_andn2_b32 s22, s22, exec_lo
	s_and_b32 s23, s23, exec_lo
	s_or_b32 s22, s22, s23
	s_or_b32 exec_lo, exec_lo, s16
	s_and_saveexec_b32 s16, s22
	s_cbranch_execnz .LBB6_7570
	s_branch .LBB6_7571
.LBB6_8300:                             ;   in Loop: Header=BB6_5548 Depth=3
	s_or_saveexec_b32 s16, s16
	v_mov_b32_e32 v86, 0x7f800001
	s_xor_b32 exec_lo, exec_lo, s16
	s_cbranch_execz .LBB6_7575
.LBB6_8301:                             ;   in Loop: Header=BB6_5548 Depth=3
	v_cmp_ne_u16_sdwa s23, v10, v2 src0_sel:BYTE_0 src1_sel:DWORD
	v_mov_b32_e32 v86, 0
	s_andn2_b32 s22, s22, exec_lo
	s_and_b32 s23, s23, exec_lo
	s_or_b32 s22, s22, s23
	s_or_b32 exec_lo, exec_lo, s16
	s_and_saveexec_b32 s16, s22
	s_cbranch_execnz .LBB6_7576
	s_branch .LBB6_7577
.LBB6_8302:                             ;   in Loop: Header=BB6_5548 Depth=3
	s_or_saveexec_b32 s16, s16
	v_mov_b32_e32 v13, 0x7f800001
	s_xor_b32 exec_lo, exec_lo, s16
	s_cbranch_execz .LBB6_7583
.LBB6_8303:                             ;   in Loop: Header=BB6_5548 Depth=3
	v_cmp_ne_u16_sdwa s23, v14, v2 src0_sel:BYTE_0 src1_sel:DWORD
	v_mov_b32_e32 v13, 0
	s_andn2_b32 s22, s22, exec_lo
	s_and_b32 s23, s23, exec_lo
	s_or_b32 s22, s22, s23
	s_or_b32 exec_lo, exec_lo, s16
	s_and_saveexec_b32 s16, s22
	s_cbranch_execnz .LBB6_7584
	s_branch .LBB6_7585
.LBB6_8304:                             ;   in Loop: Header=BB6_5548 Depth=3
	s_or_saveexec_b32 s16, s16
	v_mov_b32_e32 v86, 0x7f800001
	s_xor_b32 exec_lo, exec_lo, s16
	s_cbranch_execz .LBB6_7589
.LBB6_8305:                             ;   in Loop: Header=BB6_5548 Depth=3
	v_cmp_ne_u16_sdwa s23, v10, v2 src0_sel:BYTE_0 src1_sel:DWORD
	v_mov_b32_e32 v86, 0
	s_andn2_b32 s22, s22, exec_lo
	s_and_b32 s23, s23, exec_lo
	s_or_b32 s22, s22, s23
	s_or_b32 exec_lo, exec_lo, s16
	s_and_saveexec_b32 s16, s22
	s_cbranch_execnz .LBB6_7590
	s_branch .LBB6_7591
.LBB6_8306:                             ;   in Loop: Header=BB6_5548 Depth=3
	s_or_saveexec_b32 s22, s22
	v_mov_b32_e32 v99, 0x7f800001
	s_xor_b32 exec_lo, exec_lo, s22
	s_cbranch_execz .LBB6_7605
.LBB6_8307:                             ;   in Loop: Header=BB6_5548 Depth=3
	v_cmp_ne_u16_sdwa s23, v14, v2 src0_sel:BYTE_1 src1_sel:DWORD
	v_mov_b32_e32 v99, 0
	s_andn2_b32 s16, s16, exec_lo
	s_and_b32 s23, s23, exec_lo
	s_or_b32 s16, s16, s23
	s_or_b32 exec_lo, exec_lo, s22
	s_and_saveexec_b32 s22, s16
	s_cbranch_execnz .LBB6_7606
	s_branch .LBB6_7607
.LBB6_8308:                             ;   in Loop: Header=BB6_5548 Depth=3
	s_or_saveexec_b32 s22, s22
	v_mov_b32_e32 v86, 0x7f800001
	s_xor_b32 exec_lo, exec_lo, s22
	s_cbranch_execz .LBB6_7611
.LBB6_8309:                             ;   in Loop: Header=BB6_5548 Depth=3
	v_cmp_ne_u16_sdwa s23, v10, v2 src0_sel:BYTE_1 src1_sel:DWORD
	v_mov_b32_e32 v86, 0
	s_andn2_b32 s16, s16, exec_lo
	s_and_b32 s23, s23, exec_lo
	s_or_b32 s16, s16, s23
	s_or_b32 exec_lo, exec_lo, s22
	s_and_saveexec_b32 s22, s16
	s_cbranch_execnz .LBB6_7612
	s_branch .LBB6_7613
.LBB6_8310:                             ;   in Loop: Header=BB6_5548 Depth=3
	s_or_saveexec_b32 s22, s22
	v_mov_b32_e32 v99, 0x7f800001
	s_xor_b32 exec_lo, exec_lo, s22
	s_cbranch_execz .LBB6_7619
.LBB6_8311:                             ;   in Loop: Header=BB6_5548 Depth=3
	v_cmp_ne_u16_sdwa s23, v14, v2 src0_sel:BYTE_1 src1_sel:DWORD
	v_mov_b32_e32 v99, 0
	s_andn2_b32 s16, s16, exec_lo
	s_and_b32 s23, s23, exec_lo
	s_or_b32 s16, s16, s23
	s_or_b32 exec_lo, exec_lo, s22
	s_and_saveexec_b32 s22, s16
	s_cbranch_execnz .LBB6_7620
	s_branch .LBB6_7621
.LBB6_8312:                             ;   in Loop: Header=BB6_5548 Depth=3
	s_or_saveexec_b32 s22, s22
	v_mov_b32_e32 v86, 0x7f800001
	s_xor_b32 exec_lo, exec_lo, s22
	s_cbranch_execz .LBB6_7625
.LBB6_8313:                             ;   in Loop: Header=BB6_5548 Depth=3
	v_cmp_ne_u16_sdwa s23, v10, v2 src0_sel:BYTE_1 src1_sel:DWORD
	v_mov_b32_e32 v86, 0
	s_andn2_b32 s16, s16, exec_lo
	s_and_b32 s23, s23, exec_lo
	s_or_b32 s16, s16, s23
	s_or_b32 exec_lo, exec_lo, s22
	s_and_saveexec_b32 s22, s16
	s_cbranch_execnz .LBB6_7626
	s_branch .LBB6_7627
.LBB6_8314:                             ;   in Loop: Header=BB6_5548 Depth=3
	s_or_saveexec_b32 s16, s16
	v_mov_b32_e32 v113, 0x7f800001
	s_xor_b32 exec_lo, exec_lo, s16
	s_cbranch_execz .LBB6_7641
.LBB6_8315:                             ;   in Loop: Header=BB6_5548 Depth=3
	v_cmp_ne_u16_e32 vcc_lo, 0, v112
	v_mov_b32_e32 v113, 0
	s_andn2_b32 s22, s22, exec_lo
	s_and_b32 s23, vcc_lo, exec_lo
	s_or_b32 s22, s22, s23
	s_or_b32 exec_lo, exec_lo, s16
	s_and_saveexec_b32 s16, s22
	s_cbranch_execnz .LBB6_7642
	s_branch .LBB6_7643
.LBB6_8316:                             ;   in Loop: Header=BB6_5548 Depth=3
	s_or_saveexec_b32 s16, s16
	v_mov_b32_e32 v86, 0x7f800001
	s_xor_b32 exec_lo, exec_lo, s16
	s_cbranch_execz .LBB6_7647
.LBB6_8317:                             ;   in Loop: Header=BB6_5548 Depth=3
	v_cmp_ne_u16_e32 vcc_lo, 0, v87
	v_mov_b32_e32 v86, 0
	s_andn2_b32 s22, s22, exec_lo
	s_and_b32 s23, vcc_lo, exec_lo
	s_or_b32 s22, s22, s23
	s_or_b32 exec_lo, exec_lo, s16
	s_and_saveexec_b32 s16, s22
	s_cbranch_execnz .LBB6_7648
	s_branch .LBB6_7649
.LBB6_8318:                             ;   in Loop: Header=BB6_5548 Depth=3
	s_or_saveexec_b32 s16, s16
	v_mov_b32_e32 v113, 0x7f800001
	s_xor_b32 exec_lo, exec_lo, s16
	s_cbranch_execz .LBB6_7655
.LBB6_8319:                             ;   in Loop: Header=BB6_5548 Depth=3
	v_cmp_ne_u16_e32 vcc_lo, 0, v112
	v_mov_b32_e32 v113, 0
	s_andn2_b32 s22, s22, exec_lo
	s_and_b32 s23, vcc_lo, exec_lo
	s_or_b32 s22, s22, s23
	s_or_b32 exec_lo, exec_lo, s16
	s_and_saveexec_b32 s16, s22
	s_cbranch_execnz .LBB6_7656
	s_branch .LBB6_7657
.LBB6_8320:                             ;   in Loop: Header=BB6_5548 Depth=3
	s_or_saveexec_b32 s16, s16
	v_mov_b32_e32 v86, 0x7f800001
	s_xor_b32 exec_lo, exec_lo, s16
	s_cbranch_execz .LBB6_7661
.LBB6_8321:                             ;   in Loop: Header=BB6_5548 Depth=3
	v_cmp_ne_u16_e32 vcc_lo, 0, v87
	v_mov_b32_e32 v86, 0
	s_andn2_b32 s22, s22, exec_lo
	s_and_b32 s23, vcc_lo, exec_lo
	s_or_b32 s22, s22, s23
	s_or_b32 exec_lo, exec_lo, s16
	s_and_saveexec_b32 s16, s22
	s_cbranch_execnz .LBB6_7662
	s_branch .LBB6_7663
.LBB6_8322:                             ;   in Loop: Header=BB6_5548 Depth=3
	s_or_saveexec_b32 s22, s22
	v_mov_b32_e32 v112, 0x7f800001
	s_xor_b32 exec_lo, exec_lo, s22
	s_cbranch_execz .LBB6_7677
.LBB6_8323:                             ;   in Loop: Header=BB6_5548 Depth=3
	v_cmp_ne_u16_sdwa s23, v14, v2 src0_sel:BYTE_3 src1_sel:DWORD
	v_mov_b32_e32 v112, 0
	s_andn2_b32 s16, s16, exec_lo
	s_and_b32 s23, s23, exec_lo
	s_or_b32 s16, s16, s23
	s_or_b32 exec_lo, exec_lo, s22
	s_and_saveexec_b32 s22, s16
	s_cbranch_execnz .LBB6_7678
	s_branch .LBB6_7679
.LBB6_8324:                             ;   in Loop: Header=BB6_5548 Depth=3
	s_or_saveexec_b32 s22, s22
	v_mov_b32_e32 v86, 0x7f800001
	s_xor_b32 exec_lo, exec_lo, s22
	s_cbranch_execz .LBB6_7683
.LBB6_8325:                             ;   in Loop: Header=BB6_5548 Depth=3
	v_cmp_ne_u16_sdwa s23, v10, v2 src0_sel:BYTE_3 src1_sel:DWORD
	v_mov_b32_e32 v86, 0
	s_andn2_b32 s16, s16, exec_lo
	s_and_b32 s23, s23, exec_lo
	s_or_b32 s16, s16, s23
	s_or_b32 exec_lo, exec_lo, s22
	s_and_saveexec_b32 s22, s16
	s_cbranch_execnz .LBB6_7684
	s_branch .LBB6_7685
.LBB6_8326:                             ;   in Loop: Header=BB6_5548 Depth=3
	s_or_saveexec_b32 s22, s22
	v_mov_b32_e32 v112, 0x7f800001
	s_xor_b32 exec_lo, exec_lo, s22
	s_cbranch_execz .LBB6_7691
.LBB6_8327:                             ;   in Loop: Header=BB6_5548 Depth=3
	v_cmp_ne_u16_sdwa s23, v14, v2 src0_sel:BYTE_3 src1_sel:DWORD
	v_mov_b32_e32 v112, 0
	s_andn2_b32 s16, s16, exec_lo
	s_and_b32 s23, s23, exec_lo
	s_or_b32 s16, s16, s23
	s_or_b32 exec_lo, exec_lo, s22
	s_and_saveexec_b32 s22, s16
	s_cbranch_execnz .LBB6_7692
	s_branch .LBB6_7693
.LBB6_8328:                             ;   in Loop: Header=BB6_5548 Depth=3
	s_or_saveexec_b32 s22, s22
	v_mov_b32_e32 v14, 0x7f800001
	s_xor_b32 exec_lo, exec_lo, s22
	s_cbranch_execz .LBB6_7697
.LBB6_8329:                             ;   in Loop: Header=BB6_5548 Depth=3
	v_cmp_ne_u16_sdwa s23, v10, v2 src0_sel:BYTE_3 src1_sel:DWORD
	v_mov_b32_e32 v14, 0
	s_andn2_b32 s16, s16, exec_lo
	s_and_b32 s23, s23, exec_lo
	s_or_b32 s16, s16, s23
	s_or_b32 exec_lo, exec_lo, s22
	s_and_saveexec_b32 s22, s16
	s_cbranch_execnz .LBB6_7698
	s_branch .LBB6_7699
.LBB6_8330:                             ;   in Loop: Header=BB6_5548 Depth=3
	s_or_saveexec_b32 s16, s16
	v_mov_b32_e32 v14, 0x7f800001
	s_xor_b32 exec_lo, exec_lo, s16
	s_cbranch_execz .LBB6_7713
.LBB6_8331:                             ;   in Loop: Header=BB6_5548 Depth=3
	v_cmp_ne_u16_sdwa s23, v15, v2 src0_sel:BYTE_0 src1_sel:DWORD
	v_mov_b32_e32 v14, 0
	s_andn2_b32 s22, s22, exec_lo
	s_and_b32 s23, s23, exec_lo
	s_or_b32 s22, s22, s23
	s_or_b32 exec_lo, exec_lo, s16
	s_and_saveexec_b32 s16, s22
	s_cbranch_execnz .LBB6_7714
	s_branch .LBB6_7715
.LBB6_8332:                             ;   in Loop: Header=BB6_5548 Depth=3
	s_or_saveexec_b32 s16, s16
	v_mov_b32_e32 v86, 0x7f800001
	s_xor_b32 exec_lo, exec_lo, s16
	s_cbranch_execz .LBB6_7719
.LBB6_8333:                             ;   in Loop: Header=BB6_5548 Depth=3
	v_cmp_ne_u16_sdwa s23, v11, v2 src0_sel:BYTE_0 src1_sel:DWORD
	v_mov_b32_e32 v86, 0
	s_andn2_b32 s22, s22, exec_lo
	s_and_b32 s23, s23, exec_lo
	s_or_b32 s22, s22, s23
	s_or_b32 exec_lo, exec_lo, s16
	s_and_saveexec_b32 s16, s22
	s_cbranch_execnz .LBB6_7720
	s_branch .LBB6_7721
.LBB6_8334:                             ;   in Loop: Header=BB6_5548 Depth=3
	s_or_saveexec_b32 s16, s16
	v_mov_b32_e32 v14, 0x7f800001
	s_xor_b32 exec_lo, exec_lo, s16
	s_cbranch_execz .LBB6_7727
.LBB6_8335:                             ;   in Loop: Header=BB6_5548 Depth=3
	v_cmp_ne_u16_sdwa s23, v15, v2 src0_sel:BYTE_0 src1_sel:DWORD
	v_mov_b32_e32 v14, 0
	s_andn2_b32 s22, s22, exec_lo
	s_and_b32 s23, s23, exec_lo
	s_or_b32 s22, s22, s23
	s_or_b32 exec_lo, exec_lo, s16
	s_and_saveexec_b32 s16, s22
	s_cbranch_execnz .LBB6_7728
	s_branch .LBB6_7729
.LBB6_8336:                             ;   in Loop: Header=BB6_5548 Depth=3
	s_or_saveexec_b32 s16, s16
	v_mov_b32_e32 v86, 0x7f800001
	s_xor_b32 exec_lo, exec_lo, s16
	s_cbranch_execz .LBB6_7733
.LBB6_8337:                             ;   in Loop: Header=BB6_5548 Depth=3
	v_cmp_ne_u16_sdwa s23, v11, v2 src0_sel:BYTE_0 src1_sel:DWORD
	v_mov_b32_e32 v86, 0
	s_andn2_b32 s22, s22, exec_lo
	s_and_b32 s23, s23, exec_lo
	s_or_b32 s22, s22, s23
	s_or_b32 exec_lo, exec_lo, s16
	s_and_saveexec_b32 s16, s22
	s_cbranch_execnz .LBB6_7734
	s_branch .LBB6_7735
.LBB6_8338:                             ;   in Loop: Header=BB6_5548 Depth=3
	s_or_saveexec_b32 s22, s22
	v_mov_b32_e32 v112, 0x7f800001
	s_xor_b32 exec_lo, exec_lo, s22
	s_cbranch_execz .LBB6_7749
.LBB6_8339:                             ;   in Loop: Header=BB6_5548 Depth=3
	v_cmp_ne_u16_sdwa s23, v15, v2 src0_sel:BYTE_1 src1_sel:DWORD
	v_mov_b32_e32 v112, 0
	s_andn2_b32 s16, s16, exec_lo
	s_and_b32 s23, s23, exec_lo
	s_or_b32 s16, s16, s23
	s_or_b32 exec_lo, exec_lo, s22
	s_and_saveexec_b32 s22, s16
	s_cbranch_execnz .LBB6_7750
	s_branch .LBB6_7751
.LBB6_8340:                             ;   in Loop: Header=BB6_5548 Depth=3
	s_or_saveexec_b32 s22, s22
	v_mov_b32_e32 v86, 0x7f800001
	s_xor_b32 exec_lo, exec_lo, s22
	s_cbranch_execz .LBB6_7755
.LBB6_8341:                             ;   in Loop: Header=BB6_5548 Depth=3
	v_cmp_ne_u16_sdwa s23, v11, v2 src0_sel:BYTE_1 src1_sel:DWORD
	v_mov_b32_e32 v86, 0
	s_andn2_b32 s16, s16, exec_lo
	s_and_b32 s23, s23, exec_lo
	s_or_b32 s16, s16, s23
	s_or_b32 exec_lo, exec_lo, s22
	s_and_saveexec_b32 s22, s16
	s_cbranch_execnz .LBB6_7756
	s_branch .LBB6_7757
.LBB6_8342:                             ;   in Loop: Header=BB6_5548 Depth=3
	s_or_saveexec_b32 s22, s22
	v_mov_b32_e32 v112, 0x7f800001
	s_xor_b32 exec_lo, exec_lo, s22
	s_cbranch_execz .LBB6_7763
.LBB6_8343:                             ;   in Loop: Header=BB6_5548 Depth=3
	v_cmp_ne_u16_sdwa s23, v15, v2 src0_sel:BYTE_1 src1_sel:DWORD
	v_mov_b32_e32 v112, 0
	s_andn2_b32 s16, s16, exec_lo
	s_and_b32 s23, s23, exec_lo
	s_or_b32 s16, s16, s23
	s_or_b32 exec_lo, exec_lo, s22
	s_and_saveexec_b32 s22, s16
	s_cbranch_execnz .LBB6_7764
	s_branch .LBB6_7765
.LBB6_8344:                             ;   in Loop: Header=BB6_5548 Depth=3
	s_or_saveexec_b32 s22, s22
	v_mov_b32_e32 v86, 0x7f800001
	s_xor_b32 exec_lo, exec_lo, s22
	s_cbranch_execz .LBB6_7769
.LBB6_8345:                             ;   in Loop: Header=BB6_5548 Depth=3
	v_cmp_ne_u16_sdwa s23, v11, v2 src0_sel:BYTE_1 src1_sel:DWORD
	v_mov_b32_e32 v86, 0
	s_andn2_b32 s16, s16, exec_lo
	s_and_b32 s23, s23, exec_lo
	s_or_b32 s16, s16, s23
	s_or_b32 exec_lo, exec_lo, s22
	s_and_saveexec_b32 s22, s16
	s_cbranch_execnz .LBB6_7770
	s_branch .LBB6_7771
.LBB6_8346:                             ;   in Loop: Header=BB6_5548 Depth=3
	s_or_saveexec_b32 s16, s16
	v_mov_b32_e32 v46, 0x7f800001
	s_xor_b32 exec_lo, exec_lo, s16
	s_cbranch_execz .LBB6_7785
.LBB6_8347:                             ;   in Loop: Header=BB6_5548 Depth=3
	v_cmp_ne_u16_e32 vcc_lo, 0, v113
	v_mov_b32_e32 v46, 0
	s_andn2_b32 s22, s22, exec_lo
	s_and_b32 s23, vcc_lo, exec_lo
	s_or_b32 s22, s22, s23
	s_or_b32 exec_lo, exec_lo, s16
	s_and_saveexec_b32 s16, s22
	s_cbranch_execnz .LBB6_7786
	s_branch .LBB6_7787
.LBB6_8348:                             ;   in Loop: Header=BB6_5548 Depth=3
	s_or_saveexec_b32 s16, s16
	v_mov_b32_e32 v86, 0x7f800001
	s_xor_b32 exec_lo, exec_lo, s16
	s_cbranch_execz .LBB6_7791
.LBB6_8349:                             ;   in Loop: Header=BB6_5548 Depth=3
	v_cmp_ne_u16_e32 vcc_lo, 0, v87
	v_mov_b32_e32 v86, 0
	s_andn2_b32 s22, s22, exec_lo
	s_and_b32 s23, vcc_lo, exec_lo
	s_or_b32 s22, s22, s23
	s_or_b32 exec_lo, exec_lo, s16
	s_and_saveexec_b32 s16, s22
	s_cbranch_execnz .LBB6_7792
	s_branch .LBB6_7793
.LBB6_8350:                             ;   in Loop: Header=BB6_5548 Depth=3
	s_or_saveexec_b32 s16, s16
	v_mov_b32_e32 v46, 0x7f800001
	s_xor_b32 exec_lo, exec_lo, s16
	s_cbranch_execz .LBB6_7799
.LBB6_8351:                             ;   in Loop: Header=BB6_5548 Depth=3
	v_cmp_ne_u16_e32 vcc_lo, 0, v113
	v_mov_b32_e32 v46, 0
	s_andn2_b32 s22, s22, exec_lo
	s_and_b32 s23, vcc_lo, exec_lo
	s_or_b32 s22, s22, s23
	s_or_b32 exec_lo, exec_lo, s16
	s_and_saveexec_b32 s16, s22
	s_cbranch_execnz .LBB6_7800
	s_branch .LBB6_7801
.LBB6_8352:                             ;   in Loop: Header=BB6_5548 Depth=3
	s_or_saveexec_b32 s16, s16
	v_mov_b32_e32 v86, 0x7f800001
	s_xor_b32 exec_lo, exec_lo, s16
	s_cbranch_execz .LBB6_7805
.LBB6_8353:                             ;   in Loop: Header=BB6_5548 Depth=3
	v_cmp_ne_u16_e32 vcc_lo, 0, v87
	v_mov_b32_e32 v86, 0
	s_andn2_b32 s22, s22, exec_lo
	s_and_b32 s23, vcc_lo, exec_lo
	s_or_b32 s22, s22, s23
	s_or_b32 exec_lo, exec_lo, s16
	s_and_saveexec_b32 s16, s22
	s_cbranch_execnz .LBB6_7806
	s_branch .LBB6_7807
.LBB6_8354:                             ;   in Loop: Header=BB6_5548 Depth=3
	s_or_saveexec_b32 s22, s22
	v_mov_b32_e32 v46, 0x7f800001
	s_xor_b32 exec_lo, exec_lo, s22
	s_cbranch_execz .LBB6_7821
.LBB6_8355:                             ;   in Loop: Header=BB6_5548 Depth=3
	v_cmp_ne_u16_sdwa s23, v15, v2 src0_sel:BYTE_3 src1_sel:DWORD
	v_mov_b32_e32 v46, 0
	s_andn2_b32 s16, s16, exec_lo
	s_and_b32 s23, s23, exec_lo
	s_or_b32 s16, s16, s23
	s_or_b32 exec_lo, exec_lo, s22
	s_and_saveexec_b32 s22, s16
	s_cbranch_execnz .LBB6_7822
	s_branch .LBB6_7823
.LBB6_8356:                             ;   in Loop: Header=BB6_5548 Depth=3
	s_or_saveexec_b32 s22, s22
	v_mov_b32_e32 v86, 0x7f800001
	s_xor_b32 exec_lo, exec_lo, s22
	s_cbranch_execz .LBB6_7827
.LBB6_8357:                             ;   in Loop: Header=BB6_5548 Depth=3
	v_cmp_ne_u16_sdwa s23, v11, v2 src0_sel:BYTE_3 src1_sel:DWORD
	v_mov_b32_e32 v86, 0
	s_andn2_b32 s16, s16, exec_lo
	s_and_b32 s23, s23, exec_lo
	s_or_b32 s16, s16, s23
	s_or_b32 exec_lo, exec_lo, s22
	s_and_saveexec_b32 s22, s16
	s_cbranch_execnz .LBB6_7828
	s_branch .LBB6_7829
.LBB6_8358:                             ;   in Loop: Header=BB6_5548 Depth=3
	s_or_saveexec_b32 s22, s22
	v_mov_b32_e32 v46, 0x7f800001
	s_xor_b32 exec_lo, exec_lo, s22
	s_cbranch_execz .LBB6_7835
.LBB6_8359:                             ;   in Loop: Header=BB6_5548 Depth=3
	v_cmp_ne_u16_sdwa s23, v15, v2 src0_sel:BYTE_3 src1_sel:DWORD
	v_mov_b32_e32 v46, 0
	s_andn2_b32 s16, s16, exec_lo
	s_and_b32 s23, s23, exec_lo
	s_or_b32 s16, s16, s23
	s_or_b32 exec_lo, exec_lo, s22
	s_and_saveexec_b32 s22, s16
	s_cbranch_execnz .LBB6_7836
	s_branch .LBB6_7837
.LBB6_8360:                             ;   in Loop: Header=BB6_5548 Depth=3
	s_or_saveexec_b32 s22, s22
	v_mov_b32_e32 v15, 0x7f800001
	s_xor_b32 exec_lo, exec_lo, s22
	s_cbranch_execz .LBB6_7841
.LBB6_8361:                             ;   in Loop: Header=BB6_5548 Depth=3
	v_cmp_ne_u16_sdwa s23, v11, v2 src0_sel:BYTE_3 src1_sel:DWORD
	v_mov_b32_e32 v15, 0
	s_andn2_b32 s16, s16, exec_lo
	s_and_b32 s23, s23, exec_lo
	s_or_b32 s16, s16, s23
	s_or_b32 exec_lo, exec_lo, s22
	s_and_saveexec_b32 s22, s16
	s_cbranch_execnz .LBB6_7842
	s_branch .LBB6_7843
.LBB6_8362:                             ;   in Loop: Header=BB6_5463 Depth=2
	s_or_b32 exec_lo, exec_lo, s18
	buffer_load_dword v4, off, s[0:3], s33 offset:216 ; 4-byte Folded Reload
.LBB6_8363:                             ;   in Loop: Header=BB6_5463 Depth=2
	s_or_b32 exec_lo, exec_lo, s17
	v_lshlrev_b32_e32 v1, 11, v106
	s_mov_b32 s16, 0
                                        ; implicit-def: $vgpr5
                                        ; implicit-def: $vgpr16
	s_waitcnt vmcnt(0)
	v_cmp_ne_u32_e32 vcc_lo, v4, v1
	v_mov_b32_e32 v4, 0
	s_and_saveexec_b32 s19, vcc_lo
	s_cbranch_execz .LBB6_9075
; %bb.8364:                             ;   in Loop: Header=BB6_5463 Depth=2
	buffer_load_dword v8, off, s[0:3], s33 offset:216 ; 4-byte Folded Reload
	v_lshlrev_b32_e32 v4, 5, v110
	v_and_b32_e32 v5, 31, v0
	s_mov_b32 s73, exec_lo
	v_sub_nc_u32_e32 v4, v5, v4
	v_ashrrev_i32_e32 v5, 31, v4
	v_lshrrev_b32_e32 v5, 27, v5
	v_add_nc_u32_e32 v5, v4, v5
	v_and_b32_e32 v10, 0xffffffe0, v5
	v_sub_nc_u32_e32 v20, v4, v10
	v_ashrrev_i32_e32 v10, 5, v5
	v_lshlrev_b32_e32 v11, 4, v20
	s_waitcnt vmcnt(0)
	v_sub_nc_u32_e32 v9, v8, v1
	v_ashrrev_i32_e32 v8, 31, v9
	v_lshrrev_b32_e32 v8, 23, v8
	v_add_nc_u32_e32 v8, v9, v8
	v_and_b32_e32 v4, 0xfffffe00, v8
	v_ashrrev_i32_e32 v12, 9, v8
	v_lshl_add_u32 v8, v10, 9, v11
	v_sub_nc_u32_e32 v5, v9, v4
	v_sub_nc_u32_e32 v22, v9, v8
	v_cmp_lt_i32_e64 s16, 15, v5
	v_add_co_ci_u32_e64 v11, null, 0, v12, s16
	v_sub_nc_u32_e32 v21, v11, v10
	v_cmpx_lt_i32_e32 15, v22
	s_cbranch_execz .LBB6_9074
; %bb.8365:                             ;   in Loop: Header=BB6_5463 Depth=2
	s_trap 2
	ds_read_b64 v[9:10], v0
	s_clause 0x1
	buffer_load_dword v12, off, s[0:3], s33 offset:220
	buffer_load_dword v13, off, s[0:3], s33 offset:224
	v_add_nc_u32_e32 v8, v8, v1
	s_bitcmp1_b32 s72, 0
	s_mov_b32 s74, 0
	s_cselect_b32 s75, -1, 0
	v_ashrrev_i32_e32 v11, 31, v8
	s_waitcnt vmcnt(1)
	v_add_co_u32 v23, vcc_lo, v8, v12
	s_waitcnt vmcnt(0)
	v_add_co_ci_u32_e64 v24, null, v11, v13, vcc_lo
	v_add_co_u32 v25, vcc_lo, v8, v114
	v_add_co_ci_u32_e64 v26, null, v11, v115, vcc_lo
	v_add_co_u32 v16, vcc_lo, v8, v101
	v_add_co_ci_u32_e64 v17, null, v11, v102, vcc_lo
	s_waitcnt lgkmcnt(0)
	v_add_co_u32 v18, vcc_lo, v9, v8
	v_add_co_ci_u32_e64 v19, null, v10, v11, vcc_lo
.LBB6_8366:                             ;   Parent Loop BB6_47 Depth=1
                                        ;     Parent Loop BB6_5463 Depth=2
                                        ; =>    This Loop Header: Depth=3
                                        ;         Child Loop BB6_8943 Depth 4
	global_load_dwordx4 v[8:11], v[18:19], off slc
	global_load_dwordx4 v[12:15], v[16:17], off slc
	s_mov_b32 s17, -1
	s_waitcnt vmcnt(1)
	v_and_b32_e32 v27, 7, v8
	v_bfe_u32 v30, v8, 3, 4
	v_lshlrev_b32_e32 v31, 24, v8
	s_waitcnt vmcnt(0)
	v_cmp_gt_i16_sdwa s18, v12, v61 src0_sel:BYTE_0 src1_sel:DWORD
	v_ffbh_u32_e32 v28, v27
	v_cmp_eq_u32_e32 vcc_lo, 0, v30
	v_min_u32_e32 v28, 32, v28
	v_subrev_nc_u32_e32 v29, 28, v28
	v_sub_nc_u32_e32 v28, 29, v28
	v_lshlrev_b32_e32 v29, v29, v8
	v_cndmask_b32_e32 v28, v30, v28, vcc_lo
	v_and_b32_e32 v29, 7, v29
	v_lshl_add_u32 v28, v28, 23, 0x3b800000
	v_cndmask_b32_e32 v27, v27, v29, vcc_lo
	v_and_b32_e32 v29, 0x80000000, v31
	s_and_b32 vcc_lo, exec_lo, s75
	v_lshlrev_b32_e32 v27, 20, v27
	v_or3_b32 v27, v29, v28, v27
                                        ; implicit-def: $vgpr28
	s_cbranch_vccz .LBB6_8380
; %bb.8367:                             ;   in Loop: Header=BB6_8366 Depth=3
	s_mov_b32 s17, 0
	s_and_saveexec_b32 s22, s18
	s_xor_b32 s18, exec_lo, s22
	s_cbranch_execz .LBB6_8945
; %bb.8368:                             ;   in Loop: Header=BB6_8366 Depth=3
	v_cmp_eq_u16_sdwa s23, v12, v62 src0_sel:BYTE_0 src1_sel:DWORD
	s_mov_b32 s17, -1
	s_and_saveexec_b32 s22, s23
; %bb.8369:                             ;   in Loop: Header=BB6_8366 Depth=3
	s_xor_b32 s17, exec_lo, -1
; %bb.8370:                             ;   in Loop: Header=BB6_8366 Depth=3
	s_or_b32 exec_lo, exec_lo, s22
	s_and_b32 s17, s17, exec_lo
	s_or_saveexec_b32 s18, s18
	v_mov_b32_e32 v28, 0x7f800001
	s_xor_b32 exec_lo, exec_lo, s18
	s_cbranch_execnz .LBB6_8946
.LBB6_8371:                             ;   in Loop: Header=BB6_8366 Depth=3
	s_or_b32 exec_lo, exec_lo, s18
	s_and_saveexec_b32 s18, s17
	s_cbranch_execz .LBB6_8373
.LBB6_8372:                             ;   in Loop: Header=BB6_8366 Depth=3
	v_and_b32_e32 v28, 7, v12
	v_bfe_u32 v31, v12, 3, 4
	v_lshlrev_b32_e32 v32, 24, v12
	v_ffbh_u32_e32 v29, v28
	v_cmp_eq_u32_e32 vcc_lo, 0, v31
	v_min_u32_e32 v29, 32, v29
	v_subrev_nc_u32_e32 v30, 28, v29
	v_sub_nc_u32_e32 v29, 29, v29
	v_lshlrev_b32_e32 v30, v30, v12
	v_cndmask_b32_e32 v29, v31, v29, vcc_lo
	v_and_b32_e32 v30, 7, v30
	v_lshl_add_u32 v29, v29, 23, 0x3b800000
	v_cndmask_b32_e32 v28, v28, v30, vcc_lo
	v_and_b32_e32 v30, 0x80000000, v32
	v_lshlrev_b32_e32 v28, 20, v28
	v_or3_b32 v28, v30, v29, v28
.LBB6_8373:                             ;   in Loop: Header=BB6_8366 Depth=3
	s_or_b32 exec_lo, exec_lo, s18
	v_cmp_gt_i16_sdwa s18, v8, v61 src0_sel:BYTE_0 src1_sel:DWORD
	s_mov_b32 s17, 0
	s_and_saveexec_b32 s22, s18
	s_xor_b32 s18, exec_lo, s22
	s_cbranch_execz .LBB6_8947
; %bb.8374:                             ;   in Loop: Header=BB6_8366 Depth=3
	v_cmp_eq_u16_sdwa s23, v8, v62 src0_sel:BYTE_0 src1_sel:DWORD
	s_mov_b32 s17, -1
	s_and_saveexec_b32 s22, s23
; %bb.8375:                             ;   in Loop: Header=BB6_8366 Depth=3
	s_xor_b32 s17, exec_lo, -1
; %bb.8376:                             ;   in Loop: Header=BB6_8366 Depth=3
	s_or_b32 exec_lo, exec_lo, s22
	s_and_b32 s17, s17, exec_lo
	s_or_saveexec_b32 s18, s18
	v_mov_b32_e32 v29, 0x7f800001
	s_xor_b32 exec_lo, exec_lo, s18
	s_cbranch_execnz .LBB6_8948
.LBB6_8377:                             ;   in Loop: Header=BB6_8366 Depth=3
	s_or_b32 exec_lo, exec_lo, s18
	s_and_saveexec_b32 s18, s17
.LBB6_8378:                             ;   in Loop: Header=BB6_8366 Depth=3
	v_mov_b32_e32 v29, v27
.LBB6_8379:                             ;   in Loop: Header=BB6_8366 Depth=3
	s_or_b32 exec_lo, exec_lo, s18
	v_max_f32_e32 v29, v29, v29
	v_max_f32_e32 v28, v28, v28
	s_mov_b32 s17, 0
	v_max_f32_e32 v28, v28, v29
.LBB6_8380:                             ;   in Loop: Header=BB6_8366 Depth=3
	s_and_b32 vcc_lo, exec_lo, s17
	s_cbranch_vccz .LBB6_8394
; %bb.8381:                             ;   in Loop: Header=BB6_8366 Depth=3
	v_cmp_gt_i16_sdwa s18, v12, v61 src0_sel:BYTE_0 src1_sel:DWORD
	s_mov_b32 s17, 0
	s_and_saveexec_b32 s22, s18
	s_xor_b32 s18, exec_lo, s22
	s_cbranch_execz .LBB6_8949
; %bb.8382:                             ;   in Loop: Header=BB6_8366 Depth=3
	v_cmp_eq_u16_sdwa s23, v12, v62 src0_sel:BYTE_0 src1_sel:DWORD
	s_mov_b32 s17, -1
	s_and_saveexec_b32 s22, s23
; %bb.8383:                             ;   in Loop: Header=BB6_8366 Depth=3
	s_xor_b32 s17, exec_lo, -1
; %bb.8384:                             ;   in Loop: Header=BB6_8366 Depth=3
	s_or_b32 exec_lo, exec_lo, s22
	s_and_b32 s17, s17, exec_lo
	s_or_saveexec_b32 s18, s18
	v_mov_b32_e32 v28, 0x7f800001
	s_xor_b32 exec_lo, exec_lo, s18
	s_cbranch_execnz .LBB6_8950
.LBB6_8385:                             ;   in Loop: Header=BB6_8366 Depth=3
	s_or_b32 exec_lo, exec_lo, s18
	s_and_saveexec_b32 s18, s17
	s_cbranch_execz .LBB6_8387
.LBB6_8386:                             ;   in Loop: Header=BB6_8366 Depth=3
	v_and_b32_e32 v28, 7, v12
	v_bfe_u32 v31, v12, 3, 4
	v_lshlrev_b32_e32 v32, 24, v12
	v_ffbh_u32_e32 v29, v28
	v_cmp_eq_u32_e32 vcc_lo, 0, v31
	v_min_u32_e32 v29, 32, v29
	v_subrev_nc_u32_e32 v30, 28, v29
	v_sub_nc_u32_e32 v29, 29, v29
	v_lshlrev_b32_e32 v30, v30, v12
	v_cndmask_b32_e32 v29, v31, v29, vcc_lo
	v_and_b32_e32 v30, 7, v30
	v_lshl_add_u32 v29, v29, 23, 0x3b800000
	v_cndmask_b32_e32 v28, v28, v30, vcc_lo
	v_and_b32_e32 v30, 0x80000000, v32
	v_lshlrev_b32_e32 v28, 20, v28
	v_or3_b32 v28, v30, v29, v28
.LBB6_8387:                             ;   in Loop: Header=BB6_8366 Depth=3
	s_or_b32 exec_lo, exec_lo, s18
	v_cmp_gt_i16_sdwa s18, v8, v61 src0_sel:BYTE_0 src1_sel:DWORD
	s_mov_b32 s17, 0
	s_and_saveexec_b32 s22, s18
	s_xor_b32 s18, exec_lo, s22
	s_cbranch_execz .LBB6_8951
; %bb.8388:                             ;   in Loop: Header=BB6_8366 Depth=3
	v_cmp_eq_u16_sdwa s23, v8, v62 src0_sel:BYTE_0 src1_sel:DWORD
	s_mov_b32 s17, -1
	s_and_saveexec_b32 s22, s23
; %bb.8389:                             ;   in Loop: Header=BB6_8366 Depth=3
	s_xor_b32 s17, exec_lo, -1
; %bb.8390:                             ;   in Loop: Header=BB6_8366 Depth=3
	s_or_b32 exec_lo, exec_lo, s22
	s_and_b32 s17, s17, exec_lo
	s_or_saveexec_b32 s18, s18
	v_mov_b32_e32 v29, 0x7f800001
	s_xor_b32 exec_lo, exec_lo, s18
	s_cbranch_execnz .LBB6_8952
.LBB6_8391:                             ;   in Loop: Header=BB6_8366 Depth=3
	s_or_b32 exec_lo, exec_lo, s18
	s_and_saveexec_b32 s18, s17
.LBB6_8392:                             ;   in Loop: Header=BB6_8366 Depth=3
	v_mov_b32_e32 v29, v27
.LBB6_8393:                             ;   in Loop: Header=BB6_8366 Depth=3
	s_or_b32 exec_lo, exec_lo, s18
	v_max_f32_e32 v27, v29, v29
	v_max_f32_e32 v28, v28, v28
	v_min_f32_e32 v28, v28, v27
.LBB6_8394:                             ;   in Loop: Header=BB6_8366 Depth=3
	v_and_b32_e32 v27, 0x7f800000, v28
	v_cmp_ne_u32_e32 vcc_lo, 0x7f800000, v27
	v_mov_b32_e32 v27, 0x80
	s_and_saveexec_b32 s18, vcc_lo
	s_cbranch_execz .LBB6_8402
; %bb.8395:                             ;   in Loop: Header=BB6_8366 Depth=3
	v_mov_b32_e32 v27, 0
	s_mov_b32 s22, exec_lo
	v_cmpx_ne_u32_e32 0, v28
	s_cbranch_execz .LBB6_8401
; %bb.8396:                             ;   in Loop: Header=BB6_8366 Depth=3
	v_bfe_u32 v27, v28, 23, 8
	v_and_b32_e32 v29, 0x7fffff, v28
	v_sub_nc_u32_e32 v30, 0x78, v27
	v_cmp_gt_u32_e32 vcc_lo, 0x79, v27
	v_or_b32_e32 v31, 0x800000, v29
	v_cndmask_b32_e32 v30, 0, v30, vcc_lo
	v_cmp_eq_u32_e32 vcc_lo, 0, v27
	v_add_nc_u32_e32 v27, 0xffffff89, v27
	v_cndmask_b32_e64 v30, v30, 0x77, vcc_lo
	v_cndmask_b32_e32 v29, v31, v29, vcc_lo
	v_cndmask_b32_e64 v27, v27, 0xffffff8a, vcc_lo
	v_lshl_add_u32 v31, 0x100000, v30, -1
	v_lshrrev_b32_e32 v32, v30, v29
	v_lshlrev_b32_e64 v34, v30, 0x80000
	v_add_nc_u32_e32 v30, v30, v27
	v_and_b32_e32 v29, v31, v29
	v_bfe_u32 v33, v32, 20, 1
	v_cmp_eq_u32_e64 s17, v29, v34
	v_add_nc_u32_e32 v31, -1, v33
	v_cndmask_b32_e64 v29, 0, v31, s17
	v_lshrrev_b32_e32 v31, 23, v32
	s_mov_b32 s17, exec_lo
	v_add_nc_u32_e32 v29, v29, v32
	v_xor_b32_e32 v31, 1, v31
	v_and_b32_e32 v27, 0xfffff, v29
	v_add_nc_u32_e32 v29, v27, v32
                                        ; implicit-def: $vgpr27
	v_cmpx_ne_u32_e64 v30, v31
	s_xor_b32 s17, exec_lo, s17
; %bb.8397:                             ;   in Loop: Header=BB6_8366 Depth=3
	v_cmp_lt_u32_e32 vcc_lo, 0xffffff, v29
	v_sub_nc_u32_e32 v27, v30, v31
	v_cndmask_b32_e64 v30, 0, 1, vcc_lo
	v_add_co_ci_u32_e64 v27, null, 0, v27, vcc_lo
	v_lshrrev_b32_e32 v29, v30, v29
; %bb.8398:                             ;   in Loop: Header=BB6_8366 Depth=3
	s_andn2_saveexec_b32 s17, s17
; %bb.8399:                             ;   in Loop: Header=BB6_8366 Depth=3
	v_bfe_u32 v27, v29, 23, 1
; %bb.8400:                             ;   in Loop: Header=BB6_8366 Depth=3
	s_or_b32 exec_lo, exec_lo, s17
	v_lshrrev_b32_e32 v29, 20, v29
	v_min_i32_e32 v30, 15, v27
	v_cmp_gt_i32_e32 vcc_lo, 16, v27
	v_and_b32_sdwa v28, v28, v62 dst_sel:DWORD dst_unused:UNUSED_PAD src0_sel:BYTE_3 src1_sel:DWORD
	v_lshlrev_b32_e32 v30, 3, v30
	v_cndmask_b32_e32 v29, 7, v29, vcc_lo
	v_and_b32_e32 v30, 0xf8, v30
	v_and_b32_e32 v31, 7, v29
	v_or_b32_e32 v27, v27, v29
	v_or3_b32 v28, v30, v28, v31
	v_cmp_ne_u32_e32 vcc_lo, 0, v27
	v_cndmask_b32_e32 v27, 0, v28, vcc_lo
.LBB6_8401:                             ;   in Loop: Header=BB6_8366 Depth=3
	s_or_b32 exec_lo, exec_lo, s22
.LBB6_8402:                             ;   in Loop: Header=BB6_8366 Depth=3
	s_or_b32 exec_lo, exec_lo, s18
	v_and_b32_sdwa v28, v63, v8 dst_sel:DWORD dst_unused:UNUSED_PAD src0_sel:DWORD src1_sel:BYTE_1
	v_cmp_gt_i16_sdwa s18, v12, v61 src0_sel:BYTE_1 src1_sel:DWORD
	s_mov_b32 s17, -1
	v_and_b32_e32 v29, 7, v28
	v_bfe_u32 v32, v28, 3, 4
	v_ffbh_u32_e32 v30, v29
	v_cmp_eq_u32_e32 vcc_lo, 0, v32
	v_min_u32_e32 v30, 32, v30
	v_subrev_nc_u32_e32 v31, 28, v30
	v_sub_nc_u32_e32 v30, 29, v30
	v_lshlrev_b32_e32 v28, v31, v28
	v_lshlrev_b32_sdwa v31, v73, v8 dst_sel:DWORD dst_unused:UNUSED_PAD src0_sel:DWORD src1_sel:BYTE_1
	v_cndmask_b32_e32 v30, v32, v30, vcc_lo
	v_and_b32_e32 v28, 7, v28
	v_lshl_add_u32 v30, v30, 23, 0x3b800000
	v_cndmask_b32_e32 v28, v29, v28, vcc_lo
	v_and_b32_e32 v29, 0x80000000, v31
	s_and_b32 vcc_lo, exec_lo, s75
	v_lshlrev_b32_e32 v28, 20, v28
	v_or3_b32 v28, v29, v30, v28
                                        ; implicit-def: $vgpr29
	s_cbranch_vccz .LBB6_8416
; %bb.8403:                             ;   in Loop: Header=BB6_8366 Depth=3
	s_mov_b32 s17, 0
	s_and_saveexec_b32 s22, s18
	s_xor_b32 s18, exec_lo, s22
	s_cbranch_execz .LBB6_8953
; %bb.8404:                             ;   in Loop: Header=BB6_8366 Depth=3
	v_cmp_eq_u16_sdwa s23, v12, v62 src0_sel:BYTE_1 src1_sel:DWORD
	s_mov_b32 s17, -1
	s_and_saveexec_b32 s22, s23
; %bb.8405:                             ;   in Loop: Header=BB6_8366 Depth=3
	s_xor_b32 s17, exec_lo, -1
; %bb.8406:                             ;   in Loop: Header=BB6_8366 Depth=3
	s_or_b32 exec_lo, exec_lo, s22
	s_and_b32 s17, s17, exec_lo
	s_or_saveexec_b32 s18, s18
	v_mov_b32_e32 v29, 0x7f800001
	s_xor_b32 exec_lo, exec_lo, s18
	s_cbranch_execnz .LBB6_8954
.LBB6_8407:                             ;   in Loop: Header=BB6_8366 Depth=3
	s_or_b32 exec_lo, exec_lo, s18
	s_and_saveexec_b32 s18, s17
	s_cbranch_execz .LBB6_8409
.LBB6_8408:                             ;   in Loop: Header=BB6_8366 Depth=3
	v_and_b32_sdwa v29, v63, v12 dst_sel:DWORD dst_unused:UNUSED_PAD src0_sel:DWORD src1_sel:BYTE_1
	v_and_b32_e32 v30, 7, v29
	v_bfe_u32 v33, v29, 3, 4
	v_ffbh_u32_e32 v31, v30
	v_cmp_eq_u32_e32 vcc_lo, 0, v33
	v_min_u32_e32 v31, 32, v31
	v_subrev_nc_u32_e32 v32, 28, v31
	v_sub_nc_u32_e32 v31, 29, v31
	v_lshlrev_b32_e32 v29, v32, v29
	v_lshlrev_b32_e32 v32, 16, v12
	v_cndmask_b32_e32 v31, v33, v31, vcc_lo
	v_and_b32_e32 v29, 7, v29
	v_lshl_add_u32 v31, v31, 23, 0x3b800000
	v_cndmask_b32_e32 v29, v30, v29, vcc_lo
	v_and_b32_e32 v30, 0x80000000, v32
	v_lshlrev_b32_e32 v29, 20, v29
	v_or3_b32 v29, v30, v31, v29
.LBB6_8409:                             ;   in Loop: Header=BB6_8366 Depth=3
	s_or_b32 exec_lo, exec_lo, s18
	v_cmp_gt_i16_sdwa s18, v8, v61 src0_sel:BYTE_1 src1_sel:DWORD
	s_mov_b32 s17, 0
	s_and_saveexec_b32 s22, s18
	s_xor_b32 s18, exec_lo, s22
	s_cbranch_execz .LBB6_8955
; %bb.8410:                             ;   in Loop: Header=BB6_8366 Depth=3
	v_cmp_eq_u16_sdwa s23, v8, v62 src0_sel:BYTE_1 src1_sel:DWORD
	s_mov_b32 s17, -1
	s_and_saveexec_b32 s22, s23
; %bb.8411:                             ;   in Loop: Header=BB6_8366 Depth=3
	s_xor_b32 s17, exec_lo, -1
; %bb.8412:                             ;   in Loop: Header=BB6_8366 Depth=3
	s_or_b32 exec_lo, exec_lo, s22
	s_and_b32 s17, s17, exec_lo
	s_or_saveexec_b32 s18, s18
	v_mov_b32_e32 v30, 0x7f800001
	s_xor_b32 exec_lo, exec_lo, s18
	s_cbranch_execnz .LBB6_8956
.LBB6_8413:                             ;   in Loop: Header=BB6_8366 Depth=3
	s_or_b32 exec_lo, exec_lo, s18
	s_and_saveexec_b32 s18, s17
.LBB6_8414:                             ;   in Loop: Header=BB6_8366 Depth=3
	v_mov_b32_e32 v30, v28
.LBB6_8415:                             ;   in Loop: Header=BB6_8366 Depth=3
	s_or_b32 exec_lo, exec_lo, s18
	v_max_f32_e32 v30, v30, v30
	v_max_f32_e32 v29, v29, v29
	s_mov_b32 s17, 0
	v_max_f32_e32 v29, v29, v30
.LBB6_8416:                             ;   in Loop: Header=BB6_8366 Depth=3
	s_and_b32 vcc_lo, exec_lo, s17
	s_cbranch_vccz .LBB6_8430
; %bb.8417:                             ;   in Loop: Header=BB6_8366 Depth=3
	v_cmp_gt_i16_sdwa s18, v12, v61 src0_sel:BYTE_1 src1_sel:DWORD
	s_mov_b32 s17, 0
	s_and_saveexec_b32 s22, s18
	s_xor_b32 s18, exec_lo, s22
	s_cbranch_execz .LBB6_8957
; %bb.8418:                             ;   in Loop: Header=BB6_8366 Depth=3
	v_cmp_eq_u16_sdwa s23, v12, v62 src0_sel:BYTE_1 src1_sel:DWORD
	s_mov_b32 s17, -1
	s_and_saveexec_b32 s22, s23
; %bb.8419:                             ;   in Loop: Header=BB6_8366 Depth=3
	s_xor_b32 s17, exec_lo, -1
; %bb.8420:                             ;   in Loop: Header=BB6_8366 Depth=3
	s_or_b32 exec_lo, exec_lo, s22
	s_and_b32 s17, s17, exec_lo
	s_or_saveexec_b32 s18, s18
	v_mov_b32_e32 v29, 0x7f800001
	s_xor_b32 exec_lo, exec_lo, s18
	s_cbranch_execnz .LBB6_8958
.LBB6_8421:                             ;   in Loop: Header=BB6_8366 Depth=3
	s_or_b32 exec_lo, exec_lo, s18
	s_and_saveexec_b32 s18, s17
	s_cbranch_execz .LBB6_8423
.LBB6_8422:                             ;   in Loop: Header=BB6_8366 Depth=3
	v_and_b32_sdwa v29, v63, v12 dst_sel:DWORD dst_unused:UNUSED_PAD src0_sel:DWORD src1_sel:BYTE_1
	v_and_b32_e32 v30, 7, v29
	v_bfe_u32 v33, v29, 3, 4
	v_ffbh_u32_e32 v31, v30
	v_cmp_eq_u32_e32 vcc_lo, 0, v33
	v_min_u32_e32 v31, 32, v31
	v_subrev_nc_u32_e32 v32, 28, v31
	v_sub_nc_u32_e32 v31, 29, v31
	v_lshlrev_b32_e32 v29, v32, v29
	v_lshlrev_b32_e32 v32, 16, v12
	v_cndmask_b32_e32 v31, v33, v31, vcc_lo
	v_and_b32_e32 v29, 7, v29
	v_lshl_add_u32 v31, v31, 23, 0x3b800000
	v_cndmask_b32_e32 v29, v30, v29, vcc_lo
	v_and_b32_e32 v30, 0x80000000, v32
	v_lshlrev_b32_e32 v29, 20, v29
	v_or3_b32 v29, v30, v31, v29
.LBB6_8423:                             ;   in Loop: Header=BB6_8366 Depth=3
	s_or_b32 exec_lo, exec_lo, s18
	v_cmp_gt_i16_sdwa s18, v8, v61 src0_sel:BYTE_1 src1_sel:DWORD
	s_mov_b32 s17, 0
	s_and_saveexec_b32 s22, s18
	s_xor_b32 s18, exec_lo, s22
	s_cbranch_execz .LBB6_8959
; %bb.8424:                             ;   in Loop: Header=BB6_8366 Depth=3
	v_cmp_eq_u16_sdwa s23, v8, v62 src0_sel:BYTE_1 src1_sel:DWORD
	s_mov_b32 s17, -1
	s_and_saveexec_b32 s22, s23
; %bb.8425:                             ;   in Loop: Header=BB6_8366 Depth=3
	s_xor_b32 s17, exec_lo, -1
; %bb.8426:                             ;   in Loop: Header=BB6_8366 Depth=3
	s_or_b32 exec_lo, exec_lo, s22
	s_and_b32 s17, s17, exec_lo
	s_or_saveexec_b32 s18, s18
	v_mov_b32_e32 v30, 0x7f800001
	s_xor_b32 exec_lo, exec_lo, s18
	s_cbranch_execnz .LBB6_8960
.LBB6_8427:                             ;   in Loop: Header=BB6_8366 Depth=3
	s_or_b32 exec_lo, exec_lo, s18
	s_and_saveexec_b32 s18, s17
.LBB6_8428:                             ;   in Loop: Header=BB6_8366 Depth=3
	v_mov_b32_e32 v30, v28
.LBB6_8429:                             ;   in Loop: Header=BB6_8366 Depth=3
	s_or_b32 exec_lo, exec_lo, s18
	v_max_f32_e32 v28, v30, v30
	v_max_f32_e32 v29, v29, v29
	v_min_f32_e32 v29, v29, v28
.LBB6_8430:                             ;   in Loop: Header=BB6_8366 Depth=3
	v_and_b32_e32 v28, 0x7f800000, v29
	v_cmp_ne_u32_e32 vcc_lo, 0x7f800000, v28
	v_mov_b32_e32 v28, 0x8000
	s_and_saveexec_b32 s18, vcc_lo
	s_cbranch_execz .LBB6_8438
; %bb.8431:                             ;   in Loop: Header=BB6_8366 Depth=3
	v_mov_b32_e32 v28, 0
	s_mov_b32 s22, exec_lo
	v_cmpx_ne_u32_e32 0, v29
	s_cbranch_execz .LBB6_8437
; %bb.8432:                             ;   in Loop: Header=BB6_8366 Depth=3
	v_bfe_u32 v28, v29, 23, 8
	v_and_b32_e32 v30, 0x7fffff, v29
	v_sub_nc_u32_e32 v31, 0x78, v28
	v_cmp_gt_u32_e32 vcc_lo, 0x79, v28
	v_or_b32_e32 v32, 0x800000, v30
	v_cndmask_b32_e32 v31, 0, v31, vcc_lo
	v_cmp_eq_u32_e32 vcc_lo, 0, v28
	v_add_nc_u32_e32 v28, 0xffffff89, v28
	v_cndmask_b32_e64 v31, v31, 0x77, vcc_lo
	v_cndmask_b32_e32 v30, v32, v30, vcc_lo
	v_cndmask_b32_e64 v28, v28, 0xffffff8a, vcc_lo
	v_lshl_add_u32 v32, 0x100000, v31, -1
	v_lshrrev_b32_e32 v33, v31, v30
	v_lshlrev_b32_e64 v35, v31, 0x80000
	v_add_nc_u32_e32 v31, v31, v28
	v_and_b32_e32 v30, v32, v30
	v_bfe_u32 v34, v33, 20, 1
	v_cmp_eq_u32_e64 s17, v30, v35
	v_add_nc_u32_e32 v32, -1, v34
	v_cndmask_b32_e64 v30, 0, v32, s17
	v_lshrrev_b32_e32 v32, 23, v33
	s_mov_b32 s17, exec_lo
	v_add_nc_u32_e32 v30, v30, v33
	v_xor_b32_e32 v32, 1, v32
	v_and_b32_e32 v28, 0xfffff, v30
	v_add_nc_u32_e32 v30, v28, v33
                                        ; implicit-def: $vgpr28
	v_cmpx_ne_u32_e64 v31, v32
	s_xor_b32 s17, exec_lo, s17
; %bb.8433:                             ;   in Loop: Header=BB6_8366 Depth=3
	v_cmp_lt_u32_e32 vcc_lo, 0xffffff, v30
	v_sub_nc_u32_e32 v28, v31, v32
	v_cndmask_b32_e64 v31, 0, 1, vcc_lo
	v_add_co_ci_u32_e64 v28, null, 0, v28, vcc_lo
	v_lshrrev_b32_e32 v30, v31, v30
; %bb.8434:                             ;   in Loop: Header=BB6_8366 Depth=3
	s_andn2_saveexec_b32 s17, s17
; %bb.8435:                             ;   in Loop: Header=BB6_8366 Depth=3
	v_bfe_u32 v28, v30, 23, 1
; %bb.8436:                             ;   in Loop: Header=BB6_8366 Depth=3
	s_or_b32 exec_lo, exec_lo, s17
	v_lshrrev_b32_e32 v30, 20, v30
	v_min_i32_e32 v31, 15, v28
	v_cmp_gt_i32_e32 vcc_lo, 16, v28
	v_and_b32_sdwa v29, v29, v62 dst_sel:DWORD dst_unused:UNUSED_PAD src0_sel:BYTE_3 src1_sel:DWORD
	v_lshlrev_b32_e32 v31, 3, v31
	v_cndmask_b32_e32 v30, 7, v30, vcc_lo
	v_and_b32_e32 v31, 0xf8, v31
	v_and_b32_e32 v32, 7, v30
	v_or_b32_e32 v28, v28, v30
	v_or3_b32 v29, v29, v31, v32
	v_cmp_ne_u32_e32 vcc_lo, 0, v28
	v_lshlrev_b32_e32 v29, 8, v29
	v_cndmask_b32_e32 v28, 0, v29, vcc_lo
.LBB6_8437:                             ;   in Loop: Header=BB6_8366 Depth=3
	s_or_b32 exec_lo, exec_lo, s22
.LBB6_8438:                             ;   in Loop: Header=BB6_8366 Depth=3
	s_or_b32 exec_lo, exec_lo, s18
	v_bfe_u32 v29, v8, 16, 3
	v_bfe_u32 v32, v8, 19, 4
	v_lshlrev_b32_e32 v33, 8, v8
	s_mov_b32 s18, -1
	v_ffbh_u32_e32 v30, v29
	v_cmp_eq_u32_e32 vcc_lo, 0, v32
	v_min_u32_e32 v30, 32, v30
	v_subrev_nc_u32_e32 v31, 28, v30
	v_sub_nc_u32_e32 v30, 29, v30
	v_lshlrev_b32_sdwa v31, v31, v8 dst_sel:DWORD dst_unused:UNUSED_PAD src0_sel:DWORD src1_sel:WORD_1
	v_cndmask_b32_e32 v30, v32, v30, vcc_lo
	v_and_b32_e32 v31, 7, v31
	v_lshl_add_u32 v32, v30, 23, 0x3b800000
	v_and_b32_sdwa v30, v12, v72 dst_sel:DWORD dst_unused:UNUSED_PAD src0_sel:WORD_1 src1_sel:DWORD
	v_cndmask_b32_e32 v29, v29, v31, vcc_lo
	v_and_b32_e32 v31, 0x80000000, v33
	v_cmp_lt_i16_e64 s17, 0x7f, v30
	s_and_b32 vcc_lo, exec_lo, s75
	v_lshlrev_b32_e32 v29, 20, v29
	v_or3_b32 v29, v31, v32, v29
                                        ; implicit-def: $vgpr31
	s_cbranch_vccz .LBB6_8452
; %bb.8439:                             ;   in Loop: Header=BB6_8366 Depth=3
	s_mov_b32 s18, 0
	s_and_saveexec_b32 s22, s17
	s_xor_b32 s17, exec_lo, s22
	s_cbranch_execz .LBB6_8961
; %bb.8440:                             ;   in Loop: Header=BB6_8366 Depth=3
	s_mov_b32 s18, -1
	s_mov_b32 s22, exec_lo
	v_cmpx_eq_u16_e32 0x80, v30
; %bb.8441:                             ;   in Loop: Header=BB6_8366 Depth=3
	s_xor_b32 s18, exec_lo, -1
; %bb.8442:                             ;   in Loop: Header=BB6_8366 Depth=3
	s_or_b32 exec_lo, exec_lo, s22
	s_and_b32 s18, s18, exec_lo
	s_or_saveexec_b32 s17, s17
	v_mov_b32_e32 v31, 0x7f800001
	s_xor_b32 exec_lo, exec_lo, s17
	s_cbranch_execnz .LBB6_8962
.LBB6_8443:                             ;   in Loop: Header=BB6_8366 Depth=3
	s_or_b32 exec_lo, exec_lo, s17
	s_and_saveexec_b32 s17, s18
	s_cbranch_execz .LBB6_8445
.LBB6_8444:                             ;   in Loop: Header=BB6_8366 Depth=3
	v_bfe_u32 v31, v12, 16, 3
	v_bfe_u32 v34, v12, 19, 4
	v_lshlrev_b32_sdwa v35, v73, v12 dst_sel:DWORD dst_unused:UNUSED_PAD src0_sel:DWORD src1_sel:WORD_1
	v_ffbh_u32_e32 v32, v31
	v_cmp_eq_u32_e32 vcc_lo, 0, v34
	v_min_u32_e32 v32, 32, v32
	v_subrev_nc_u32_e32 v33, 28, v32
	v_sub_nc_u32_e32 v32, 29, v32
	v_lshlrev_b32_sdwa v33, v33, v12 dst_sel:DWORD dst_unused:UNUSED_PAD src0_sel:DWORD src1_sel:WORD_1
	v_cndmask_b32_e32 v32, v34, v32, vcc_lo
	v_and_b32_e32 v33, 7, v33
	v_lshl_add_u32 v32, v32, 23, 0x3b800000
	v_cndmask_b32_e32 v31, v31, v33, vcc_lo
	v_and_b32_e32 v33, 0x80000000, v35
	v_lshlrev_b32_e32 v31, 20, v31
	v_or3_b32 v31, v33, v32, v31
.LBB6_8445:                             ;   in Loop: Header=BB6_8366 Depth=3
	s_or_b32 exec_lo, exec_lo, s17
	v_and_b32_sdwa v33, v8, v72 dst_sel:DWORD dst_unused:UNUSED_PAD src0_sel:WORD_1 src1_sel:DWORD
	s_mov_b32 s17, 0
	s_mov_b32 s18, exec_lo
	v_cmpx_lt_i16_e32 0x7f, v33
	s_xor_b32 s18, exec_lo, s18
	s_cbranch_execz .LBB6_8963
; %bb.8446:                             ;   in Loop: Header=BB6_8366 Depth=3
	s_mov_b32 s17, -1
	s_mov_b32 s22, exec_lo
	v_cmpx_eq_u16_e32 0x80, v33
; %bb.8447:                             ;   in Loop: Header=BB6_8366 Depth=3
	s_xor_b32 s17, exec_lo, -1
; %bb.8448:                             ;   in Loop: Header=BB6_8366 Depth=3
	s_or_b32 exec_lo, exec_lo, s22
	s_and_b32 s17, s17, exec_lo
                                        ; implicit-def: $vgpr33
	s_or_saveexec_b32 s18, s18
	v_mov_b32_e32 v32, 0x7f800001
	s_xor_b32 exec_lo, exec_lo, s18
	s_cbranch_execnz .LBB6_8964
.LBB6_8449:                             ;   in Loop: Header=BB6_8366 Depth=3
	s_or_b32 exec_lo, exec_lo, s18
	s_and_saveexec_b32 s18, s17
.LBB6_8450:                             ;   in Loop: Header=BB6_8366 Depth=3
	v_mov_b32_e32 v32, v29
.LBB6_8451:                             ;   in Loop: Header=BB6_8366 Depth=3
	s_or_b32 exec_lo, exec_lo, s18
	v_max_f32_e32 v32, v32, v32
	v_max_f32_e32 v31, v31, v31
	s_mov_b32 s18, 0
	v_max_f32_e32 v31, v31, v32
.LBB6_8452:                             ;   in Loop: Header=BB6_8366 Depth=3
	s_and_b32 vcc_lo, exec_lo, s18
	s_cbranch_vccz .LBB6_8466
; %bb.8453:                             ;   in Loop: Header=BB6_8366 Depth=3
	s_mov_b32 s17, 0
	s_mov_b32 s18, exec_lo
	v_cmpx_lt_i16_e32 0x7f, v30
	s_xor_b32 s18, exec_lo, s18
	s_cbranch_execz .LBB6_8965
; %bb.8454:                             ;   in Loop: Header=BB6_8366 Depth=3
	s_mov_b32 s17, -1
	s_mov_b32 s22, exec_lo
	v_cmpx_eq_u16_e32 0x80, v30
; %bb.8455:                             ;   in Loop: Header=BB6_8366 Depth=3
	s_xor_b32 s17, exec_lo, -1
; %bb.8456:                             ;   in Loop: Header=BB6_8366 Depth=3
	s_or_b32 exec_lo, exec_lo, s22
	s_and_b32 s17, s17, exec_lo
                                        ; implicit-def: $vgpr30
	s_or_saveexec_b32 s18, s18
	v_mov_b32_e32 v31, 0x7f800001
	s_xor_b32 exec_lo, exec_lo, s18
	s_cbranch_execnz .LBB6_8966
.LBB6_8457:                             ;   in Loop: Header=BB6_8366 Depth=3
	s_or_b32 exec_lo, exec_lo, s18
	s_and_saveexec_b32 s18, s17
	s_cbranch_execz .LBB6_8459
.LBB6_8458:                             ;   in Loop: Header=BB6_8366 Depth=3
	v_bfe_u32 v30, v12, 16, 3
	v_bfe_u32 v33, v12, 19, 4
	v_lshlrev_b32_sdwa v34, v73, v12 dst_sel:DWORD dst_unused:UNUSED_PAD src0_sel:DWORD src1_sel:WORD_1
	v_ffbh_u32_e32 v31, v30
	v_cmp_eq_u32_e32 vcc_lo, 0, v33
	v_min_u32_e32 v31, 32, v31
	v_subrev_nc_u32_e32 v32, 28, v31
	v_sub_nc_u32_e32 v31, 29, v31
	v_lshlrev_b32_sdwa v32, v32, v12 dst_sel:DWORD dst_unused:UNUSED_PAD src0_sel:DWORD src1_sel:WORD_1
	v_cndmask_b32_e32 v31, v33, v31, vcc_lo
	v_and_b32_e32 v32, 7, v32
	v_lshl_add_u32 v31, v31, 23, 0x3b800000
	v_cndmask_b32_e32 v30, v30, v32, vcc_lo
	v_and_b32_e32 v32, 0x80000000, v34
	v_lshlrev_b32_e32 v30, 20, v30
	v_or3_b32 v31, v32, v31, v30
.LBB6_8459:                             ;   in Loop: Header=BB6_8366 Depth=3
	s_or_b32 exec_lo, exec_lo, s18
	v_and_b32_sdwa v32, v8, v72 dst_sel:DWORD dst_unused:UNUSED_PAD src0_sel:WORD_1 src1_sel:DWORD
	s_mov_b32 s17, 0
	s_mov_b32 s18, exec_lo
	v_cmpx_lt_i16_e32 0x7f, v32
	s_xor_b32 s18, exec_lo, s18
	s_cbranch_execz .LBB6_8967
; %bb.8460:                             ;   in Loop: Header=BB6_8366 Depth=3
	s_mov_b32 s17, -1
	s_mov_b32 s22, exec_lo
	v_cmpx_eq_u16_e32 0x80, v32
; %bb.8461:                             ;   in Loop: Header=BB6_8366 Depth=3
	s_xor_b32 s17, exec_lo, -1
; %bb.8462:                             ;   in Loop: Header=BB6_8366 Depth=3
	s_or_b32 exec_lo, exec_lo, s22
	s_and_b32 s17, s17, exec_lo
                                        ; implicit-def: $vgpr32
	s_or_saveexec_b32 s18, s18
	v_mov_b32_e32 v30, 0x7f800001
	s_xor_b32 exec_lo, exec_lo, s18
	s_cbranch_execnz .LBB6_8968
.LBB6_8463:                             ;   in Loop: Header=BB6_8366 Depth=3
	s_or_b32 exec_lo, exec_lo, s18
	s_and_saveexec_b32 s18, s17
.LBB6_8464:                             ;   in Loop: Header=BB6_8366 Depth=3
	v_mov_b32_e32 v30, v29
.LBB6_8465:                             ;   in Loop: Header=BB6_8366 Depth=3
	s_or_b32 exec_lo, exec_lo, s18
	v_max_f32_e32 v29, v30, v30
	v_max_f32_e32 v30, v31, v31
	v_min_f32_e32 v31, v30, v29
.LBB6_8466:                             ;   in Loop: Header=BB6_8366 Depth=3
	v_and_b32_e32 v29, 0x7f800000, v31
	v_cmp_ne_u32_e32 vcc_lo, 0x7f800000, v29
	v_mov_b32_e32 v29, 0x80
	s_and_saveexec_b32 s18, vcc_lo
	s_cbranch_execz .LBB6_8474
; %bb.8467:                             ;   in Loop: Header=BB6_8366 Depth=3
	v_mov_b32_e32 v29, 0
	s_mov_b32 s22, exec_lo
	v_cmpx_ne_u32_e32 0, v31
	s_cbranch_execz .LBB6_8473
; %bb.8468:                             ;   in Loop: Header=BB6_8366 Depth=3
	v_bfe_u32 v29, v31, 23, 8
	v_and_b32_e32 v30, 0x7fffff, v31
	v_sub_nc_u32_e32 v32, 0x78, v29
	v_cmp_gt_u32_e32 vcc_lo, 0x79, v29
	v_or_b32_e32 v33, 0x800000, v30
	v_cndmask_b32_e32 v32, 0, v32, vcc_lo
	v_cmp_eq_u32_e32 vcc_lo, 0, v29
	v_add_nc_u32_e32 v29, 0xffffff89, v29
	v_cndmask_b32_e64 v32, v32, 0x77, vcc_lo
	v_cndmask_b32_e32 v30, v33, v30, vcc_lo
	v_cndmask_b32_e64 v29, v29, 0xffffff8a, vcc_lo
	v_lshl_add_u32 v33, 0x100000, v32, -1
	v_lshrrev_b32_e32 v34, v32, v30
	v_lshlrev_b32_e64 v36, v32, 0x80000
	v_add_nc_u32_e32 v32, v32, v29
	v_and_b32_e32 v30, v33, v30
	v_bfe_u32 v35, v34, 20, 1
	v_cmp_eq_u32_e64 s17, v30, v36
	v_add_nc_u32_e32 v33, -1, v35
	v_cndmask_b32_e64 v30, 0, v33, s17
	v_lshrrev_b32_e32 v33, 23, v34
	s_mov_b32 s17, exec_lo
	v_add_nc_u32_e32 v30, v30, v34
	v_xor_b32_e32 v33, 1, v33
	v_and_b32_e32 v29, 0xfffff, v30
	v_add_nc_u32_e32 v30, v29, v34
                                        ; implicit-def: $vgpr29
	v_cmpx_ne_u32_e64 v32, v33
	s_xor_b32 s17, exec_lo, s17
; %bb.8469:                             ;   in Loop: Header=BB6_8366 Depth=3
	v_cmp_lt_u32_e32 vcc_lo, 0xffffff, v30
	v_sub_nc_u32_e32 v29, v32, v33
	v_cndmask_b32_e64 v32, 0, 1, vcc_lo
	v_add_co_ci_u32_e64 v29, null, 0, v29, vcc_lo
	v_lshrrev_b32_e32 v30, v32, v30
; %bb.8470:                             ;   in Loop: Header=BB6_8366 Depth=3
	s_andn2_saveexec_b32 s17, s17
; %bb.8471:                             ;   in Loop: Header=BB6_8366 Depth=3
	v_bfe_u32 v29, v30, 23, 1
; %bb.8472:                             ;   in Loop: Header=BB6_8366 Depth=3
	s_or_b32 exec_lo, exec_lo, s17
	v_lshrrev_b32_e32 v30, 20, v30
	v_min_i32_e32 v32, 15, v29
	v_cmp_gt_i32_e32 vcc_lo, 16, v29
	v_and_b32_sdwa v31, v31, v62 dst_sel:DWORD dst_unused:UNUSED_PAD src0_sel:BYTE_3 src1_sel:DWORD
	v_lshlrev_b32_e32 v32, 3, v32
	v_cndmask_b32_e32 v30, 7, v30, vcc_lo
	v_and_b32_e32 v32, 0xf8, v32
	v_and_b32_e32 v33, 7, v30
	v_or_b32_e32 v29, v29, v30
	v_or3_b32 v30, v32, v31, v33
	v_cmp_ne_u32_e32 vcc_lo, 0, v29
	v_cndmask_b32_e32 v29, 0, v30, vcc_lo
.LBB6_8473:                             ;   in Loop: Header=BB6_8366 Depth=3
	s_or_b32 exec_lo, exec_lo, s22
.LBB6_8474:                             ;   in Loop: Header=BB6_8366 Depth=3
	s_or_b32 exec_lo, exec_lo, s18
	v_bfe_u32 v30, v8, 24, 3
	v_bfe_u32 v33, v8, 27, 4
	v_cmp_gt_i16_sdwa s18, v12, v61 src0_sel:BYTE_3 src1_sel:DWORD
	s_mov_b32 s17, -1
	v_ffbh_u32_e32 v31, v30
	v_cmp_eq_u32_e32 vcc_lo, 0, v33
	v_min_u32_e32 v31, 32, v31
	v_subrev_nc_u32_e32 v32, 28, v31
	v_sub_nc_u32_e32 v31, 29, v31
	v_lshlrev_b32_sdwa v32, v32, v8 dst_sel:DWORD dst_unused:UNUSED_PAD src0_sel:DWORD src1_sel:BYTE_3
	v_cndmask_b32_e32 v31, v33, v31, vcc_lo
	v_and_b32_e32 v32, 7, v32
	v_lshl_add_u32 v31, v31, 23, 0x3b800000
	v_cndmask_b32_e32 v30, v30, v32, vcc_lo
	v_and_b32_e32 v32, 0x80000000, v8
	s_and_b32 vcc_lo, exec_lo, s75
	v_lshlrev_b32_e32 v30, 20, v30
	v_or3_b32 v30, v32, v31, v30
                                        ; implicit-def: $vgpr31
	s_cbranch_vccz .LBB6_8488
; %bb.8475:                             ;   in Loop: Header=BB6_8366 Depth=3
	s_mov_b32 s17, 0
	s_and_saveexec_b32 s22, s18
	s_xor_b32 s18, exec_lo, s22
	s_cbranch_execz .LBB6_8969
; %bb.8476:                             ;   in Loop: Header=BB6_8366 Depth=3
	v_cmp_eq_u16_sdwa s23, v12, v62 src0_sel:BYTE_3 src1_sel:DWORD
	s_mov_b32 s17, -1
	s_and_saveexec_b32 s22, s23
; %bb.8477:                             ;   in Loop: Header=BB6_8366 Depth=3
	s_xor_b32 s17, exec_lo, -1
; %bb.8478:                             ;   in Loop: Header=BB6_8366 Depth=3
	s_or_b32 exec_lo, exec_lo, s22
	s_and_b32 s17, s17, exec_lo
	s_or_saveexec_b32 s18, s18
	v_mov_b32_e32 v31, 0x7f800001
	s_xor_b32 exec_lo, exec_lo, s18
	s_cbranch_execnz .LBB6_8970
.LBB6_8479:                             ;   in Loop: Header=BB6_8366 Depth=3
	s_or_b32 exec_lo, exec_lo, s18
	s_and_saveexec_b32 s18, s17
	s_cbranch_execz .LBB6_8481
.LBB6_8480:                             ;   in Loop: Header=BB6_8366 Depth=3
	v_bfe_u32 v31, v12, 24, 3
	v_bfe_u32 v34, v12, 27, 4
	v_ffbh_u32_e32 v32, v31
	v_cmp_eq_u32_e32 vcc_lo, 0, v34
	v_min_u32_e32 v32, 32, v32
	v_subrev_nc_u32_e32 v33, 28, v32
	v_sub_nc_u32_e32 v32, 29, v32
	v_lshlrev_b32_sdwa v33, v33, v12 dst_sel:DWORD dst_unused:UNUSED_PAD src0_sel:DWORD src1_sel:BYTE_3
	v_cndmask_b32_e32 v32, v34, v32, vcc_lo
	v_and_b32_e32 v33, 7, v33
	v_lshl_add_u32 v32, v32, 23, 0x3b800000
	v_cndmask_b32_e32 v31, v31, v33, vcc_lo
	v_and_b32_e32 v33, 0x80000000, v12
	v_lshlrev_b32_e32 v31, 20, v31
	v_or3_b32 v31, v33, v32, v31
.LBB6_8481:                             ;   in Loop: Header=BB6_8366 Depth=3
	s_or_b32 exec_lo, exec_lo, s18
	v_cmp_gt_i16_sdwa s18, v8, v61 src0_sel:BYTE_3 src1_sel:DWORD
	s_mov_b32 s17, 0
	s_and_saveexec_b32 s22, s18
	s_xor_b32 s18, exec_lo, s22
	s_cbranch_execz .LBB6_8971
; %bb.8482:                             ;   in Loop: Header=BB6_8366 Depth=3
	v_cmp_eq_u16_sdwa s23, v8, v62 src0_sel:BYTE_3 src1_sel:DWORD
	s_mov_b32 s17, -1
	s_and_saveexec_b32 s22, s23
; %bb.8483:                             ;   in Loop: Header=BB6_8366 Depth=3
	s_xor_b32 s17, exec_lo, -1
; %bb.8484:                             ;   in Loop: Header=BB6_8366 Depth=3
	s_or_b32 exec_lo, exec_lo, s22
	s_and_b32 s17, s17, exec_lo
	s_or_saveexec_b32 s18, s18
	v_mov_b32_e32 v32, 0x7f800001
	s_xor_b32 exec_lo, exec_lo, s18
	s_cbranch_execnz .LBB6_8972
.LBB6_8485:                             ;   in Loop: Header=BB6_8366 Depth=3
	s_or_b32 exec_lo, exec_lo, s18
	s_and_saveexec_b32 s18, s17
.LBB6_8486:                             ;   in Loop: Header=BB6_8366 Depth=3
	v_mov_b32_e32 v32, v30
.LBB6_8487:                             ;   in Loop: Header=BB6_8366 Depth=3
	s_or_b32 exec_lo, exec_lo, s18
	v_max_f32_e32 v32, v32, v32
	v_max_f32_e32 v31, v31, v31
	s_mov_b32 s17, 0
	v_max_f32_e32 v31, v31, v32
.LBB6_8488:                             ;   in Loop: Header=BB6_8366 Depth=3
	s_and_b32 vcc_lo, exec_lo, s17
	s_cbranch_vccz .LBB6_8502
; %bb.8489:                             ;   in Loop: Header=BB6_8366 Depth=3
	v_cmp_gt_i16_sdwa s18, v12, v61 src0_sel:BYTE_3 src1_sel:DWORD
	s_mov_b32 s17, 0
	s_and_saveexec_b32 s22, s18
	s_xor_b32 s18, exec_lo, s22
	s_cbranch_execz .LBB6_8973
; %bb.8490:                             ;   in Loop: Header=BB6_8366 Depth=3
	v_cmp_eq_u16_sdwa s23, v12, v62 src0_sel:BYTE_3 src1_sel:DWORD
	s_mov_b32 s17, -1
	s_and_saveexec_b32 s22, s23
; %bb.8491:                             ;   in Loop: Header=BB6_8366 Depth=3
	s_xor_b32 s17, exec_lo, -1
; %bb.8492:                             ;   in Loop: Header=BB6_8366 Depth=3
	s_or_b32 exec_lo, exec_lo, s22
	s_and_b32 s17, s17, exec_lo
	s_or_saveexec_b32 s18, s18
	v_mov_b32_e32 v31, 0x7f800001
	s_xor_b32 exec_lo, exec_lo, s18
	s_cbranch_execnz .LBB6_8974
.LBB6_8493:                             ;   in Loop: Header=BB6_8366 Depth=3
	s_or_b32 exec_lo, exec_lo, s18
	s_and_saveexec_b32 s18, s17
	s_cbranch_execz .LBB6_8495
.LBB6_8494:                             ;   in Loop: Header=BB6_8366 Depth=3
	v_bfe_u32 v31, v12, 24, 3
	v_bfe_u32 v34, v12, 27, 4
	v_ffbh_u32_e32 v32, v31
	v_cmp_eq_u32_e32 vcc_lo, 0, v34
	v_min_u32_e32 v32, 32, v32
	v_subrev_nc_u32_e32 v33, 28, v32
	v_sub_nc_u32_e32 v32, 29, v32
	v_lshlrev_b32_sdwa v33, v33, v12 dst_sel:DWORD dst_unused:UNUSED_PAD src0_sel:DWORD src1_sel:BYTE_3
	v_cndmask_b32_e32 v32, v34, v32, vcc_lo
	v_and_b32_e32 v12, 0x80000000, v12
	v_and_b32_e32 v33, 7, v33
	v_lshl_add_u32 v32, v32, 23, 0x3b800000
	v_cndmask_b32_e32 v31, v31, v33, vcc_lo
	v_lshlrev_b32_e32 v31, 20, v31
	v_or3_b32 v31, v12, v32, v31
.LBB6_8495:                             ;   in Loop: Header=BB6_8366 Depth=3
	s_or_b32 exec_lo, exec_lo, s18
	v_cmp_gt_i16_sdwa s18, v8, v61 src0_sel:BYTE_3 src1_sel:DWORD
	s_mov_b32 s17, 0
	s_and_saveexec_b32 s22, s18
	s_xor_b32 s18, exec_lo, s22
	s_cbranch_execz .LBB6_8975
; %bb.8496:                             ;   in Loop: Header=BB6_8366 Depth=3
	v_cmp_eq_u16_sdwa s23, v8, v62 src0_sel:BYTE_3 src1_sel:DWORD
	s_mov_b32 s17, -1
	s_and_saveexec_b32 s22, s23
; %bb.8497:                             ;   in Loop: Header=BB6_8366 Depth=3
	s_xor_b32 s17, exec_lo, -1
; %bb.8498:                             ;   in Loop: Header=BB6_8366 Depth=3
	s_or_b32 exec_lo, exec_lo, s22
	s_and_b32 s17, s17, exec_lo
	s_or_saveexec_b32 s18, s18
	v_mov_b32_e32 v12, 0x7f800001
	s_xor_b32 exec_lo, exec_lo, s18
	s_cbranch_execnz .LBB6_8976
.LBB6_8499:                             ;   in Loop: Header=BB6_8366 Depth=3
	s_or_b32 exec_lo, exec_lo, s18
	s_and_saveexec_b32 s18, s17
.LBB6_8500:                             ;   in Loop: Header=BB6_8366 Depth=3
	v_mov_b32_e32 v12, v30
.LBB6_8501:                             ;   in Loop: Header=BB6_8366 Depth=3
	s_or_b32 exec_lo, exec_lo, s18
	v_max_f32_e32 v8, v12, v12
	v_max_f32_e32 v12, v31, v31
	v_min_f32_e32 v31, v12, v8
.LBB6_8502:                             ;   in Loop: Header=BB6_8366 Depth=3
	v_and_b32_e32 v8, 0x7f800000, v31
	v_mov_b32_e32 v12, 0x8000
	s_mov_b32 s18, exec_lo
	v_cmpx_ne_u32_e32 0x7f800000, v8
	s_cbranch_execz .LBB6_8510
; %bb.8503:                             ;   in Loop: Header=BB6_8366 Depth=3
	v_mov_b32_e32 v12, 0
	s_mov_b32 s22, exec_lo
	v_cmpx_ne_u32_e32 0, v31
	s_cbranch_execz .LBB6_8509
; %bb.8504:                             ;   in Loop: Header=BB6_8366 Depth=3
	v_bfe_u32 v8, v31, 23, 8
	v_and_b32_e32 v12, 0x7fffff, v31
	v_sub_nc_u32_e32 v30, 0x78, v8
	v_cmp_gt_u32_e32 vcc_lo, 0x79, v8
	v_or_b32_e32 v32, 0x800000, v12
	v_cndmask_b32_e32 v30, 0, v30, vcc_lo
	v_cmp_eq_u32_e32 vcc_lo, 0, v8
	v_add_nc_u32_e32 v8, 0xffffff89, v8
	v_cndmask_b32_e64 v30, v30, 0x77, vcc_lo
	v_cndmask_b32_e32 v12, v32, v12, vcc_lo
	v_cndmask_b32_e64 v8, v8, 0xffffff8a, vcc_lo
	v_lshl_add_u32 v32, 0x100000, v30, -1
	v_lshrrev_b32_e32 v33, v30, v12
	v_lshlrev_b32_e64 v35, v30, 0x80000
	v_add_nc_u32_e32 v30, v30, v8
	v_and_b32_e32 v12, v32, v12
	v_bfe_u32 v34, v33, 20, 1
	v_cmp_eq_u32_e64 s17, v12, v35
	v_add_nc_u32_e32 v32, -1, v34
	v_cndmask_b32_e64 v12, 0, v32, s17
	v_lshrrev_b32_e32 v32, 23, v33
	s_mov_b32 s17, exec_lo
	v_add_nc_u32_e32 v12, v12, v33
	v_xor_b32_e32 v32, 1, v32
	v_and_b32_e32 v8, 0xfffff, v12
	v_add_nc_u32_e32 v12, v8, v33
                                        ; implicit-def: $vgpr8
	v_cmpx_ne_u32_e64 v30, v32
	s_xor_b32 s17, exec_lo, s17
; %bb.8505:                             ;   in Loop: Header=BB6_8366 Depth=3
	v_cmp_lt_u32_e32 vcc_lo, 0xffffff, v12
	v_sub_nc_u32_e32 v8, v30, v32
	v_cndmask_b32_e64 v30, 0, 1, vcc_lo
	v_add_co_ci_u32_e64 v8, null, 0, v8, vcc_lo
	v_lshrrev_b32_e32 v12, v30, v12
; %bb.8506:                             ;   in Loop: Header=BB6_8366 Depth=3
	s_andn2_saveexec_b32 s17, s17
; %bb.8507:                             ;   in Loop: Header=BB6_8366 Depth=3
	v_bfe_u32 v8, v12, 23, 1
; %bb.8508:                             ;   in Loop: Header=BB6_8366 Depth=3
	s_or_b32 exec_lo, exec_lo, s17
	v_lshrrev_b32_e32 v12, 20, v12
	v_min_i32_e32 v30, 15, v8
	v_cmp_gt_i32_e32 vcc_lo, 16, v8
	v_and_b32_sdwa v31, v31, v62 dst_sel:DWORD dst_unused:UNUSED_PAD src0_sel:BYTE_3 src1_sel:DWORD
	v_lshlrev_b32_e32 v30, 3, v30
	v_cndmask_b32_e32 v12, 7, v12, vcc_lo
	v_and_b32_e32 v30, 0xf8, v30
	v_and_b32_e32 v32, 7, v12
	v_or_b32_e32 v8, v8, v12
	v_or3_b32 v30, v31, v30, v32
	v_cmp_ne_u32_e32 vcc_lo, 0, v8
	v_lshlrev_b32_e32 v12, 8, v30
	v_cndmask_b32_e32 v12, 0, v12, vcc_lo
.LBB6_8509:                             ;   in Loop: Header=BB6_8366 Depth=3
	s_or_b32 exec_lo, exec_lo, s22
.LBB6_8510:                             ;   in Loop: Header=BB6_8366 Depth=3
	s_or_b32 exec_lo, exec_lo, s18
	v_and_b32_e32 v8, 7, v9
	v_bfe_u32 v32, v9, 3, 4
	v_lshlrev_b32_e32 v33, 24, v9
	v_cmp_gt_i16_sdwa s18, v13, v61 src0_sel:BYTE_0 src1_sel:DWORD
	s_mov_b32 s17, -1
	v_ffbh_u32_e32 v30, v8
	v_cmp_eq_u32_e32 vcc_lo, 0, v32
	v_min_u32_e32 v30, 32, v30
	v_subrev_nc_u32_e32 v31, 28, v30
	v_sub_nc_u32_e32 v30, 29, v30
	v_lshlrev_b32_e32 v31, v31, v9
	v_cndmask_b32_e32 v30, v32, v30, vcc_lo
	v_and_b32_e32 v31, 7, v31
	v_lshl_add_u32 v30, v30, 23, 0x3b800000
	v_cndmask_b32_e32 v8, v8, v31, vcc_lo
	v_and_b32_e32 v31, 0x80000000, v33
	s_and_b32 vcc_lo, exec_lo, s75
	v_lshlrev_b32_e32 v8, 20, v8
	v_or3_b32 v8, v31, v30, v8
                                        ; implicit-def: $vgpr31
	s_cbranch_vccz .LBB6_8524
; %bb.8511:                             ;   in Loop: Header=BB6_8366 Depth=3
	s_mov_b32 s17, 0
	s_and_saveexec_b32 s22, s18
	s_xor_b32 s18, exec_lo, s22
	s_cbranch_execz .LBB6_8977
; %bb.8512:                             ;   in Loop: Header=BB6_8366 Depth=3
	v_cmp_eq_u16_sdwa s23, v13, v62 src0_sel:BYTE_0 src1_sel:DWORD
	s_mov_b32 s17, -1
	s_and_saveexec_b32 s22, s23
; %bb.8513:                             ;   in Loop: Header=BB6_8366 Depth=3
	s_xor_b32 s17, exec_lo, -1
; %bb.8514:                             ;   in Loop: Header=BB6_8366 Depth=3
	s_or_b32 exec_lo, exec_lo, s22
	s_and_b32 s17, s17, exec_lo
	s_or_saveexec_b32 s18, s18
	v_mov_b32_e32 v30, 0x7f800001
	s_xor_b32 exec_lo, exec_lo, s18
	s_cbranch_execnz .LBB6_8978
.LBB6_8515:                             ;   in Loop: Header=BB6_8366 Depth=3
	s_or_b32 exec_lo, exec_lo, s18
	s_and_saveexec_b32 s18, s17
	s_cbranch_execz .LBB6_8517
.LBB6_8516:                             ;   in Loop: Header=BB6_8366 Depth=3
	v_and_b32_e32 v30, 7, v13
	v_bfe_u32 v33, v13, 3, 4
	v_lshlrev_b32_e32 v34, 24, v13
	v_ffbh_u32_e32 v31, v30
	v_cmp_eq_u32_e32 vcc_lo, 0, v33
	v_min_u32_e32 v31, 32, v31
	v_subrev_nc_u32_e32 v32, 28, v31
	v_sub_nc_u32_e32 v31, 29, v31
	v_lshlrev_b32_e32 v32, v32, v13
	v_cndmask_b32_e32 v31, v33, v31, vcc_lo
	v_and_b32_e32 v32, 7, v32
	v_lshl_add_u32 v31, v31, 23, 0x3b800000
	v_cndmask_b32_e32 v30, v30, v32, vcc_lo
	v_and_b32_e32 v32, 0x80000000, v34
	v_lshlrev_b32_e32 v30, 20, v30
	v_or3_b32 v30, v32, v31, v30
.LBB6_8517:                             ;   in Loop: Header=BB6_8366 Depth=3
	s_or_b32 exec_lo, exec_lo, s18
	v_cmp_gt_i16_sdwa s18, v9, v61 src0_sel:BYTE_0 src1_sel:DWORD
	s_mov_b32 s17, 0
	s_and_saveexec_b32 s22, s18
	s_xor_b32 s18, exec_lo, s22
	s_cbranch_execz .LBB6_8979
; %bb.8518:                             ;   in Loop: Header=BB6_8366 Depth=3
	v_cmp_eq_u16_sdwa s23, v9, v62 src0_sel:BYTE_0 src1_sel:DWORD
	s_mov_b32 s17, -1
	s_and_saveexec_b32 s22, s23
; %bb.8519:                             ;   in Loop: Header=BB6_8366 Depth=3
	s_xor_b32 s17, exec_lo, -1
; %bb.8520:                             ;   in Loop: Header=BB6_8366 Depth=3
	s_or_b32 exec_lo, exec_lo, s22
	s_and_b32 s17, s17, exec_lo
	s_or_saveexec_b32 s18, s18
	v_mov_b32_e32 v31, 0x7f800001
	s_xor_b32 exec_lo, exec_lo, s18
	s_cbranch_execnz .LBB6_8980
.LBB6_8521:                             ;   in Loop: Header=BB6_8366 Depth=3
	s_or_b32 exec_lo, exec_lo, s18
	s_and_saveexec_b32 s18, s17
.LBB6_8522:                             ;   in Loop: Header=BB6_8366 Depth=3
	v_mov_b32_e32 v31, v8
.LBB6_8523:                             ;   in Loop: Header=BB6_8366 Depth=3
	s_or_b32 exec_lo, exec_lo, s18
	v_max_f32_e32 v31, v31, v31
	v_max_f32_e32 v30, v30, v30
	s_mov_b32 s17, 0
	v_max_f32_e32 v31, v30, v31
.LBB6_8524:                             ;   in Loop: Header=BB6_8366 Depth=3
	s_and_b32 vcc_lo, exec_lo, s17
	s_cbranch_vccz .LBB6_8538
; %bb.8525:                             ;   in Loop: Header=BB6_8366 Depth=3
	v_cmp_gt_i16_sdwa s18, v13, v61 src0_sel:BYTE_0 src1_sel:DWORD
	s_mov_b32 s17, 0
	s_and_saveexec_b32 s22, s18
	s_xor_b32 s18, exec_lo, s22
	s_cbranch_execz .LBB6_8981
; %bb.8526:                             ;   in Loop: Header=BB6_8366 Depth=3
	v_cmp_eq_u16_sdwa s23, v13, v62 src0_sel:BYTE_0 src1_sel:DWORD
	s_mov_b32 s17, -1
	s_and_saveexec_b32 s22, s23
; %bb.8527:                             ;   in Loop: Header=BB6_8366 Depth=3
	s_xor_b32 s17, exec_lo, -1
; %bb.8528:                             ;   in Loop: Header=BB6_8366 Depth=3
	s_or_b32 exec_lo, exec_lo, s22
	s_and_b32 s17, s17, exec_lo
	s_or_saveexec_b32 s18, s18
	v_mov_b32_e32 v30, 0x7f800001
	s_xor_b32 exec_lo, exec_lo, s18
	s_cbranch_execnz .LBB6_8982
.LBB6_8529:                             ;   in Loop: Header=BB6_8366 Depth=3
	s_or_b32 exec_lo, exec_lo, s18
	s_and_saveexec_b32 s18, s17
	s_cbranch_execz .LBB6_8531
.LBB6_8530:                             ;   in Loop: Header=BB6_8366 Depth=3
	v_and_b32_e32 v30, 7, v13
	v_bfe_u32 v33, v13, 3, 4
	v_lshlrev_b32_e32 v34, 24, v13
	v_ffbh_u32_e32 v31, v30
	v_cmp_eq_u32_e32 vcc_lo, 0, v33
	v_min_u32_e32 v31, 32, v31
	v_subrev_nc_u32_e32 v32, 28, v31
	v_sub_nc_u32_e32 v31, 29, v31
	v_lshlrev_b32_e32 v32, v32, v13
	v_cndmask_b32_e32 v31, v33, v31, vcc_lo
	v_and_b32_e32 v32, 7, v32
	v_lshl_add_u32 v31, v31, 23, 0x3b800000
	v_cndmask_b32_e32 v30, v30, v32, vcc_lo
	v_and_b32_e32 v32, 0x80000000, v34
	v_lshlrev_b32_e32 v30, 20, v30
	v_or3_b32 v30, v32, v31, v30
.LBB6_8531:                             ;   in Loop: Header=BB6_8366 Depth=3
	s_or_b32 exec_lo, exec_lo, s18
	v_cmp_gt_i16_sdwa s18, v9, v61 src0_sel:BYTE_0 src1_sel:DWORD
	s_mov_b32 s17, 0
	s_and_saveexec_b32 s22, s18
	s_xor_b32 s18, exec_lo, s22
	s_cbranch_execz .LBB6_8983
; %bb.8532:                             ;   in Loop: Header=BB6_8366 Depth=3
	v_cmp_eq_u16_sdwa s23, v9, v62 src0_sel:BYTE_0 src1_sel:DWORD
	s_mov_b32 s17, -1
	s_and_saveexec_b32 s22, s23
; %bb.8533:                             ;   in Loop: Header=BB6_8366 Depth=3
	s_xor_b32 s17, exec_lo, -1
; %bb.8534:                             ;   in Loop: Header=BB6_8366 Depth=3
	s_or_b32 exec_lo, exec_lo, s22
	s_and_b32 s17, s17, exec_lo
	s_or_saveexec_b32 s18, s18
	v_mov_b32_e32 v31, 0x7f800001
	s_xor_b32 exec_lo, exec_lo, s18
	s_cbranch_execnz .LBB6_8984
.LBB6_8535:                             ;   in Loop: Header=BB6_8366 Depth=3
	s_or_b32 exec_lo, exec_lo, s18
	s_and_saveexec_b32 s18, s17
.LBB6_8536:                             ;   in Loop: Header=BB6_8366 Depth=3
	v_mov_b32_e32 v31, v8
.LBB6_8537:                             ;   in Loop: Header=BB6_8366 Depth=3
	s_or_b32 exec_lo, exec_lo, s18
	v_max_f32_e32 v8, v31, v31
	v_max_f32_e32 v30, v30, v30
	v_min_f32_e32 v31, v30, v8
.LBB6_8538:                             ;   in Loop: Header=BB6_8366 Depth=3
	v_and_b32_e32 v8, 0x7f800000, v31
	v_mov_b32_e32 v30, 0x80
	s_mov_b32 s18, exec_lo
	v_cmpx_ne_u32_e32 0x7f800000, v8
	s_cbranch_execz .LBB6_8546
; %bb.8539:                             ;   in Loop: Header=BB6_8366 Depth=3
	v_mov_b32_e32 v30, 0
	s_mov_b32 s22, exec_lo
	v_cmpx_ne_u32_e32 0, v31
	s_cbranch_execz .LBB6_8545
; %bb.8540:                             ;   in Loop: Header=BB6_8366 Depth=3
	v_bfe_u32 v8, v31, 23, 8
	v_and_b32_e32 v30, 0x7fffff, v31
	v_sub_nc_u32_e32 v32, 0x78, v8
	v_cmp_gt_u32_e32 vcc_lo, 0x79, v8
	v_or_b32_e32 v33, 0x800000, v30
	v_cndmask_b32_e32 v32, 0, v32, vcc_lo
	v_cmp_eq_u32_e32 vcc_lo, 0, v8
	v_add_nc_u32_e32 v8, 0xffffff89, v8
	v_cndmask_b32_e64 v32, v32, 0x77, vcc_lo
	v_cndmask_b32_e32 v30, v33, v30, vcc_lo
	v_cndmask_b32_e64 v8, v8, 0xffffff8a, vcc_lo
	v_lshl_add_u32 v33, 0x100000, v32, -1
	v_lshrrev_b32_e32 v34, v32, v30
	v_lshlrev_b32_e64 v36, v32, 0x80000
	v_add_nc_u32_e32 v32, v32, v8
	v_and_b32_e32 v30, v33, v30
	v_bfe_u32 v35, v34, 20, 1
	v_cmp_eq_u32_e64 s17, v30, v36
	v_add_nc_u32_e32 v33, -1, v35
	v_cndmask_b32_e64 v30, 0, v33, s17
	v_lshrrev_b32_e32 v33, 23, v34
	s_mov_b32 s17, exec_lo
	v_add_nc_u32_e32 v30, v30, v34
	v_xor_b32_e32 v33, 1, v33
	v_and_b32_e32 v8, 0xfffff, v30
	v_add_nc_u32_e32 v30, v8, v34
                                        ; implicit-def: $vgpr8
	v_cmpx_ne_u32_e64 v32, v33
	s_xor_b32 s17, exec_lo, s17
; %bb.8541:                             ;   in Loop: Header=BB6_8366 Depth=3
	v_cmp_lt_u32_e32 vcc_lo, 0xffffff, v30
	v_sub_nc_u32_e32 v8, v32, v33
	v_cndmask_b32_e64 v32, 0, 1, vcc_lo
	v_add_co_ci_u32_e64 v8, null, 0, v8, vcc_lo
	v_lshrrev_b32_e32 v30, v32, v30
; %bb.8542:                             ;   in Loop: Header=BB6_8366 Depth=3
	s_andn2_saveexec_b32 s17, s17
; %bb.8543:                             ;   in Loop: Header=BB6_8366 Depth=3
	v_bfe_u32 v8, v30, 23, 1
; %bb.8544:                             ;   in Loop: Header=BB6_8366 Depth=3
	s_or_b32 exec_lo, exec_lo, s17
	v_lshrrev_b32_e32 v30, 20, v30
	v_min_i32_e32 v32, 15, v8
	v_cmp_gt_i32_e32 vcc_lo, 16, v8
	v_and_b32_sdwa v31, v31, v62 dst_sel:DWORD dst_unused:UNUSED_PAD src0_sel:BYTE_3 src1_sel:DWORD
	v_lshlrev_b32_e32 v32, 3, v32
	v_cndmask_b32_e32 v30, 7, v30, vcc_lo
	v_and_b32_e32 v32, 0xf8, v32
	v_and_b32_e32 v33, 7, v30
	v_or_b32_e32 v8, v8, v30
	v_or3_b32 v30, v32, v31, v33
	v_cmp_ne_u32_e32 vcc_lo, 0, v8
	v_cndmask_b32_e32 v30, 0, v30, vcc_lo
.LBB6_8545:                             ;   in Loop: Header=BB6_8366 Depth=3
	s_or_b32 exec_lo, exec_lo, s22
.LBB6_8546:                             ;   in Loop: Header=BB6_8366 Depth=3
	s_or_b32 exec_lo, exec_lo, s18
	v_and_b32_sdwa v8, v63, v9 dst_sel:DWORD dst_unused:UNUSED_PAD src0_sel:DWORD src1_sel:BYTE_1
	v_cmp_gt_i16_sdwa s18, v13, v61 src0_sel:BYTE_1 src1_sel:DWORD
	s_mov_b32 s17, -1
	v_and_b32_e32 v31, 7, v8
	v_bfe_u32 v34, v8, 3, 4
	v_ffbh_u32_e32 v32, v31
	v_cmp_eq_u32_e32 vcc_lo, 0, v34
	v_min_u32_e32 v32, 32, v32
	v_subrev_nc_u32_e32 v33, 28, v32
	v_sub_nc_u32_e32 v32, 29, v32
	v_lshlrev_b32_e32 v8, v33, v8
	v_lshlrev_b32_sdwa v33, v73, v9 dst_sel:DWORD dst_unused:UNUSED_PAD src0_sel:DWORD src1_sel:BYTE_1
	v_cndmask_b32_e32 v32, v34, v32, vcc_lo
	v_and_b32_e32 v8, 7, v8
	v_lshl_add_u32 v32, v32, 23, 0x3b800000
	v_cndmask_b32_e32 v8, v31, v8, vcc_lo
	v_and_b32_e32 v31, 0x80000000, v33
	s_and_b32 vcc_lo, exec_lo, s75
	v_lshlrev_b32_e32 v8, 20, v8
	v_or3_b32 v8, v31, v32, v8
                                        ; implicit-def: $vgpr32
	s_cbranch_vccz .LBB6_8560
; %bb.8547:                             ;   in Loop: Header=BB6_8366 Depth=3
	s_mov_b32 s17, 0
	s_and_saveexec_b32 s22, s18
	s_xor_b32 s18, exec_lo, s22
	s_cbranch_execz .LBB6_8985
; %bb.8548:                             ;   in Loop: Header=BB6_8366 Depth=3
	v_cmp_eq_u16_sdwa s23, v13, v62 src0_sel:BYTE_1 src1_sel:DWORD
	s_mov_b32 s17, -1
	s_and_saveexec_b32 s22, s23
; %bb.8549:                             ;   in Loop: Header=BB6_8366 Depth=3
	s_xor_b32 s17, exec_lo, -1
; %bb.8550:                             ;   in Loop: Header=BB6_8366 Depth=3
	s_or_b32 exec_lo, exec_lo, s22
	s_and_b32 s17, s17, exec_lo
	s_or_saveexec_b32 s18, s18
	v_mov_b32_e32 v31, 0x7f800001
	s_xor_b32 exec_lo, exec_lo, s18
	s_cbranch_execnz .LBB6_8986
.LBB6_8551:                             ;   in Loop: Header=BB6_8366 Depth=3
	s_or_b32 exec_lo, exec_lo, s18
	s_and_saveexec_b32 s18, s17
	s_cbranch_execz .LBB6_8553
.LBB6_8552:                             ;   in Loop: Header=BB6_8366 Depth=3
	v_and_b32_sdwa v31, v63, v13 dst_sel:DWORD dst_unused:UNUSED_PAD src0_sel:DWORD src1_sel:BYTE_1
	v_and_b32_e32 v32, 7, v31
	v_bfe_u32 v35, v31, 3, 4
	v_ffbh_u32_e32 v33, v32
	v_cmp_eq_u32_e32 vcc_lo, 0, v35
	v_min_u32_e32 v33, 32, v33
	v_subrev_nc_u32_e32 v34, 28, v33
	v_sub_nc_u32_e32 v33, 29, v33
	v_lshlrev_b32_e32 v31, v34, v31
	v_lshlrev_b32_e32 v34, 16, v13
	v_cndmask_b32_e32 v33, v35, v33, vcc_lo
	v_and_b32_e32 v31, 7, v31
	v_lshl_add_u32 v33, v33, 23, 0x3b800000
	v_cndmask_b32_e32 v31, v32, v31, vcc_lo
	v_and_b32_e32 v32, 0x80000000, v34
	v_lshlrev_b32_e32 v31, 20, v31
	v_or3_b32 v31, v32, v33, v31
.LBB6_8553:                             ;   in Loop: Header=BB6_8366 Depth=3
	s_or_b32 exec_lo, exec_lo, s18
	v_cmp_gt_i16_sdwa s18, v9, v61 src0_sel:BYTE_1 src1_sel:DWORD
	s_mov_b32 s17, 0
	s_and_saveexec_b32 s22, s18
	s_xor_b32 s18, exec_lo, s22
	s_cbranch_execz .LBB6_8987
; %bb.8554:                             ;   in Loop: Header=BB6_8366 Depth=3
	v_cmp_eq_u16_sdwa s23, v9, v62 src0_sel:BYTE_1 src1_sel:DWORD
	s_mov_b32 s17, -1
	s_and_saveexec_b32 s22, s23
; %bb.8555:                             ;   in Loop: Header=BB6_8366 Depth=3
	s_xor_b32 s17, exec_lo, -1
; %bb.8556:                             ;   in Loop: Header=BB6_8366 Depth=3
	s_or_b32 exec_lo, exec_lo, s22
	s_and_b32 s17, s17, exec_lo
	s_or_saveexec_b32 s18, s18
	v_mov_b32_e32 v32, 0x7f800001
	s_xor_b32 exec_lo, exec_lo, s18
	s_cbranch_execnz .LBB6_8988
.LBB6_8557:                             ;   in Loop: Header=BB6_8366 Depth=3
	s_or_b32 exec_lo, exec_lo, s18
	s_and_saveexec_b32 s18, s17
.LBB6_8558:                             ;   in Loop: Header=BB6_8366 Depth=3
	v_mov_b32_e32 v32, v8
.LBB6_8559:                             ;   in Loop: Header=BB6_8366 Depth=3
	s_or_b32 exec_lo, exec_lo, s18
	v_max_f32_e32 v32, v32, v32
	v_max_f32_e32 v31, v31, v31
	s_mov_b32 s17, 0
	v_max_f32_e32 v32, v31, v32
.LBB6_8560:                             ;   in Loop: Header=BB6_8366 Depth=3
	s_and_b32 vcc_lo, exec_lo, s17
	s_cbranch_vccz .LBB6_8574
; %bb.8561:                             ;   in Loop: Header=BB6_8366 Depth=3
	v_cmp_gt_i16_sdwa s18, v13, v61 src0_sel:BYTE_1 src1_sel:DWORD
	s_mov_b32 s17, 0
	s_and_saveexec_b32 s22, s18
	s_xor_b32 s18, exec_lo, s22
	s_cbranch_execz .LBB6_8989
; %bb.8562:                             ;   in Loop: Header=BB6_8366 Depth=3
	v_cmp_eq_u16_sdwa s23, v13, v62 src0_sel:BYTE_1 src1_sel:DWORD
	s_mov_b32 s17, -1
	s_and_saveexec_b32 s22, s23
; %bb.8563:                             ;   in Loop: Header=BB6_8366 Depth=3
	s_xor_b32 s17, exec_lo, -1
; %bb.8564:                             ;   in Loop: Header=BB6_8366 Depth=3
	s_or_b32 exec_lo, exec_lo, s22
	s_and_b32 s17, s17, exec_lo
	s_or_saveexec_b32 s18, s18
	v_mov_b32_e32 v31, 0x7f800001
	s_xor_b32 exec_lo, exec_lo, s18
	s_cbranch_execnz .LBB6_8990
.LBB6_8565:                             ;   in Loop: Header=BB6_8366 Depth=3
	s_or_b32 exec_lo, exec_lo, s18
	s_and_saveexec_b32 s18, s17
	s_cbranch_execz .LBB6_8567
.LBB6_8566:                             ;   in Loop: Header=BB6_8366 Depth=3
	v_and_b32_sdwa v31, v63, v13 dst_sel:DWORD dst_unused:UNUSED_PAD src0_sel:DWORD src1_sel:BYTE_1
	v_and_b32_e32 v32, 7, v31
	v_bfe_u32 v35, v31, 3, 4
	v_ffbh_u32_e32 v33, v32
	v_cmp_eq_u32_e32 vcc_lo, 0, v35
	v_min_u32_e32 v33, 32, v33
	v_subrev_nc_u32_e32 v34, 28, v33
	v_sub_nc_u32_e32 v33, 29, v33
	v_lshlrev_b32_e32 v31, v34, v31
	v_lshlrev_b32_e32 v34, 16, v13
	v_cndmask_b32_e32 v33, v35, v33, vcc_lo
	v_and_b32_e32 v31, 7, v31
	v_lshl_add_u32 v33, v33, 23, 0x3b800000
	v_cndmask_b32_e32 v31, v32, v31, vcc_lo
	v_and_b32_e32 v32, 0x80000000, v34
	v_lshlrev_b32_e32 v31, 20, v31
	v_or3_b32 v31, v32, v33, v31
.LBB6_8567:                             ;   in Loop: Header=BB6_8366 Depth=3
	s_or_b32 exec_lo, exec_lo, s18
	v_cmp_gt_i16_sdwa s18, v9, v61 src0_sel:BYTE_1 src1_sel:DWORD
	s_mov_b32 s17, 0
	s_and_saveexec_b32 s22, s18
	s_xor_b32 s18, exec_lo, s22
	s_cbranch_execz .LBB6_8991
; %bb.8568:                             ;   in Loop: Header=BB6_8366 Depth=3
	v_cmp_eq_u16_sdwa s23, v9, v62 src0_sel:BYTE_1 src1_sel:DWORD
	s_mov_b32 s17, -1
	s_and_saveexec_b32 s22, s23
; %bb.8569:                             ;   in Loop: Header=BB6_8366 Depth=3
	s_xor_b32 s17, exec_lo, -1
; %bb.8570:                             ;   in Loop: Header=BB6_8366 Depth=3
	s_or_b32 exec_lo, exec_lo, s22
	s_and_b32 s17, s17, exec_lo
	s_or_saveexec_b32 s18, s18
	v_mov_b32_e32 v32, 0x7f800001
	s_xor_b32 exec_lo, exec_lo, s18
	s_cbranch_execnz .LBB6_8992
.LBB6_8571:                             ;   in Loop: Header=BB6_8366 Depth=3
	s_or_b32 exec_lo, exec_lo, s18
	s_and_saveexec_b32 s18, s17
.LBB6_8572:                             ;   in Loop: Header=BB6_8366 Depth=3
	v_mov_b32_e32 v32, v8
.LBB6_8573:                             ;   in Loop: Header=BB6_8366 Depth=3
	s_or_b32 exec_lo, exec_lo, s18
	v_max_f32_e32 v8, v32, v32
	v_max_f32_e32 v31, v31, v31
	v_min_f32_e32 v32, v31, v8
.LBB6_8574:                             ;   in Loop: Header=BB6_8366 Depth=3
	v_and_b32_e32 v8, 0x7f800000, v32
	v_mov_b32_e32 v31, 0x8000
	s_mov_b32 s18, exec_lo
	v_cmpx_ne_u32_e32 0x7f800000, v8
	s_cbranch_execz .LBB6_8582
; %bb.8575:                             ;   in Loop: Header=BB6_8366 Depth=3
	v_mov_b32_e32 v31, 0
	s_mov_b32 s22, exec_lo
	v_cmpx_ne_u32_e32 0, v32
	s_cbranch_execz .LBB6_8581
; %bb.8576:                             ;   in Loop: Header=BB6_8366 Depth=3
	v_bfe_u32 v8, v32, 23, 8
	v_and_b32_e32 v31, 0x7fffff, v32
	v_sub_nc_u32_e32 v33, 0x78, v8
	v_cmp_gt_u32_e32 vcc_lo, 0x79, v8
	v_or_b32_e32 v34, 0x800000, v31
	v_cndmask_b32_e32 v33, 0, v33, vcc_lo
	v_cmp_eq_u32_e32 vcc_lo, 0, v8
	v_add_nc_u32_e32 v8, 0xffffff89, v8
	v_cndmask_b32_e64 v33, v33, 0x77, vcc_lo
	v_cndmask_b32_e32 v31, v34, v31, vcc_lo
	v_cndmask_b32_e64 v8, v8, 0xffffff8a, vcc_lo
	v_lshl_add_u32 v34, 0x100000, v33, -1
	v_lshrrev_b32_e32 v35, v33, v31
	v_lshlrev_b32_e64 v37, v33, 0x80000
	v_add_nc_u32_e32 v33, v33, v8
	v_and_b32_e32 v31, v34, v31
	v_bfe_u32 v36, v35, 20, 1
	v_cmp_eq_u32_e64 s17, v31, v37
	v_add_nc_u32_e32 v34, -1, v36
	v_cndmask_b32_e64 v31, 0, v34, s17
	v_lshrrev_b32_e32 v34, 23, v35
	s_mov_b32 s17, exec_lo
	v_add_nc_u32_e32 v31, v31, v35
	v_xor_b32_e32 v34, 1, v34
	v_and_b32_e32 v8, 0xfffff, v31
	v_add_nc_u32_e32 v31, v8, v35
                                        ; implicit-def: $vgpr8
	v_cmpx_ne_u32_e64 v33, v34
	s_xor_b32 s17, exec_lo, s17
; %bb.8577:                             ;   in Loop: Header=BB6_8366 Depth=3
	v_cmp_lt_u32_e32 vcc_lo, 0xffffff, v31
	v_sub_nc_u32_e32 v8, v33, v34
	v_cndmask_b32_e64 v33, 0, 1, vcc_lo
	v_add_co_ci_u32_e64 v8, null, 0, v8, vcc_lo
	v_lshrrev_b32_e32 v31, v33, v31
; %bb.8578:                             ;   in Loop: Header=BB6_8366 Depth=3
	s_andn2_saveexec_b32 s17, s17
; %bb.8579:                             ;   in Loop: Header=BB6_8366 Depth=3
	v_bfe_u32 v8, v31, 23, 1
; %bb.8580:                             ;   in Loop: Header=BB6_8366 Depth=3
	s_or_b32 exec_lo, exec_lo, s17
	v_lshrrev_b32_e32 v31, 20, v31
	v_min_i32_e32 v33, 15, v8
	v_cmp_gt_i32_e32 vcc_lo, 16, v8
	v_and_b32_sdwa v32, v32, v62 dst_sel:DWORD dst_unused:UNUSED_PAD src0_sel:BYTE_3 src1_sel:DWORD
	v_lshlrev_b32_e32 v33, 3, v33
	v_cndmask_b32_e32 v31, 7, v31, vcc_lo
	v_and_b32_e32 v33, 0xf8, v33
	v_and_b32_e32 v34, 7, v31
	v_or_b32_e32 v8, v8, v31
	v_or3_b32 v32, v32, v33, v34
	v_cmp_ne_u32_e32 vcc_lo, 0, v8
	v_lshlrev_b32_e32 v31, 8, v32
	v_cndmask_b32_e32 v31, 0, v31, vcc_lo
.LBB6_8581:                             ;   in Loop: Header=BB6_8366 Depth=3
	s_or_b32 exec_lo, exec_lo, s22
.LBB6_8582:                             ;   in Loop: Header=BB6_8366 Depth=3
	s_or_b32 exec_lo, exec_lo, s18
	v_bfe_u32 v8, v9, 16, 3
	v_bfe_u32 v34, v9, 19, 4
	v_lshlrev_b32_e32 v35, 8, v9
	s_mov_b32 s18, -1
	v_ffbh_u32_e32 v32, v8
	v_cmp_eq_u32_e32 vcc_lo, 0, v34
	v_min_u32_e32 v32, 32, v32
	v_subrev_nc_u32_e32 v33, 28, v32
	v_sub_nc_u32_e32 v32, 29, v32
	v_lshlrev_b32_sdwa v33, v33, v9 dst_sel:DWORD dst_unused:UNUSED_PAD src0_sel:DWORD src1_sel:WORD_1
	v_cndmask_b32_e32 v32, v34, v32, vcc_lo
	v_and_b32_e32 v33, 7, v33
	v_lshl_add_u32 v34, v32, 23, 0x3b800000
	v_and_b32_sdwa v32, v13, v72 dst_sel:DWORD dst_unused:UNUSED_PAD src0_sel:WORD_1 src1_sel:DWORD
	v_cndmask_b32_e32 v8, v8, v33, vcc_lo
	v_and_b32_e32 v33, 0x80000000, v35
	v_cmp_lt_i16_e64 s17, 0x7f, v32
	s_and_b32 vcc_lo, exec_lo, s75
	v_lshlrev_b32_e32 v8, 20, v8
	v_or3_b32 v8, v33, v34, v8
                                        ; implicit-def: $vgpr33
	s_cbranch_vccz .LBB6_8596
; %bb.8583:                             ;   in Loop: Header=BB6_8366 Depth=3
	s_mov_b32 s18, 0
	s_and_saveexec_b32 s22, s17
	s_xor_b32 s17, exec_lo, s22
	s_cbranch_execz .LBB6_8993
; %bb.8584:                             ;   in Loop: Header=BB6_8366 Depth=3
	s_mov_b32 s18, -1
	s_mov_b32 s22, exec_lo
	v_cmpx_eq_u16_e32 0x80, v32
; %bb.8585:                             ;   in Loop: Header=BB6_8366 Depth=3
	s_xor_b32 s18, exec_lo, -1
; %bb.8586:                             ;   in Loop: Header=BB6_8366 Depth=3
	s_or_b32 exec_lo, exec_lo, s22
	s_and_b32 s18, s18, exec_lo
	s_or_saveexec_b32 s17, s17
	v_mov_b32_e32 v33, 0x7f800001
	s_xor_b32 exec_lo, exec_lo, s17
	s_cbranch_execnz .LBB6_8994
.LBB6_8587:                             ;   in Loop: Header=BB6_8366 Depth=3
	s_or_b32 exec_lo, exec_lo, s17
	s_and_saveexec_b32 s17, s18
	s_cbranch_execz .LBB6_8589
.LBB6_8588:                             ;   in Loop: Header=BB6_8366 Depth=3
	v_bfe_u32 v33, v13, 16, 3
	v_bfe_u32 v36, v13, 19, 4
	v_lshlrev_b32_sdwa v37, v73, v13 dst_sel:DWORD dst_unused:UNUSED_PAD src0_sel:DWORD src1_sel:WORD_1
	v_ffbh_u32_e32 v34, v33
	v_cmp_eq_u32_e32 vcc_lo, 0, v36
	v_min_u32_e32 v34, 32, v34
	v_subrev_nc_u32_e32 v35, 28, v34
	v_sub_nc_u32_e32 v34, 29, v34
	v_lshlrev_b32_sdwa v35, v35, v13 dst_sel:DWORD dst_unused:UNUSED_PAD src0_sel:DWORD src1_sel:WORD_1
	v_cndmask_b32_e32 v34, v36, v34, vcc_lo
	v_and_b32_e32 v35, 7, v35
	v_lshl_add_u32 v34, v34, 23, 0x3b800000
	v_cndmask_b32_e32 v33, v33, v35, vcc_lo
	v_and_b32_e32 v35, 0x80000000, v37
	v_lshlrev_b32_e32 v33, 20, v33
	v_or3_b32 v33, v35, v34, v33
.LBB6_8589:                             ;   in Loop: Header=BB6_8366 Depth=3
	s_or_b32 exec_lo, exec_lo, s17
	v_and_b32_sdwa v35, v9, v72 dst_sel:DWORD dst_unused:UNUSED_PAD src0_sel:WORD_1 src1_sel:DWORD
	s_mov_b32 s17, 0
	s_mov_b32 s18, exec_lo
	v_cmpx_lt_i16_e32 0x7f, v35
	s_xor_b32 s18, exec_lo, s18
	s_cbranch_execz .LBB6_8995
; %bb.8590:                             ;   in Loop: Header=BB6_8366 Depth=3
	s_mov_b32 s17, -1
	s_mov_b32 s22, exec_lo
	v_cmpx_eq_u16_e32 0x80, v35
; %bb.8591:                             ;   in Loop: Header=BB6_8366 Depth=3
	s_xor_b32 s17, exec_lo, -1
; %bb.8592:                             ;   in Loop: Header=BB6_8366 Depth=3
	s_or_b32 exec_lo, exec_lo, s22
	s_and_b32 s17, s17, exec_lo
                                        ; implicit-def: $vgpr35
	s_or_saveexec_b32 s18, s18
	v_mov_b32_e32 v34, 0x7f800001
	s_xor_b32 exec_lo, exec_lo, s18
	s_cbranch_execnz .LBB6_8996
.LBB6_8593:                             ;   in Loop: Header=BB6_8366 Depth=3
	s_or_b32 exec_lo, exec_lo, s18
	s_and_saveexec_b32 s18, s17
.LBB6_8594:                             ;   in Loop: Header=BB6_8366 Depth=3
	v_mov_b32_e32 v34, v8
.LBB6_8595:                             ;   in Loop: Header=BB6_8366 Depth=3
	s_or_b32 exec_lo, exec_lo, s18
	v_max_f32_e32 v34, v34, v34
	v_max_f32_e32 v33, v33, v33
	s_mov_b32 s18, 0
	v_max_f32_e32 v33, v33, v34
.LBB6_8596:                             ;   in Loop: Header=BB6_8366 Depth=3
	s_and_b32 vcc_lo, exec_lo, s18
	s_cbranch_vccz .LBB6_8610
; %bb.8597:                             ;   in Loop: Header=BB6_8366 Depth=3
	s_mov_b32 s17, 0
	s_mov_b32 s18, exec_lo
	v_cmpx_lt_i16_e32 0x7f, v32
	s_xor_b32 s18, exec_lo, s18
	s_cbranch_execz .LBB6_8997
; %bb.8598:                             ;   in Loop: Header=BB6_8366 Depth=3
	s_mov_b32 s17, -1
	s_mov_b32 s22, exec_lo
	v_cmpx_eq_u16_e32 0x80, v32
; %bb.8599:                             ;   in Loop: Header=BB6_8366 Depth=3
	s_xor_b32 s17, exec_lo, -1
; %bb.8600:                             ;   in Loop: Header=BB6_8366 Depth=3
	s_or_b32 exec_lo, exec_lo, s22
	s_and_b32 s17, s17, exec_lo
                                        ; implicit-def: $vgpr32
	s_or_saveexec_b32 s18, s18
	v_mov_b32_e32 v33, 0x7f800001
	s_xor_b32 exec_lo, exec_lo, s18
	s_cbranch_execnz .LBB6_8998
.LBB6_8601:                             ;   in Loop: Header=BB6_8366 Depth=3
	s_or_b32 exec_lo, exec_lo, s18
	s_and_saveexec_b32 s18, s17
	s_cbranch_execz .LBB6_8603
.LBB6_8602:                             ;   in Loop: Header=BB6_8366 Depth=3
	v_bfe_u32 v32, v13, 16, 3
	v_bfe_u32 v35, v13, 19, 4
	v_lshlrev_b32_sdwa v36, v73, v13 dst_sel:DWORD dst_unused:UNUSED_PAD src0_sel:DWORD src1_sel:WORD_1
	v_ffbh_u32_e32 v33, v32
	v_cmp_eq_u32_e32 vcc_lo, 0, v35
	v_min_u32_e32 v33, 32, v33
	v_subrev_nc_u32_e32 v34, 28, v33
	v_sub_nc_u32_e32 v33, 29, v33
	v_lshlrev_b32_sdwa v34, v34, v13 dst_sel:DWORD dst_unused:UNUSED_PAD src0_sel:DWORD src1_sel:WORD_1
	v_cndmask_b32_e32 v33, v35, v33, vcc_lo
	v_and_b32_e32 v34, 7, v34
	v_lshl_add_u32 v33, v33, 23, 0x3b800000
	v_cndmask_b32_e32 v32, v32, v34, vcc_lo
	v_and_b32_e32 v34, 0x80000000, v36
	v_lshlrev_b32_e32 v32, 20, v32
	v_or3_b32 v33, v34, v33, v32
.LBB6_8603:                             ;   in Loop: Header=BB6_8366 Depth=3
	s_or_b32 exec_lo, exec_lo, s18
	v_and_b32_sdwa v34, v9, v72 dst_sel:DWORD dst_unused:UNUSED_PAD src0_sel:WORD_1 src1_sel:DWORD
	s_mov_b32 s17, 0
	s_mov_b32 s18, exec_lo
	v_cmpx_lt_i16_e32 0x7f, v34
	s_xor_b32 s18, exec_lo, s18
	s_cbranch_execz .LBB6_8999
; %bb.8604:                             ;   in Loop: Header=BB6_8366 Depth=3
	s_mov_b32 s17, -1
	s_mov_b32 s22, exec_lo
	v_cmpx_eq_u16_e32 0x80, v34
; %bb.8605:                             ;   in Loop: Header=BB6_8366 Depth=3
	s_xor_b32 s17, exec_lo, -1
; %bb.8606:                             ;   in Loop: Header=BB6_8366 Depth=3
	s_or_b32 exec_lo, exec_lo, s22
	s_and_b32 s17, s17, exec_lo
                                        ; implicit-def: $vgpr34
	s_or_saveexec_b32 s18, s18
	v_mov_b32_e32 v32, 0x7f800001
	s_xor_b32 exec_lo, exec_lo, s18
	s_cbranch_execnz .LBB6_9000
.LBB6_8607:                             ;   in Loop: Header=BB6_8366 Depth=3
	s_or_b32 exec_lo, exec_lo, s18
	s_and_saveexec_b32 s18, s17
.LBB6_8608:                             ;   in Loop: Header=BB6_8366 Depth=3
	v_mov_b32_e32 v32, v8
.LBB6_8609:                             ;   in Loop: Header=BB6_8366 Depth=3
	s_or_b32 exec_lo, exec_lo, s18
	v_max_f32_e32 v8, v32, v32
	v_max_f32_e32 v32, v33, v33
	v_min_f32_e32 v33, v32, v8
.LBB6_8610:                             ;   in Loop: Header=BB6_8366 Depth=3
	v_and_b32_e32 v8, 0x7f800000, v33
	v_mov_b32_e32 v32, 0x80
	s_mov_b32 s18, exec_lo
	v_cmpx_ne_u32_e32 0x7f800000, v8
	s_cbranch_execz .LBB6_8618
; %bb.8611:                             ;   in Loop: Header=BB6_8366 Depth=3
	v_mov_b32_e32 v32, 0
	s_mov_b32 s22, exec_lo
	v_cmpx_ne_u32_e32 0, v33
	s_cbranch_execz .LBB6_8617
; %bb.8612:                             ;   in Loop: Header=BB6_8366 Depth=3
	v_bfe_u32 v8, v33, 23, 8
	v_and_b32_e32 v32, 0x7fffff, v33
	v_sub_nc_u32_e32 v34, 0x78, v8
	v_cmp_gt_u32_e32 vcc_lo, 0x79, v8
	v_or_b32_e32 v35, 0x800000, v32
	v_cndmask_b32_e32 v34, 0, v34, vcc_lo
	v_cmp_eq_u32_e32 vcc_lo, 0, v8
	v_add_nc_u32_e32 v8, 0xffffff89, v8
	v_cndmask_b32_e64 v34, v34, 0x77, vcc_lo
	v_cndmask_b32_e32 v32, v35, v32, vcc_lo
	v_cndmask_b32_e64 v8, v8, 0xffffff8a, vcc_lo
	v_lshl_add_u32 v35, 0x100000, v34, -1
	v_lshrrev_b32_e32 v36, v34, v32
	v_lshlrev_b32_e64 v38, v34, 0x80000
	v_add_nc_u32_e32 v34, v34, v8
	v_and_b32_e32 v32, v35, v32
	v_bfe_u32 v37, v36, 20, 1
	v_cmp_eq_u32_e64 s17, v32, v38
	v_add_nc_u32_e32 v35, -1, v37
	v_cndmask_b32_e64 v32, 0, v35, s17
	v_lshrrev_b32_e32 v35, 23, v36
	s_mov_b32 s17, exec_lo
	v_add_nc_u32_e32 v32, v32, v36
	v_xor_b32_e32 v35, 1, v35
	v_and_b32_e32 v8, 0xfffff, v32
	v_add_nc_u32_e32 v32, v8, v36
                                        ; implicit-def: $vgpr8
	v_cmpx_ne_u32_e64 v34, v35
	s_xor_b32 s17, exec_lo, s17
; %bb.8613:                             ;   in Loop: Header=BB6_8366 Depth=3
	v_cmp_lt_u32_e32 vcc_lo, 0xffffff, v32
	v_sub_nc_u32_e32 v8, v34, v35
	v_cndmask_b32_e64 v34, 0, 1, vcc_lo
	v_add_co_ci_u32_e64 v8, null, 0, v8, vcc_lo
	v_lshrrev_b32_e32 v32, v34, v32
; %bb.8614:                             ;   in Loop: Header=BB6_8366 Depth=3
	s_andn2_saveexec_b32 s17, s17
; %bb.8615:                             ;   in Loop: Header=BB6_8366 Depth=3
	v_bfe_u32 v8, v32, 23, 1
; %bb.8616:                             ;   in Loop: Header=BB6_8366 Depth=3
	s_or_b32 exec_lo, exec_lo, s17
	v_lshrrev_b32_e32 v32, 20, v32
	v_min_i32_e32 v34, 15, v8
	v_cmp_gt_i32_e32 vcc_lo, 16, v8
	v_and_b32_sdwa v33, v33, v62 dst_sel:DWORD dst_unused:UNUSED_PAD src0_sel:BYTE_3 src1_sel:DWORD
	v_lshlrev_b32_e32 v34, 3, v34
	v_cndmask_b32_e32 v32, 7, v32, vcc_lo
	v_and_b32_e32 v34, 0xf8, v34
	v_and_b32_e32 v35, 7, v32
	v_or_b32_e32 v8, v8, v32
	v_or3_b32 v32, v34, v33, v35
	v_cmp_ne_u32_e32 vcc_lo, 0, v8
	v_cndmask_b32_e32 v32, 0, v32, vcc_lo
.LBB6_8617:                             ;   in Loop: Header=BB6_8366 Depth=3
	s_or_b32 exec_lo, exec_lo, s22
.LBB6_8618:                             ;   in Loop: Header=BB6_8366 Depth=3
	s_or_b32 exec_lo, exec_lo, s18
	v_bfe_u32 v8, v9, 24, 3
	v_bfe_u32 v35, v9, 27, 4
	v_cmp_gt_i16_sdwa s18, v13, v61 src0_sel:BYTE_3 src1_sel:DWORD
	s_mov_b32 s17, -1
	v_ffbh_u32_e32 v33, v8
	v_cmp_eq_u32_e32 vcc_lo, 0, v35
	v_min_u32_e32 v33, 32, v33
	v_subrev_nc_u32_e32 v34, 28, v33
	v_sub_nc_u32_e32 v33, 29, v33
	v_lshlrev_b32_sdwa v34, v34, v9 dst_sel:DWORD dst_unused:UNUSED_PAD src0_sel:DWORD src1_sel:BYTE_3
	v_cndmask_b32_e32 v33, v35, v33, vcc_lo
	v_and_b32_e32 v34, 7, v34
	v_lshl_add_u32 v33, v33, 23, 0x3b800000
	v_cndmask_b32_e32 v8, v8, v34, vcc_lo
	v_and_b32_e32 v34, 0x80000000, v9
	s_and_b32 vcc_lo, exec_lo, s75
	v_lshlrev_b32_e32 v8, 20, v8
	v_or3_b32 v8, v34, v33, v8
                                        ; implicit-def: $vgpr33
	s_cbranch_vccz .LBB6_8632
; %bb.8619:                             ;   in Loop: Header=BB6_8366 Depth=3
	s_mov_b32 s17, 0
	s_and_saveexec_b32 s22, s18
	s_xor_b32 s18, exec_lo, s22
	s_cbranch_execz .LBB6_9001
; %bb.8620:                             ;   in Loop: Header=BB6_8366 Depth=3
	v_cmp_eq_u16_sdwa s23, v13, v62 src0_sel:BYTE_3 src1_sel:DWORD
	s_mov_b32 s17, -1
	s_and_saveexec_b32 s22, s23
; %bb.8621:                             ;   in Loop: Header=BB6_8366 Depth=3
	s_xor_b32 s17, exec_lo, -1
; %bb.8622:                             ;   in Loop: Header=BB6_8366 Depth=3
	s_or_b32 exec_lo, exec_lo, s22
	s_and_b32 s17, s17, exec_lo
	s_or_saveexec_b32 s18, s18
	v_mov_b32_e32 v33, 0x7f800001
	s_xor_b32 exec_lo, exec_lo, s18
	s_cbranch_execnz .LBB6_9002
.LBB6_8623:                             ;   in Loop: Header=BB6_8366 Depth=3
	s_or_b32 exec_lo, exec_lo, s18
	s_and_saveexec_b32 s18, s17
	s_cbranch_execz .LBB6_8625
.LBB6_8624:                             ;   in Loop: Header=BB6_8366 Depth=3
	v_bfe_u32 v33, v13, 24, 3
	v_bfe_u32 v36, v13, 27, 4
	v_ffbh_u32_e32 v34, v33
	v_cmp_eq_u32_e32 vcc_lo, 0, v36
	v_min_u32_e32 v34, 32, v34
	v_subrev_nc_u32_e32 v35, 28, v34
	v_sub_nc_u32_e32 v34, 29, v34
	v_lshlrev_b32_sdwa v35, v35, v13 dst_sel:DWORD dst_unused:UNUSED_PAD src0_sel:DWORD src1_sel:BYTE_3
	v_cndmask_b32_e32 v34, v36, v34, vcc_lo
	v_and_b32_e32 v35, 7, v35
	v_lshl_add_u32 v34, v34, 23, 0x3b800000
	v_cndmask_b32_e32 v33, v33, v35, vcc_lo
	v_and_b32_e32 v35, 0x80000000, v13
	v_lshlrev_b32_e32 v33, 20, v33
	v_or3_b32 v33, v35, v34, v33
.LBB6_8625:                             ;   in Loop: Header=BB6_8366 Depth=3
	s_or_b32 exec_lo, exec_lo, s18
	v_cmp_gt_i16_sdwa s18, v9, v61 src0_sel:BYTE_3 src1_sel:DWORD
	s_mov_b32 s17, 0
	s_and_saveexec_b32 s22, s18
	s_xor_b32 s18, exec_lo, s22
	s_cbranch_execz .LBB6_9003
; %bb.8626:                             ;   in Loop: Header=BB6_8366 Depth=3
	v_cmp_eq_u16_sdwa s23, v9, v62 src0_sel:BYTE_3 src1_sel:DWORD
	s_mov_b32 s17, -1
	s_and_saveexec_b32 s22, s23
; %bb.8627:                             ;   in Loop: Header=BB6_8366 Depth=3
	s_xor_b32 s17, exec_lo, -1
; %bb.8628:                             ;   in Loop: Header=BB6_8366 Depth=3
	s_or_b32 exec_lo, exec_lo, s22
	s_and_b32 s17, s17, exec_lo
	s_or_saveexec_b32 s18, s18
	v_mov_b32_e32 v34, 0x7f800001
	s_xor_b32 exec_lo, exec_lo, s18
	s_cbranch_execnz .LBB6_9004
.LBB6_8629:                             ;   in Loop: Header=BB6_8366 Depth=3
	s_or_b32 exec_lo, exec_lo, s18
	s_and_saveexec_b32 s18, s17
.LBB6_8630:                             ;   in Loop: Header=BB6_8366 Depth=3
	v_mov_b32_e32 v34, v8
.LBB6_8631:                             ;   in Loop: Header=BB6_8366 Depth=3
	s_or_b32 exec_lo, exec_lo, s18
	v_max_f32_e32 v34, v34, v34
	v_max_f32_e32 v33, v33, v33
	s_mov_b32 s17, 0
	v_max_f32_e32 v33, v33, v34
.LBB6_8632:                             ;   in Loop: Header=BB6_8366 Depth=3
	s_and_b32 vcc_lo, exec_lo, s17
	s_cbranch_vccz .LBB6_8646
; %bb.8633:                             ;   in Loop: Header=BB6_8366 Depth=3
	v_cmp_gt_i16_sdwa s18, v13, v61 src0_sel:BYTE_3 src1_sel:DWORD
	s_mov_b32 s17, 0
	s_and_saveexec_b32 s22, s18
	s_xor_b32 s18, exec_lo, s22
	s_cbranch_execz .LBB6_9005
; %bb.8634:                             ;   in Loop: Header=BB6_8366 Depth=3
	v_cmp_eq_u16_sdwa s23, v13, v62 src0_sel:BYTE_3 src1_sel:DWORD
	s_mov_b32 s17, -1
	s_and_saveexec_b32 s22, s23
; %bb.8635:                             ;   in Loop: Header=BB6_8366 Depth=3
	s_xor_b32 s17, exec_lo, -1
; %bb.8636:                             ;   in Loop: Header=BB6_8366 Depth=3
	s_or_b32 exec_lo, exec_lo, s22
	s_and_b32 s17, s17, exec_lo
	s_or_saveexec_b32 s18, s18
	v_mov_b32_e32 v33, 0x7f800001
	s_xor_b32 exec_lo, exec_lo, s18
	s_cbranch_execnz .LBB6_9006
.LBB6_8637:                             ;   in Loop: Header=BB6_8366 Depth=3
	s_or_b32 exec_lo, exec_lo, s18
	s_and_saveexec_b32 s18, s17
	s_cbranch_execz .LBB6_8639
.LBB6_8638:                             ;   in Loop: Header=BB6_8366 Depth=3
	v_bfe_u32 v33, v13, 24, 3
	v_bfe_u32 v36, v13, 27, 4
	v_ffbh_u32_e32 v34, v33
	v_cmp_eq_u32_e32 vcc_lo, 0, v36
	v_min_u32_e32 v34, 32, v34
	v_subrev_nc_u32_e32 v35, 28, v34
	v_sub_nc_u32_e32 v34, 29, v34
	v_lshlrev_b32_sdwa v35, v35, v13 dst_sel:DWORD dst_unused:UNUSED_PAD src0_sel:DWORD src1_sel:BYTE_3
	v_cndmask_b32_e32 v34, v36, v34, vcc_lo
	v_and_b32_e32 v13, 0x80000000, v13
	v_and_b32_e32 v35, 7, v35
	v_lshl_add_u32 v34, v34, 23, 0x3b800000
	v_cndmask_b32_e32 v33, v33, v35, vcc_lo
	v_lshlrev_b32_e32 v33, 20, v33
	v_or3_b32 v33, v13, v34, v33
.LBB6_8639:                             ;   in Loop: Header=BB6_8366 Depth=3
	s_or_b32 exec_lo, exec_lo, s18
	v_cmp_gt_i16_sdwa s18, v9, v61 src0_sel:BYTE_3 src1_sel:DWORD
	s_mov_b32 s17, 0
	s_and_saveexec_b32 s22, s18
	s_xor_b32 s18, exec_lo, s22
	s_cbranch_execz .LBB6_9007
; %bb.8640:                             ;   in Loop: Header=BB6_8366 Depth=3
	v_cmp_eq_u16_sdwa s23, v9, v62 src0_sel:BYTE_3 src1_sel:DWORD
	s_mov_b32 s17, -1
	s_and_saveexec_b32 s22, s23
; %bb.8641:                             ;   in Loop: Header=BB6_8366 Depth=3
	s_xor_b32 s17, exec_lo, -1
; %bb.8642:                             ;   in Loop: Header=BB6_8366 Depth=3
	s_or_b32 exec_lo, exec_lo, s22
	s_and_b32 s17, s17, exec_lo
	s_or_saveexec_b32 s18, s18
	v_mov_b32_e32 v13, 0x7f800001
	s_xor_b32 exec_lo, exec_lo, s18
	s_cbranch_execnz .LBB6_9008
.LBB6_8643:                             ;   in Loop: Header=BB6_8366 Depth=3
	s_or_b32 exec_lo, exec_lo, s18
	s_and_saveexec_b32 s18, s17
.LBB6_8644:                             ;   in Loop: Header=BB6_8366 Depth=3
	v_mov_b32_e32 v13, v8
.LBB6_8645:                             ;   in Loop: Header=BB6_8366 Depth=3
	s_or_b32 exec_lo, exec_lo, s18
	v_max_f32_e32 v8, v13, v13
	v_max_f32_e32 v9, v33, v33
	v_min_f32_e32 v33, v9, v8
.LBB6_8646:                             ;   in Loop: Header=BB6_8366 Depth=3
	v_and_b32_e32 v8, 0x7f800000, v33
	v_mov_b32_e32 v13, 0x8000
	s_mov_b32 s18, exec_lo
	v_cmpx_ne_u32_e32 0x7f800000, v8
	s_cbranch_execz .LBB6_8654
; %bb.8647:                             ;   in Loop: Header=BB6_8366 Depth=3
	v_mov_b32_e32 v13, 0
	s_mov_b32 s22, exec_lo
	v_cmpx_ne_u32_e32 0, v33
	s_cbranch_execz .LBB6_8653
; %bb.8648:                             ;   in Loop: Header=BB6_8366 Depth=3
	v_bfe_u32 v8, v33, 23, 8
	v_and_b32_e32 v9, 0x7fffff, v33
	v_sub_nc_u32_e32 v13, 0x78, v8
	v_cmp_gt_u32_e32 vcc_lo, 0x79, v8
	v_or_b32_e32 v34, 0x800000, v9
	v_cndmask_b32_e32 v13, 0, v13, vcc_lo
	v_cmp_eq_u32_e32 vcc_lo, 0, v8
	v_add_nc_u32_e32 v8, 0xffffff89, v8
	v_cndmask_b32_e64 v13, v13, 0x77, vcc_lo
	v_cndmask_b32_e32 v9, v34, v9, vcc_lo
	v_cndmask_b32_e64 v8, v8, 0xffffff8a, vcc_lo
	v_lshl_add_u32 v34, 0x100000, v13, -1
	v_lshrrev_b32_e32 v35, v13, v9
	v_lshlrev_b32_e64 v37, v13, 0x80000
	v_add_nc_u32_e32 v13, v13, v8
	v_and_b32_e32 v9, v34, v9
	v_bfe_u32 v36, v35, 20, 1
	v_cmp_eq_u32_e64 s17, v9, v37
	v_add_nc_u32_e32 v34, -1, v36
	v_cndmask_b32_e64 v9, 0, v34, s17
	v_lshrrev_b32_e32 v34, 23, v35
	s_mov_b32 s17, exec_lo
	v_add_nc_u32_e32 v9, v9, v35
	v_xor_b32_e32 v34, 1, v34
	v_and_b32_e32 v8, 0xfffff, v9
	v_add_nc_u32_e32 v9, v8, v35
                                        ; implicit-def: $vgpr8
	v_cmpx_ne_u32_e64 v13, v34
	s_xor_b32 s17, exec_lo, s17
; %bb.8649:                             ;   in Loop: Header=BB6_8366 Depth=3
	v_cmp_lt_u32_e32 vcc_lo, 0xffffff, v9
	v_sub_nc_u32_e32 v8, v13, v34
	v_cndmask_b32_e64 v13, 0, 1, vcc_lo
	v_add_co_ci_u32_e64 v8, null, 0, v8, vcc_lo
	v_lshrrev_b32_e32 v9, v13, v9
; %bb.8650:                             ;   in Loop: Header=BB6_8366 Depth=3
	s_andn2_saveexec_b32 s17, s17
; %bb.8651:                             ;   in Loop: Header=BB6_8366 Depth=3
	v_bfe_u32 v8, v9, 23, 1
; %bb.8652:                             ;   in Loop: Header=BB6_8366 Depth=3
	s_or_b32 exec_lo, exec_lo, s17
	v_lshrrev_b32_e32 v9, 20, v9
	v_min_i32_e32 v13, 15, v8
	v_cmp_gt_i32_e32 vcc_lo, 16, v8
	v_and_b32_sdwa v33, v33, v62 dst_sel:DWORD dst_unused:UNUSED_PAD src0_sel:BYTE_3 src1_sel:DWORD
	v_lshlrev_b32_e32 v13, 3, v13
	v_cndmask_b32_e32 v9, 7, v9, vcc_lo
	v_and_b32_e32 v13, 0xf8, v13
	v_and_b32_e32 v34, 7, v9
	v_or_b32_e32 v8, v8, v9
	v_or3_b32 v13, v33, v13, v34
	v_cmp_ne_u32_e32 vcc_lo, 0, v8
	v_lshlrev_b32_e32 v9, 8, v13
	v_cndmask_b32_e32 v13, 0, v9, vcc_lo
.LBB6_8653:                             ;   in Loop: Header=BB6_8366 Depth=3
	s_or_b32 exec_lo, exec_lo, s22
.LBB6_8654:                             ;   in Loop: Header=BB6_8366 Depth=3
	s_or_b32 exec_lo, exec_lo, s18
	v_and_b32_e32 v8, 7, v10
	v_bfe_u32 v34, v10, 3, 4
	v_lshlrev_b32_e32 v35, 24, v10
	v_cmp_gt_i16_sdwa s18, v14, v61 src0_sel:BYTE_0 src1_sel:DWORD
	s_mov_b32 s17, -1
	v_ffbh_u32_e32 v9, v8
	v_cmp_eq_u32_e32 vcc_lo, 0, v34
	v_min_u32_e32 v9, 32, v9
	v_subrev_nc_u32_e32 v33, 28, v9
	v_sub_nc_u32_e32 v9, 29, v9
	v_lshlrev_b32_e32 v33, v33, v10
	v_cndmask_b32_e32 v9, v34, v9, vcc_lo
	v_and_b32_e32 v33, 7, v33
	v_lshl_add_u32 v9, v9, 23, 0x3b800000
	v_cndmask_b32_e32 v8, v8, v33, vcc_lo
	v_and_b32_e32 v33, 0x80000000, v35
	s_and_b32 vcc_lo, exec_lo, s75
	v_lshlrev_b32_e32 v8, 20, v8
	v_or3_b32 v8, v33, v9, v8
                                        ; implicit-def: $vgpr9
	s_cbranch_vccz .LBB6_8668
; %bb.8655:                             ;   in Loop: Header=BB6_8366 Depth=3
	s_mov_b32 s17, 0
	s_and_saveexec_b32 s22, s18
	s_xor_b32 s18, exec_lo, s22
	s_cbranch_execz .LBB6_9009
; %bb.8656:                             ;   in Loop: Header=BB6_8366 Depth=3
	v_cmp_eq_u16_sdwa s23, v14, v62 src0_sel:BYTE_0 src1_sel:DWORD
	s_mov_b32 s17, -1
	s_and_saveexec_b32 s22, s23
; %bb.8657:                             ;   in Loop: Header=BB6_8366 Depth=3
	s_xor_b32 s17, exec_lo, -1
; %bb.8658:                             ;   in Loop: Header=BB6_8366 Depth=3
	s_or_b32 exec_lo, exec_lo, s22
	s_and_b32 s17, s17, exec_lo
	s_or_saveexec_b32 s18, s18
	v_mov_b32_e32 v9, 0x7f800001
	s_xor_b32 exec_lo, exec_lo, s18
	s_cbranch_execnz .LBB6_9010
.LBB6_8659:                             ;   in Loop: Header=BB6_8366 Depth=3
	s_or_b32 exec_lo, exec_lo, s18
	s_and_saveexec_b32 s18, s17
	s_cbranch_execz .LBB6_8661
.LBB6_8660:                             ;   in Loop: Header=BB6_8366 Depth=3
	v_and_b32_e32 v9, 7, v14
	v_bfe_u32 v35, v14, 3, 4
	v_lshlrev_b32_e32 v36, 24, v14
	v_ffbh_u32_e32 v33, v9
	v_cmp_eq_u32_e32 vcc_lo, 0, v35
	v_min_u32_e32 v33, 32, v33
	v_subrev_nc_u32_e32 v34, 28, v33
	v_sub_nc_u32_e32 v33, 29, v33
	v_lshlrev_b32_e32 v34, v34, v14
	v_cndmask_b32_e32 v33, v35, v33, vcc_lo
	v_and_b32_e32 v34, 7, v34
	v_lshl_add_u32 v33, v33, 23, 0x3b800000
	v_cndmask_b32_e32 v9, v9, v34, vcc_lo
	v_and_b32_e32 v34, 0x80000000, v36
	v_lshlrev_b32_e32 v9, 20, v9
	v_or3_b32 v9, v34, v33, v9
.LBB6_8661:                             ;   in Loop: Header=BB6_8366 Depth=3
	s_or_b32 exec_lo, exec_lo, s18
	v_cmp_gt_i16_sdwa s18, v10, v61 src0_sel:BYTE_0 src1_sel:DWORD
	s_mov_b32 s17, 0
	s_and_saveexec_b32 s22, s18
	s_xor_b32 s18, exec_lo, s22
	s_cbranch_execz .LBB6_9011
; %bb.8662:                             ;   in Loop: Header=BB6_8366 Depth=3
	v_cmp_eq_u16_sdwa s23, v10, v62 src0_sel:BYTE_0 src1_sel:DWORD
	s_mov_b32 s17, -1
	s_and_saveexec_b32 s22, s23
; %bb.8663:                             ;   in Loop: Header=BB6_8366 Depth=3
	s_xor_b32 s17, exec_lo, -1
; %bb.8664:                             ;   in Loop: Header=BB6_8366 Depth=3
	s_or_b32 exec_lo, exec_lo, s22
	s_and_b32 s17, s17, exec_lo
	s_or_saveexec_b32 s18, s18
	v_mov_b32_e32 v33, 0x7f800001
	s_xor_b32 exec_lo, exec_lo, s18
	s_cbranch_execnz .LBB6_9012
.LBB6_8665:                             ;   in Loop: Header=BB6_8366 Depth=3
	s_or_b32 exec_lo, exec_lo, s18
	s_and_saveexec_b32 s18, s17
.LBB6_8666:                             ;   in Loop: Header=BB6_8366 Depth=3
	v_mov_b32_e32 v33, v8
.LBB6_8667:                             ;   in Loop: Header=BB6_8366 Depth=3
	s_or_b32 exec_lo, exec_lo, s18
	v_max_f32_e32 v33, v33, v33
	v_max_f32_e32 v9, v9, v9
	s_mov_b32 s17, 0
	v_max_f32_e32 v9, v9, v33
.LBB6_8668:                             ;   in Loop: Header=BB6_8366 Depth=3
	s_and_b32 vcc_lo, exec_lo, s17
	s_cbranch_vccz .LBB6_8682
; %bb.8669:                             ;   in Loop: Header=BB6_8366 Depth=3
	v_cmp_gt_i16_sdwa s18, v14, v61 src0_sel:BYTE_0 src1_sel:DWORD
	s_mov_b32 s17, 0
	s_and_saveexec_b32 s22, s18
	s_xor_b32 s18, exec_lo, s22
	s_cbranch_execz .LBB6_9013
; %bb.8670:                             ;   in Loop: Header=BB6_8366 Depth=3
	v_cmp_eq_u16_sdwa s23, v14, v62 src0_sel:BYTE_0 src1_sel:DWORD
	s_mov_b32 s17, -1
	s_and_saveexec_b32 s22, s23
; %bb.8671:                             ;   in Loop: Header=BB6_8366 Depth=3
	s_xor_b32 s17, exec_lo, -1
; %bb.8672:                             ;   in Loop: Header=BB6_8366 Depth=3
	s_or_b32 exec_lo, exec_lo, s22
	s_and_b32 s17, s17, exec_lo
	s_or_saveexec_b32 s18, s18
	v_mov_b32_e32 v9, 0x7f800001
	s_xor_b32 exec_lo, exec_lo, s18
	s_cbranch_execnz .LBB6_9014
.LBB6_8673:                             ;   in Loop: Header=BB6_8366 Depth=3
	s_or_b32 exec_lo, exec_lo, s18
	s_and_saveexec_b32 s18, s17
	s_cbranch_execz .LBB6_8675
.LBB6_8674:                             ;   in Loop: Header=BB6_8366 Depth=3
	v_and_b32_e32 v9, 7, v14
	v_bfe_u32 v35, v14, 3, 4
	v_lshlrev_b32_e32 v36, 24, v14
	v_ffbh_u32_e32 v33, v9
	v_cmp_eq_u32_e32 vcc_lo, 0, v35
	v_min_u32_e32 v33, 32, v33
	v_subrev_nc_u32_e32 v34, 28, v33
	v_sub_nc_u32_e32 v33, 29, v33
	v_lshlrev_b32_e32 v34, v34, v14
	v_cndmask_b32_e32 v33, v35, v33, vcc_lo
	v_and_b32_e32 v34, 7, v34
	v_lshl_add_u32 v33, v33, 23, 0x3b800000
	v_cndmask_b32_e32 v9, v9, v34, vcc_lo
	v_and_b32_e32 v34, 0x80000000, v36
	v_lshlrev_b32_e32 v9, 20, v9
	v_or3_b32 v9, v34, v33, v9
.LBB6_8675:                             ;   in Loop: Header=BB6_8366 Depth=3
	s_or_b32 exec_lo, exec_lo, s18
	v_cmp_gt_i16_sdwa s18, v10, v61 src0_sel:BYTE_0 src1_sel:DWORD
	s_mov_b32 s17, 0
	s_and_saveexec_b32 s22, s18
	s_xor_b32 s18, exec_lo, s22
	s_cbranch_execz .LBB6_9015
; %bb.8676:                             ;   in Loop: Header=BB6_8366 Depth=3
	v_cmp_eq_u16_sdwa s23, v10, v62 src0_sel:BYTE_0 src1_sel:DWORD
	s_mov_b32 s17, -1
	s_and_saveexec_b32 s22, s23
; %bb.8677:                             ;   in Loop: Header=BB6_8366 Depth=3
	s_xor_b32 s17, exec_lo, -1
; %bb.8678:                             ;   in Loop: Header=BB6_8366 Depth=3
	s_or_b32 exec_lo, exec_lo, s22
	s_and_b32 s17, s17, exec_lo
	s_or_saveexec_b32 s18, s18
	v_mov_b32_e32 v33, 0x7f800001
	s_xor_b32 exec_lo, exec_lo, s18
	s_cbranch_execnz .LBB6_9016
.LBB6_8679:                             ;   in Loop: Header=BB6_8366 Depth=3
	s_or_b32 exec_lo, exec_lo, s18
	s_and_saveexec_b32 s18, s17
.LBB6_8680:                             ;   in Loop: Header=BB6_8366 Depth=3
	v_mov_b32_e32 v33, v8
.LBB6_8681:                             ;   in Loop: Header=BB6_8366 Depth=3
	s_or_b32 exec_lo, exec_lo, s18
	v_max_f32_e32 v8, v33, v33
	v_max_f32_e32 v9, v9, v9
	v_min_f32_e32 v9, v9, v8
.LBB6_8682:                             ;   in Loop: Header=BB6_8366 Depth=3
	v_and_b32_e32 v8, 0x7f800000, v9
	v_mov_b32_e32 v33, 0x80
	s_mov_b32 s18, exec_lo
	v_cmpx_ne_u32_e32 0x7f800000, v8
	s_cbranch_execz .LBB6_8690
; %bb.8683:                             ;   in Loop: Header=BB6_8366 Depth=3
	v_mov_b32_e32 v33, 0
	s_mov_b32 s22, exec_lo
	v_cmpx_ne_u32_e32 0, v9
	s_cbranch_execz .LBB6_8689
; %bb.8684:                             ;   in Loop: Header=BB6_8366 Depth=3
	v_bfe_u32 v8, v9, 23, 8
	v_and_b32_e32 v33, 0x7fffff, v9
	v_sub_nc_u32_e32 v34, 0x78, v8
	v_cmp_gt_u32_e32 vcc_lo, 0x79, v8
	v_or_b32_e32 v35, 0x800000, v33
	v_cndmask_b32_e32 v34, 0, v34, vcc_lo
	v_cmp_eq_u32_e32 vcc_lo, 0, v8
	v_add_nc_u32_e32 v8, 0xffffff89, v8
	v_cndmask_b32_e64 v34, v34, 0x77, vcc_lo
	v_cndmask_b32_e32 v33, v35, v33, vcc_lo
	v_cndmask_b32_e64 v8, v8, 0xffffff8a, vcc_lo
	v_lshl_add_u32 v35, 0x100000, v34, -1
	v_lshrrev_b32_e32 v36, v34, v33
	v_lshlrev_b32_e64 v38, v34, 0x80000
	v_add_nc_u32_e32 v34, v34, v8
	v_and_b32_e32 v33, v35, v33
	v_bfe_u32 v37, v36, 20, 1
	v_cmp_eq_u32_e64 s17, v33, v38
	v_add_nc_u32_e32 v35, -1, v37
	v_cndmask_b32_e64 v33, 0, v35, s17
	v_lshrrev_b32_e32 v35, 23, v36
	s_mov_b32 s17, exec_lo
	v_add_nc_u32_e32 v33, v33, v36
	v_xor_b32_e32 v35, 1, v35
	v_and_b32_e32 v8, 0xfffff, v33
	v_add_nc_u32_e32 v33, v8, v36
                                        ; implicit-def: $vgpr8
	v_cmpx_ne_u32_e64 v34, v35
	s_xor_b32 s17, exec_lo, s17
; %bb.8685:                             ;   in Loop: Header=BB6_8366 Depth=3
	v_cmp_lt_u32_e32 vcc_lo, 0xffffff, v33
	v_sub_nc_u32_e32 v8, v34, v35
	v_cndmask_b32_e64 v34, 0, 1, vcc_lo
	v_add_co_ci_u32_e64 v8, null, 0, v8, vcc_lo
	v_lshrrev_b32_e32 v33, v34, v33
; %bb.8686:                             ;   in Loop: Header=BB6_8366 Depth=3
	s_andn2_saveexec_b32 s17, s17
; %bb.8687:                             ;   in Loop: Header=BB6_8366 Depth=3
	v_bfe_u32 v8, v33, 23, 1
; %bb.8688:                             ;   in Loop: Header=BB6_8366 Depth=3
	s_or_b32 exec_lo, exec_lo, s17
	v_lshrrev_b32_e32 v33, 20, v33
	v_min_i32_e32 v34, 15, v8
	v_cmp_gt_i32_e32 vcc_lo, 16, v8
	v_and_b32_sdwa v9, v9, v62 dst_sel:DWORD dst_unused:UNUSED_PAD src0_sel:BYTE_3 src1_sel:DWORD
	v_lshlrev_b32_e32 v34, 3, v34
	v_cndmask_b32_e32 v33, 7, v33, vcc_lo
	v_and_b32_e32 v34, 0xf8, v34
	v_and_b32_e32 v35, 7, v33
	v_or_b32_e32 v8, v8, v33
	v_or3_b32 v9, v34, v9, v35
	v_cmp_ne_u32_e32 vcc_lo, 0, v8
	v_cndmask_b32_e32 v33, 0, v9, vcc_lo
.LBB6_8689:                             ;   in Loop: Header=BB6_8366 Depth=3
	s_or_b32 exec_lo, exec_lo, s22
.LBB6_8690:                             ;   in Loop: Header=BB6_8366 Depth=3
	s_or_b32 exec_lo, exec_lo, s18
	v_and_b32_sdwa v8, v63, v10 dst_sel:DWORD dst_unused:UNUSED_PAD src0_sel:DWORD src1_sel:BYTE_1
	v_cmp_gt_i16_sdwa s18, v14, v61 src0_sel:BYTE_1 src1_sel:DWORD
	s_mov_b32 s17, -1
	v_and_b32_e32 v9, 7, v8
	v_bfe_u32 v36, v8, 3, 4
	v_ffbh_u32_e32 v34, v9
	v_cmp_eq_u32_e32 vcc_lo, 0, v36
	v_min_u32_e32 v34, 32, v34
	v_subrev_nc_u32_e32 v35, 28, v34
	v_sub_nc_u32_e32 v34, 29, v34
	v_lshlrev_b32_e32 v8, v35, v8
	v_lshlrev_b32_sdwa v35, v73, v10 dst_sel:DWORD dst_unused:UNUSED_PAD src0_sel:DWORD src1_sel:BYTE_1
	v_cndmask_b32_e32 v34, v36, v34, vcc_lo
	v_and_b32_e32 v8, 7, v8
	v_lshl_add_u32 v34, v34, 23, 0x3b800000
	v_cndmask_b32_e32 v8, v9, v8, vcc_lo
	v_and_b32_e32 v9, 0x80000000, v35
	s_and_b32 vcc_lo, exec_lo, s75
	v_lshlrev_b32_e32 v8, 20, v8
	v_or3_b32 v8, v9, v34, v8
                                        ; implicit-def: $vgpr9
	s_cbranch_vccz .LBB6_8704
; %bb.8691:                             ;   in Loop: Header=BB6_8366 Depth=3
	s_mov_b32 s17, 0
	s_and_saveexec_b32 s22, s18
	s_xor_b32 s18, exec_lo, s22
	s_cbranch_execz .LBB6_9017
; %bb.8692:                             ;   in Loop: Header=BB6_8366 Depth=3
	v_cmp_eq_u16_sdwa s23, v14, v62 src0_sel:BYTE_1 src1_sel:DWORD
	s_mov_b32 s17, -1
	s_and_saveexec_b32 s22, s23
; %bb.8693:                             ;   in Loop: Header=BB6_8366 Depth=3
	s_xor_b32 s17, exec_lo, -1
; %bb.8694:                             ;   in Loop: Header=BB6_8366 Depth=3
	s_or_b32 exec_lo, exec_lo, s22
	s_and_b32 s17, s17, exec_lo
	s_or_saveexec_b32 s18, s18
	v_mov_b32_e32 v9, 0x7f800001
	s_xor_b32 exec_lo, exec_lo, s18
	s_cbranch_execnz .LBB6_9018
.LBB6_8695:                             ;   in Loop: Header=BB6_8366 Depth=3
	s_or_b32 exec_lo, exec_lo, s18
	s_and_saveexec_b32 s18, s17
	s_cbranch_execz .LBB6_8697
.LBB6_8696:                             ;   in Loop: Header=BB6_8366 Depth=3
	v_and_b32_sdwa v9, v63, v14 dst_sel:DWORD dst_unused:UNUSED_PAD src0_sel:DWORD src1_sel:BYTE_1
	v_and_b32_e32 v34, 7, v9
	v_bfe_u32 v37, v9, 3, 4
	v_ffbh_u32_e32 v35, v34
	v_cmp_eq_u32_e32 vcc_lo, 0, v37
	v_min_u32_e32 v35, 32, v35
	v_subrev_nc_u32_e32 v36, 28, v35
	v_sub_nc_u32_e32 v35, 29, v35
	v_lshlrev_b32_e32 v9, v36, v9
	v_lshlrev_b32_e32 v36, 16, v14
	v_cndmask_b32_e32 v35, v37, v35, vcc_lo
	v_and_b32_e32 v9, 7, v9
	v_lshl_add_u32 v35, v35, 23, 0x3b800000
	v_cndmask_b32_e32 v9, v34, v9, vcc_lo
	v_and_b32_e32 v34, 0x80000000, v36
	v_lshlrev_b32_e32 v9, 20, v9
	v_or3_b32 v9, v34, v35, v9
.LBB6_8697:                             ;   in Loop: Header=BB6_8366 Depth=3
	s_or_b32 exec_lo, exec_lo, s18
	v_cmp_gt_i16_sdwa s18, v10, v61 src0_sel:BYTE_1 src1_sel:DWORD
	s_mov_b32 s17, 0
	s_and_saveexec_b32 s22, s18
	s_xor_b32 s18, exec_lo, s22
	s_cbranch_execz .LBB6_9019
; %bb.8698:                             ;   in Loop: Header=BB6_8366 Depth=3
	v_cmp_eq_u16_sdwa s23, v10, v62 src0_sel:BYTE_1 src1_sel:DWORD
	s_mov_b32 s17, -1
	s_and_saveexec_b32 s22, s23
; %bb.8699:                             ;   in Loop: Header=BB6_8366 Depth=3
	s_xor_b32 s17, exec_lo, -1
; %bb.8700:                             ;   in Loop: Header=BB6_8366 Depth=3
	s_or_b32 exec_lo, exec_lo, s22
	s_and_b32 s17, s17, exec_lo
	s_or_saveexec_b32 s18, s18
	v_mov_b32_e32 v34, 0x7f800001
	s_xor_b32 exec_lo, exec_lo, s18
	s_cbranch_execnz .LBB6_9020
.LBB6_8701:                             ;   in Loop: Header=BB6_8366 Depth=3
	s_or_b32 exec_lo, exec_lo, s18
	s_and_saveexec_b32 s18, s17
.LBB6_8702:                             ;   in Loop: Header=BB6_8366 Depth=3
	v_mov_b32_e32 v34, v8
.LBB6_8703:                             ;   in Loop: Header=BB6_8366 Depth=3
	s_or_b32 exec_lo, exec_lo, s18
	v_max_f32_e32 v34, v34, v34
	v_max_f32_e32 v9, v9, v9
	s_mov_b32 s17, 0
	v_max_f32_e32 v9, v9, v34
.LBB6_8704:                             ;   in Loop: Header=BB6_8366 Depth=3
	s_and_b32 vcc_lo, exec_lo, s17
	s_cbranch_vccz .LBB6_8718
; %bb.8705:                             ;   in Loop: Header=BB6_8366 Depth=3
	v_cmp_gt_i16_sdwa s18, v14, v61 src0_sel:BYTE_1 src1_sel:DWORD
	s_mov_b32 s17, 0
	s_and_saveexec_b32 s22, s18
	s_xor_b32 s18, exec_lo, s22
	s_cbranch_execz .LBB6_9021
; %bb.8706:                             ;   in Loop: Header=BB6_8366 Depth=3
	v_cmp_eq_u16_sdwa s23, v14, v62 src0_sel:BYTE_1 src1_sel:DWORD
	s_mov_b32 s17, -1
	s_and_saveexec_b32 s22, s23
; %bb.8707:                             ;   in Loop: Header=BB6_8366 Depth=3
	s_xor_b32 s17, exec_lo, -1
; %bb.8708:                             ;   in Loop: Header=BB6_8366 Depth=3
	s_or_b32 exec_lo, exec_lo, s22
	s_and_b32 s17, s17, exec_lo
	s_or_saveexec_b32 s18, s18
	v_mov_b32_e32 v9, 0x7f800001
	s_xor_b32 exec_lo, exec_lo, s18
	s_cbranch_execnz .LBB6_9022
.LBB6_8709:                             ;   in Loop: Header=BB6_8366 Depth=3
	s_or_b32 exec_lo, exec_lo, s18
	s_and_saveexec_b32 s18, s17
	s_cbranch_execz .LBB6_8711
.LBB6_8710:                             ;   in Loop: Header=BB6_8366 Depth=3
	v_and_b32_sdwa v9, v63, v14 dst_sel:DWORD dst_unused:UNUSED_PAD src0_sel:DWORD src1_sel:BYTE_1
	v_and_b32_e32 v34, 7, v9
	v_bfe_u32 v37, v9, 3, 4
	v_ffbh_u32_e32 v35, v34
	v_cmp_eq_u32_e32 vcc_lo, 0, v37
	v_min_u32_e32 v35, 32, v35
	v_subrev_nc_u32_e32 v36, 28, v35
	v_sub_nc_u32_e32 v35, 29, v35
	v_lshlrev_b32_e32 v9, v36, v9
	v_lshlrev_b32_e32 v36, 16, v14
	v_cndmask_b32_e32 v35, v37, v35, vcc_lo
	v_and_b32_e32 v9, 7, v9
	v_lshl_add_u32 v35, v35, 23, 0x3b800000
	v_cndmask_b32_e32 v9, v34, v9, vcc_lo
	v_and_b32_e32 v34, 0x80000000, v36
	v_lshlrev_b32_e32 v9, 20, v9
	v_or3_b32 v9, v34, v35, v9
.LBB6_8711:                             ;   in Loop: Header=BB6_8366 Depth=3
	s_or_b32 exec_lo, exec_lo, s18
	v_cmp_gt_i16_sdwa s18, v10, v61 src0_sel:BYTE_1 src1_sel:DWORD
	s_mov_b32 s17, 0
	s_and_saveexec_b32 s22, s18
	s_xor_b32 s18, exec_lo, s22
	s_cbranch_execz .LBB6_9023
; %bb.8712:                             ;   in Loop: Header=BB6_8366 Depth=3
	v_cmp_eq_u16_sdwa s23, v10, v62 src0_sel:BYTE_1 src1_sel:DWORD
	s_mov_b32 s17, -1
	s_and_saveexec_b32 s22, s23
; %bb.8713:                             ;   in Loop: Header=BB6_8366 Depth=3
	s_xor_b32 s17, exec_lo, -1
; %bb.8714:                             ;   in Loop: Header=BB6_8366 Depth=3
	s_or_b32 exec_lo, exec_lo, s22
	s_and_b32 s17, s17, exec_lo
	s_or_saveexec_b32 s18, s18
	v_mov_b32_e32 v34, 0x7f800001
	s_xor_b32 exec_lo, exec_lo, s18
	s_cbranch_execnz .LBB6_9024
.LBB6_8715:                             ;   in Loop: Header=BB6_8366 Depth=3
	s_or_b32 exec_lo, exec_lo, s18
	s_and_saveexec_b32 s18, s17
.LBB6_8716:                             ;   in Loop: Header=BB6_8366 Depth=3
	v_mov_b32_e32 v34, v8
.LBB6_8717:                             ;   in Loop: Header=BB6_8366 Depth=3
	s_or_b32 exec_lo, exec_lo, s18
	v_max_f32_e32 v8, v34, v34
	v_max_f32_e32 v9, v9, v9
	v_min_f32_e32 v9, v9, v8
.LBB6_8718:                             ;   in Loop: Header=BB6_8366 Depth=3
	v_and_b32_e32 v8, 0x7f800000, v9
	v_mov_b32_e32 v34, 0x8000
	s_mov_b32 s18, exec_lo
	v_cmpx_ne_u32_e32 0x7f800000, v8
	s_cbranch_execz .LBB6_8726
; %bb.8719:                             ;   in Loop: Header=BB6_8366 Depth=3
	v_mov_b32_e32 v34, 0
	s_mov_b32 s22, exec_lo
	v_cmpx_ne_u32_e32 0, v9
	s_cbranch_execz .LBB6_8725
; %bb.8720:                             ;   in Loop: Header=BB6_8366 Depth=3
	v_bfe_u32 v8, v9, 23, 8
	v_and_b32_e32 v34, 0x7fffff, v9
	v_sub_nc_u32_e32 v35, 0x78, v8
	v_cmp_gt_u32_e32 vcc_lo, 0x79, v8
	v_or_b32_e32 v36, 0x800000, v34
	v_cndmask_b32_e32 v35, 0, v35, vcc_lo
	v_cmp_eq_u32_e32 vcc_lo, 0, v8
	v_add_nc_u32_e32 v8, 0xffffff89, v8
	v_cndmask_b32_e64 v35, v35, 0x77, vcc_lo
	v_cndmask_b32_e32 v34, v36, v34, vcc_lo
	v_cndmask_b32_e64 v8, v8, 0xffffff8a, vcc_lo
	v_lshl_add_u32 v36, 0x100000, v35, -1
	v_lshrrev_b32_e32 v37, v35, v34
	v_lshlrev_b32_e64 v39, v35, 0x80000
	v_add_nc_u32_e32 v35, v35, v8
	v_and_b32_e32 v34, v36, v34
	v_bfe_u32 v38, v37, 20, 1
	v_cmp_eq_u32_e64 s17, v34, v39
	v_add_nc_u32_e32 v36, -1, v38
	v_cndmask_b32_e64 v34, 0, v36, s17
	v_lshrrev_b32_e32 v36, 23, v37
	s_mov_b32 s17, exec_lo
	v_add_nc_u32_e32 v34, v34, v37
	v_xor_b32_e32 v36, 1, v36
	v_and_b32_e32 v8, 0xfffff, v34
	v_add_nc_u32_e32 v34, v8, v37
                                        ; implicit-def: $vgpr8
	v_cmpx_ne_u32_e64 v35, v36
	s_xor_b32 s17, exec_lo, s17
; %bb.8721:                             ;   in Loop: Header=BB6_8366 Depth=3
	v_cmp_lt_u32_e32 vcc_lo, 0xffffff, v34
	v_sub_nc_u32_e32 v8, v35, v36
	v_cndmask_b32_e64 v35, 0, 1, vcc_lo
	v_add_co_ci_u32_e64 v8, null, 0, v8, vcc_lo
	v_lshrrev_b32_e32 v34, v35, v34
; %bb.8722:                             ;   in Loop: Header=BB6_8366 Depth=3
	s_andn2_saveexec_b32 s17, s17
; %bb.8723:                             ;   in Loop: Header=BB6_8366 Depth=3
	v_bfe_u32 v8, v34, 23, 1
; %bb.8724:                             ;   in Loop: Header=BB6_8366 Depth=3
	s_or_b32 exec_lo, exec_lo, s17
	v_lshrrev_b32_e32 v34, 20, v34
	v_min_i32_e32 v35, 15, v8
	v_cmp_gt_i32_e32 vcc_lo, 16, v8
	v_and_b32_sdwa v9, v9, v62 dst_sel:DWORD dst_unused:UNUSED_PAD src0_sel:BYTE_3 src1_sel:DWORD
	v_lshlrev_b32_e32 v35, 3, v35
	v_cndmask_b32_e32 v34, 7, v34, vcc_lo
	v_and_b32_e32 v35, 0xf8, v35
	v_and_b32_e32 v36, 7, v34
	v_or_b32_e32 v8, v8, v34
	v_or3_b32 v9, v9, v35, v36
	v_cmp_ne_u32_e32 vcc_lo, 0, v8
	v_lshlrev_b32_e32 v9, 8, v9
	v_cndmask_b32_e32 v34, 0, v9, vcc_lo
.LBB6_8725:                             ;   in Loop: Header=BB6_8366 Depth=3
	s_or_b32 exec_lo, exec_lo, s22
.LBB6_8726:                             ;   in Loop: Header=BB6_8366 Depth=3
	s_or_b32 exec_lo, exec_lo, s18
	v_bfe_u32 v8, v10, 16, 3
	v_bfe_u32 v36, v10, 19, 4
	v_lshlrev_b32_e32 v37, 8, v10
	s_mov_b32 s18, -1
	v_ffbh_u32_e32 v9, v8
	v_cmp_eq_u32_e32 vcc_lo, 0, v36
	v_min_u32_e32 v9, 32, v9
	v_subrev_nc_u32_e32 v35, 28, v9
	v_sub_nc_u32_e32 v9, 29, v9
	v_lshlrev_b32_sdwa v35, v35, v10 dst_sel:DWORD dst_unused:UNUSED_PAD src0_sel:DWORD src1_sel:WORD_1
	v_cndmask_b32_e32 v9, v36, v9, vcc_lo
	v_and_b32_e32 v35, 7, v35
	v_lshl_add_u32 v36, v9, 23, 0x3b800000
	v_and_b32_sdwa v9, v14, v72 dst_sel:DWORD dst_unused:UNUSED_PAD src0_sel:WORD_1 src1_sel:DWORD
	v_cndmask_b32_e32 v8, v8, v35, vcc_lo
	v_and_b32_e32 v35, 0x80000000, v37
	v_cmp_lt_i16_e64 s17, 0x7f, v9
	s_and_b32 vcc_lo, exec_lo, s75
	v_lshlrev_b32_e32 v8, 20, v8
	v_or3_b32 v8, v35, v36, v8
                                        ; implicit-def: $vgpr36
	s_cbranch_vccz .LBB6_8740
; %bb.8727:                             ;   in Loop: Header=BB6_8366 Depth=3
	s_mov_b32 s18, 0
	s_and_saveexec_b32 s22, s17
	s_xor_b32 s17, exec_lo, s22
	s_cbranch_execz .LBB6_9025
; %bb.8728:                             ;   in Loop: Header=BB6_8366 Depth=3
	s_mov_b32 s18, -1
	s_mov_b32 s22, exec_lo
	v_cmpx_eq_u16_e32 0x80, v9
; %bb.8729:                             ;   in Loop: Header=BB6_8366 Depth=3
	s_xor_b32 s18, exec_lo, -1
; %bb.8730:                             ;   in Loop: Header=BB6_8366 Depth=3
	s_or_b32 exec_lo, exec_lo, s22
	s_and_b32 s18, s18, exec_lo
	s_or_saveexec_b32 s17, s17
	v_mov_b32_e32 v35, 0x7f800001
	s_xor_b32 exec_lo, exec_lo, s17
	s_cbranch_execnz .LBB6_9026
.LBB6_8731:                             ;   in Loop: Header=BB6_8366 Depth=3
	s_or_b32 exec_lo, exec_lo, s17
	s_and_saveexec_b32 s17, s18
	s_cbranch_execz .LBB6_8733
.LBB6_8732:                             ;   in Loop: Header=BB6_8366 Depth=3
	v_bfe_u32 v35, v14, 16, 3
	v_bfe_u32 v38, v14, 19, 4
	v_lshlrev_b32_sdwa v39, v73, v14 dst_sel:DWORD dst_unused:UNUSED_PAD src0_sel:DWORD src1_sel:WORD_1
	v_ffbh_u32_e32 v36, v35
	v_cmp_eq_u32_e32 vcc_lo, 0, v38
	v_min_u32_e32 v36, 32, v36
	v_subrev_nc_u32_e32 v37, 28, v36
	v_sub_nc_u32_e32 v36, 29, v36
	v_lshlrev_b32_sdwa v37, v37, v14 dst_sel:DWORD dst_unused:UNUSED_PAD src0_sel:DWORD src1_sel:WORD_1
	v_cndmask_b32_e32 v36, v38, v36, vcc_lo
	v_and_b32_e32 v37, 7, v37
	v_lshl_add_u32 v36, v36, 23, 0x3b800000
	v_cndmask_b32_e32 v35, v35, v37, vcc_lo
	v_and_b32_e32 v37, 0x80000000, v39
	v_lshlrev_b32_e32 v35, 20, v35
	v_or3_b32 v35, v37, v36, v35
.LBB6_8733:                             ;   in Loop: Header=BB6_8366 Depth=3
	s_or_b32 exec_lo, exec_lo, s17
	v_and_b32_sdwa v37, v10, v72 dst_sel:DWORD dst_unused:UNUSED_PAD src0_sel:WORD_1 src1_sel:DWORD
	s_mov_b32 s17, 0
	s_mov_b32 s18, exec_lo
	v_cmpx_lt_i16_e32 0x7f, v37
	s_xor_b32 s18, exec_lo, s18
	s_cbranch_execz .LBB6_9027
; %bb.8734:                             ;   in Loop: Header=BB6_8366 Depth=3
	s_mov_b32 s17, -1
	s_mov_b32 s22, exec_lo
	v_cmpx_eq_u16_e32 0x80, v37
; %bb.8735:                             ;   in Loop: Header=BB6_8366 Depth=3
	s_xor_b32 s17, exec_lo, -1
; %bb.8736:                             ;   in Loop: Header=BB6_8366 Depth=3
	s_or_b32 exec_lo, exec_lo, s22
	s_and_b32 s17, s17, exec_lo
                                        ; implicit-def: $vgpr37
	s_or_saveexec_b32 s18, s18
	v_mov_b32_e32 v36, 0x7f800001
	s_xor_b32 exec_lo, exec_lo, s18
	s_cbranch_execnz .LBB6_9028
.LBB6_8737:                             ;   in Loop: Header=BB6_8366 Depth=3
	s_or_b32 exec_lo, exec_lo, s18
	s_and_saveexec_b32 s18, s17
.LBB6_8738:                             ;   in Loop: Header=BB6_8366 Depth=3
	v_mov_b32_e32 v36, v8
.LBB6_8739:                             ;   in Loop: Header=BB6_8366 Depth=3
	s_or_b32 exec_lo, exec_lo, s18
	v_max_f32_e32 v36, v36, v36
	v_max_f32_e32 v35, v35, v35
	s_mov_b32 s18, 0
	v_max_f32_e32 v36, v35, v36
.LBB6_8740:                             ;   in Loop: Header=BB6_8366 Depth=3
	s_and_b32 vcc_lo, exec_lo, s18
	s_cbranch_vccz .LBB6_8754
; %bb.8741:                             ;   in Loop: Header=BB6_8366 Depth=3
	s_mov_b32 s17, 0
	s_mov_b32 s18, exec_lo
	v_cmpx_lt_i16_e32 0x7f, v9
	s_xor_b32 s18, exec_lo, s18
	s_cbranch_execz .LBB6_9029
; %bb.8742:                             ;   in Loop: Header=BB6_8366 Depth=3
	s_mov_b32 s17, -1
	s_mov_b32 s22, exec_lo
	v_cmpx_eq_u16_e32 0x80, v9
; %bb.8743:                             ;   in Loop: Header=BB6_8366 Depth=3
	s_xor_b32 s17, exec_lo, -1
; %bb.8744:                             ;   in Loop: Header=BB6_8366 Depth=3
	s_or_b32 exec_lo, exec_lo, s22
	s_and_b32 s17, s17, exec_lo
                                        ; implicit-def: $vgpr9
	s_or_saveexec_b32 s18, s18
	v_mov_b32_e32 v35, 0x7f800001
	s_xor_b32 exec_lo, exec_lo, s18
	s_cbranch_execnz .LBB6_9030
.LBB6_8745:                             ;   in Loop: Header=BB6_8366 Depth=3
	s_or_b32 exec_lo, exec_lo, s18
	s_and_saveexec_b32 s18, s17
	s_cbranch_execz .LBB6_8747
.LBB6_8746:                             ;   in Loop: Header=BB6_8366 Depth=3
	v_bfe_u32 v9, v14, 16, 3
	v_bfe_u32 v37, v14, 19, 4
	v_lshlrev_b32_sdwa v38, v73, v14 dst_sel:DWORD dst_unused:UNUSED_PAD src0_sel:DWORD src1_sel:WORD_1
	v_ffbh_u32_e32 v35, v9
	v_cmp_eq_u32_e32 vcc_lo, 0, v37
	v_min_u32_e32 v35, 32, v35
	v_subrev_nc_u32_e32 v36, 28, v35
	v_sub_nc_u32_e32 v35, 29, v35
	v_lshlrev_b32_sdwa v36, v36, v14 dst_sel:DWORD dst_unused:UNUSED_PAD src0_sel:DWORD src1_sel:WORD_1
	v_cndmask_b32_e32 v35, v37, v35, vcc_lo
	v_and_b32_e32 v36, 7, v36
	v_lshl_add_u32 v35, v35, 23, 0x3b800000
	v_cndmask_b32_e32 v9, v9, v36, vcc_lo
	v_and_b32_e32 v36, 0x80000000, v38
	v_lshlrev_b32_e32 v9, 20, v9
	v_or3_b32 v35, v36, v35, v9
.LBB6_8747:                             ;   in Loop: Header=BB6_8366 Depth=3
	s_or_b32 exec_lo, exec_lo, s18
	v_and_b32_sdwa v36, v10, v72 dst_sel:DWORD dst_unused:UNUSED_PAD src0_sel:WORD_1 src1_sel:DWORD
	s_mov_b32 s17, 0
	s_mov_b32 s18, exec_lo
	v_cmpx_lt_i16_e32 0x7f, v36
	s_xor_b32 s18, exec_lo, s18
	s_cbranch_execz .LBB6_9031
; %bb.8748:                             ;   in Loop: Header=BB6_8366 Depth=3
	s_mov_b32 s17, -1
	s_mov_b32 s22, exec_lo
	v_cmpx_eq_u16_e32 0x80, v36
; %bb.8749:                             ;   in Loop: Header=BB6_8366 Depth=3
	s_xor_b32 s17, exec_lo, -1
; %bb.8750:                             ;   in Loop: Header=BB6_8366 Depth=3
	s_or_b32 exec_lo, exec_lo, s22
	s_and_b32 s17, s17, exec_lo
                                        ; implicit-def: $vgpr36
	s_or_saveexec_b32 s18, s18
	v_mov_b32_e32 v9, 0x7f800001
	s_xor_b32 exec_lo, exec_lo, s18
	s_cbranch_execnz .LBB6_9032
.LBB6_8751:                             ;   in Loop: Header=BB6_8366 Depth=3
	s_or_b32 exec_lo, exec_lo, s18
	s_and_saveexec_b32 s18, s17
.LBB6_8752:                             ;   in Loop: Header=BB6_8366 Depth=3
	v_mov_b32_e32 v9, v8
.LBB6_8753:                             ;   in Loop: Header=BB6_8366 Depth=3
	s_or_b32 exec_lo, exec_lo, s18
	v_max_f32_e32 v8, v9, v9
	v_max_f32_e32 v9, v35, v35
	v_min_f32_e32 v36, v9, v8
.LBB6_8754:                             ;   in Loop: Header=BB6_8366 Depth=3
	v_and_b32_e32 v8, 0x7f800000, v36
	v_mov_b32_e32 v35, 0x80
	s_mov_b32 s18, exec_lo
	v_cmpx_ne_u32_e32 0x7f800000, v8
	s_cbranch_execz .LBB6_8762
; %bb.8755:                             ;   in Loop: Header=BB6_8366 Depth=3
	v_mov_b32_e32 v35, 0
	s_mov_b32 s22, exec_lo
	v_cmpx_ne_u32_e32 0, v36
	s_cbranch_execz .LBB6_8761
; %bb.8756:                             ;   in Loop: Header=BB6_8366 Depth=3
	v_bfe_u32 v8, v36, 23, 8
	v_and_b32_e32 v9, 0x7fffff, v36
	v_sub_nc_u32_e32 v35, 0x78, v8
	v_cmp_gt_u32_e32 vcc_lo, 0x79, v8
	v_or_b32_e32 v37, 0x800000, v9
	v_cndmask_b32_e32 v35, 0, v35, vcc_lo
	v_cmp_eq_u32_e32 vcc_lo, 0, v8
	v_add_nc_u32_e32 v8, 0xffffff89, v8
	v_cndmask_b32_e64 v35, v35, 0x77, vcc_lo
	v_cndmask_b32_e32 v9, v37, v9, vcc_lo
	v_cndmask_b32_e64 v8, v8, 0xffffff8a, vcc_lo
	v_lshl_add_u32 v37, 0x100000, v35, -1
	v_lshrrev_b32_e32 v38, v35, v9
	v_lshlrev_b32_e64 v48, v35, 0x80000
	v_add_nc_u32_e32 v35, v35, v8
	v_and_b32_e32 v9, v37, v9
	v_bfe_u32 v39, v38, 20, 1
	v_cmp_eq_u32_e64 s17, v9, v48
	v_add_nc_u32_e32 v37, -1, v39
	v_cndmask_b32_e64 v9, 0, v37, s17
	v_lshrrev_b32_e32 v37, 23, v38
	s_mov_b32 s17, exec_lo
	v_add_nc_u32_e32 v9, v9, v38
	v_xor_b32_e32 v37, 1, v37
	v_and_b32_e32 v8, 0xfffff, v9
	v_add_nc_u32_e32 v9, v8, v38
                                        ; implicit-def: $vgpr8
	v_cmpx_ne_u32_e64 v35, v37
	s_xor_b32 s17, exec_lo, s17
; %bb.8757:                             ;   in Loop: Header=BB6_8366 Depth=3
	v_cmp_lt_u32_e32 vcc_lo, 0xffffff, v9
	v_sub_nc_u32_e32 v8, v35, v37
	v_cndmask_b32_e64 v35, 0, 1, vcc_lo
	v_add_co_ci_u32_e64 v8, null, 0, v8, vcc_lo
	v_lshrrev_b32_e32 v9, v35, v9
; %bb.8758:                             ;   in Loop: Header=BB6_8366 Depth=3
	s_andn2_saveexec_b32 s17, s17
; %bb.8759:                             ;   in Loop: Header=BB6_8366 Depth=3
	v_bfe_u32 v8, v9, 23, 1
; %bb.8760:                             ;   in Loop: Header=BB6_8366 Depth=3
	s_or_b32 exec_lo, exec_lo, s17
	v_lshrrev_b32_e32 v9, 20, v9
	v_min_i32_e32 v35, 15, v8
	v_cmp_gt_i32_e32 vcc_lo, 16, v8
	v_and_b32_sdwa v36, v36, v62 dst_sel:DWORD dst_unused:UNUSED_PAD src0_sel:BYTE_3 src1_sel:DWORD
	v_lshlrev_b32_e32 v35, 3, v35
	v_cndmask_b32_e32 v9, 7, v9, vcc_lo
	v_and_b32_e32 v35, 0xf8, v35
	v_and_b32_e32 v37, 7, v9
	v_or_b32_e32 v8, v8, v9
	v_or3_b32 v9, v35, v36, v37
	v_cmp_ne_u32_e32 vcc_lo, 0, v8
	v_cndmask_b32_e32 v35, 0, v9, vcc_lo
.LBB6_8761:                             ;   in Loop: Header=BB6_8366 Depth=3
	s_or_b32 exec_lo, exec_lo, s22
.LBB6_8762:                             ;   in Loop: Header=BB6_8366 Depth=3
	s_or_b32 exec_lo, exec_lo, s18
	v_bfe_u32 v8, v10, 24, 3
	v_bfe_u32 v37, v10, 27, 4
	v_cmp_gt_i16_sdwa s18, v14, v61 src0_sel:BYTE_3 src1_sel:DWORD
	s_mov_b32 s17, -1
	v_ffbh_u32_e32 v9, v8
	v_cmp_eq_u32_e32 vcc_lo, 0, v37
	v_min_u32_e32 v9, 32, v9
	v_subrev_nc_u32_e32 v36, 28, v9
	v_sub_nc_u32_e32 v9, 29, v9
	v_lshlrev_b32_sdwa v36, v36, v10 dst_sel:DWORD dst_unused:UNUSED_PAD src0_sel:DWORD src1_sel:BYTE_3
	v_cndmask_b32_e32 v9, v37, v9, vcc_lo
	v_and_b32_e32 v36, 7, v36
	v_lshl_add_u32 v9, v9, 23, 0x3b800000
	v_cndmask_b32_e32 v8, v8, v36, vcc_lo
	v_and_b32_e32 v36, 0x80000000, v10
	s_and_b32 vcc_lo, exec_lo, s75
	v_lshlrev_b32_e32 v8, 20, v8
	v_or3_b32 v8, v36, v9, v8
                                        ; implicit-def: $vgpr9
	s_cbranch_vccz .LBB6_8776
; %bb.8763:                             ;   in Loop: Header=BB6_8366 Depth=3
	s_mov_b32 s17, 0
	s_and_saveexec_b32 s22, s18
	s_xor_b32 s18, exec_lo, s22
	s_cbranch_execz .LBB6_9033
; %bb.8764:                             ;   in Loop: Header=BB6_8366 Depth=3
	v_cmp_eq_u16_sdwa s23, v14, v62 src0_sel:BYTE_3 src1_sel:DWORD
	s_mov_b32 s17, -1
	s_and_saveexec_b32 s22, s23
; %bb.8765:                             ;   in Loop: Header=BB6_8366 Depth=3
	s_xor_b32 s17, exec_lo, -1
; %bb.8766:                             ;   in Loop: Header=BB6_8366 Depth=3
	s_or_b32 exec_lo, exec_lo, s22
	s_and_b32 s17, s17, exec_lo
	s_or_saveexec_b32 s18, s18
	v_mov_b32_e32 v9, 0x7f800001
	s_xor_b32 exec_lo, exec_lo, s18
	s_cbranch_execnz .LBB6_9034
.LBB6_8767:                             ;   in Loop: Header=BB6_8366 Depth=3
	s_or_b32 exec_lo, exec_lo, s18
	s_and_saveexec_b32 s18, s17
	s_cbranch_execz .LBB6_8769
.LBB6_8768:                             ;   in Loop: Header=BB6_8366 Depth=3
	v_bfe_u32 v9, v14, 24, 3
	v_bfe_u32 v38, v14, 27, 4
	v_ffbh_u32_e32 v36, v9
	v_cmp_eq_u32_e32 vcc_lo, 0, v38
	v_min_u32_e32 v36, 32, v36
	v_subrev_nc_u32_e32 v37, 28, v36
	v_sub_nc_u32_e32 v36, 29, v36
	v_lshlrev_b32_sdwa v37, v37, v14 dst_sel:DWORD dst_unused:UNUSED_PAD src0_sel:DWORD src1_sel:BYTE_3
	v_cndmask_b32_e32 v36, v38, v36, vcc_lo
	v_and_b32_e32 v37, 7, v37
	v_lshl_add_u32 v36, v36, 23, 0x3b800000
	v_cndmask_b32_e32 v9, v9, v37, vcc_lo
	v_and_b32_e32 v37, 0x80000000, v14
	v_lshlrev_b32_e32 v9, 20, v9
	v_or3_b32 v9, v37, v36, v9
.LBB6_8769:                             ;   in Loop: Header=BB6_8366 Depth=3
	s_or_b32 exec_lo, exec_lo, s18
	v_cmp_gt_i16_sdwa s18, v10, v61 src0_sel:BYTE_3 src1_sel:DWORD
	s_mov_b32 s17, 0
	s_and_saveexec_b32 s22, s18
	s_xor_b32 s18, exec_lo, s22
	s_cbranch_execz .LBB6_9035
; %bb.8770:                             ;   in Loop: Header=BB6_8366 Depth=3
	v_cmp_eq_u16_sdwa s23, v10, v62 src0_sel:BYTE_3 src1_sel:DWORD
	s_mov_b32 s17, -1
	s_and_saveexec_b32 s22, s23
; %bb.8771:                             ;   in Loop: Header=BB6_8366 Depth=3
	s_xor_b32 s17, exec_lo, -1
; %bb.8772:                             ;   in Loop: Header=BB6_8366 Depth=3
	s_or_b32 exec_lo, exec_lo, s22
	s_and_b32 s17, s17, exec_lo
	s_or_saveexec_b32 s18, s18
	v_mov_b32_e32 v36, 0x7f800001
	s_xor_b32 exec_lo, exec_lo, s18
	s_cbranch_execnz .LBB6_9036
.LBB6_8773:                             ;   in Loop: Header=BB6_8366 Depth=3
	s_or_b32 exec_lo, exec_lo, s18
	s_and_saveexec_b32 s18, s17
.LBB6_8774:                             ;   in Loop: Header=BB6_8366 Depth=3
	v_mov_b32_e32 v36, v8
.LBB6_8775:                             ;   in Loop: Header=BB6_8366 Depth=3
	s_or_b32 exec_lo, exec_lo, s18
	v_max_f32_e32 v36, v36, v36
	v_max_f32_e32 v9, v9, v9
	s_mov_b32 s17, 0
	v_max_f32_e32 v9, v9, v36
.LBB6_8776:                             ;   in Loop: Header=BB6_8366 Depth=3
	s_and_b32 vcc_lo, exec_lo, s17
	s_cbranch_vccz .LBB6_8790
; %bb.8777:                             ;   in Loop: Header=BB6_8366 Depth=3
	v_cmp_gt_i16_sdwa s18, v14, v61 src0_sel:BYTE_3 src1_sel:DWORD
	s_mov_b32 s17, 0
	s_and_saveexec_b32 s22, s18
	s_xor_b32 s18, exec_lo, s22
	s_cbranch_execz .LBB6_9037
; %bb.8778:                             ;   in Loop: Header=BB6_8366 Depth=3
	v_cmp_eq_u16_sdwa s23, v14, v62 src0_sel:BYTE_3 src1_sel:DWORD
	s_mov_b32 s17, -1
	s_and_saveexec_b32 s22, s23
; %bb.8779:                             ;   in Loop: Header=BB6_8366 Depth=3
	s_xor_b32 s17, exec_lo, -1
; %bb.8780:                             ;   in Loop: Header=BB6_8366 Depth=3
	s_or_b32 exec_lo, exec_lo, s22
	s_and_b32 s17, s17, exec_lo
	s_or_saveexec_b32 s18, s18
	v_mov_b32_e32 v9, 0x7f800001
	s_xor_b32 exec_lo, exec_lo, s18
	s_cbranch_execnz .LBB6_9038
.LBB6_8781:                             ;   in Loop: Header=BB6_8366 Depth=3
	s_or_b32 exec_lo, exec_lo, s18
	s_and_saveexec_b32 s18, s17
	s_cbranch_execz .LBB6_8783
.LBB6_8782:                             ;   in Loop: Header=BB6_8366 Depth=3
	v_bfe_u32 v9, v14, 24, 3
	v_bfe_u32 v38, v14, 27, 4
	v_ffbh_u32_e32 v36, v9
	v_cmp_eq_u32_e32 vcc_lo, 0, v38
	v_min_u32_e32 v36, 32, v36
	v_subrev_nc_u32_e32 v37, 28, v36
	v_sub_nc_u32_e32 v36, 29, v36
	v_lshlrev_b32_sdwa v37, v37, v14 dst_sel:DWORD dst_unused:UNUSED_PAD src0_sel:DWORD src1_sel:BYTE_3
	v_cndmask_b32_e32 v36, v38, v36, vcc_lo
	v_and_b32_e32 v14, 0x80000000, v14
	v_and_b32_e32 v37, 7, v37
	v_lshl_add_u32 v36, v36, 23, 0x3b800000
	v_cndmask_b32_e32 v9, v9, v37, vcc_lo
	v_lshlrev_b32_e32 v9, 20, v9
	v_or3_b32 v9, v14, v36, v9
.LBB6_8783:                             ;   in Loop: Header=BB6_8366 Depth=3
	s_or_b32 exec_lo, exec_lo, s18
	v_cmp_gt_i16_sdwa s18, v10, v61 src0_sel:BYTE_3 src1_sel:DWORD
	s_mov_b32 s17, 0
	s_and_saveexec_b32 s22, s18
	s_xor_b32 s18, exec_lo, s22
	s_cbranch_execz .LBB6_9039
; %bb.8784:                             ;   in Loop: Header=BB6_8366 Depth=3
	v_cmp_eq_u16_sdwa s23, v10, v62 src0_sel:BYTE_3 src1_sel:DWORD
	s_mov_b32 s17, -1
	s_and_saveexec_b32 s22, s23
; %bb.8785:                             ;   in Loop: Header=BB6_8366 Depth=3
	s_xor_b32 s17, exec_lo, -1
; %bb.8786:                             ;   in Loop: Header=BB6_8366 Depth=3
	s_or_b32 exec_lo, exec_lo, s22
	s_and_b32 s17, s17, exec_lo
	s_or_saveexec_b32 s18, s18
	v_mov_b32_e32 v14, 0x7f800001
	s_xor_b32 exec_lo, exec_lo, s18
	s_cbranch_execnz .LBB6_9040
.LBB6_8787:                             ;   in Loop: Header=BB6_8366 Depth=3
	s_or_b32 exec_lo, exec_lo, s18
	s_and_saveexec_b32 s18, s17
.LBB6_8788:                             ;   in Loop: Header=BB6_8366 Depth=3
	v_mov_b32_e32 v14, v8
.LBB6_8789:                             ;   in Loop: Header=BB6_8366 Depth=3
	s_or_b32 exec_lo, exec_lo, s18
	v_max_f32_e32 v8, v14, v14
	v_max_f32_e32 v9, v9, v9
	v_min_f32_e32 v9, v9, v8
.LBB6_8790:                             ;   in Loop: Header=BB6_8366 Depth=3
	v_and_b32_e32 v8, 0x7f800000, v9
	v_mov_b32_e32 v14, 0x8000
	s_mov_b32 s18, exec_lo
	v_cmpx_ne_u32_e32 0x7f800000, v8
	s_cbranch_execz .LBB6_8798
; %bb.8791:                             ;   in Loop: Header=BB6_8366 Depth=3
	v_mov_b32_e32 v14, 0
	s_mov_b32 s22, exec_lo
	v_cmpx_ne_u32_e32 0, v9
	s_cbranch_execz .LBB6_8797
; %bb.8792:                             ;   in Loop: Header=BB6_8366 Depth=3
	v_bfe_u32 v8, v9, 23, 8
	v_and_b32_e32 v10, 0x7fffff, v9
	v_sub_nc_u32_e32 v14, 0x78, v8
	v_cmp_gt_u32_e32 vcc_lo, 0x79, v8
	v_or_b32_e32 v36, 0x800000, v10
	v_cndmask_b32_e32 v14, 0, v14, vcc_lo
	v_cmp_eq_u32_e32 vcc_lo, 0, v8
	v_add_nc_u32_e32 v8, 0xffffff89, v8
	v_cndmask_b32_e64 v14, v14, 0x77, vcc_lo
	v_cndmask_b32_e32 v10, v36, v10, vcc_lo
	v_cndmask_b32_e64 v8, v8, 0xffffff8a, vcc_lo
	v_lshl_add_u32 v36, 0x100000, v14, -1
	v_lshrrev_b32_e32 v37, v14, v10
	v_lshlrev_b32_e64 v39, v14, 0x80000
	v_add_nc_u32_e32 v14, v14, v8
	v_and_b32_e32 v10, v36, v10
	v_bfe_u32 v38, v37, 20, 1
	v_cmp_eq_u32_e64 s17, v10, v39
	v_add_nc_u32_e32 v36, -1, v38
	v_cndmask_b32_e64 v10, 0, v36, s17
	v_lshrrev_b32_e32 v36, 23, v37
	s_mov_b32 s17, exec_lo
	v_add_nc_u32_e32 v10, v10, v37
	v_xor_b32_e32 v36, 1, v36
	v_and_b32_e32 v8, 0xfffff, v10
	v_add_nc_u32_e32 v10, v8, v37
                                        ; implicit-def: $vgpr8
	v_cmpx_ne_u32_e64 v14, v36
	s_xor_b32 s17, exec_lo, s17
; %bb.8793:                             ;   in Loop: Header=BB6_8366 Depth=3
	v_cmp_lt_u32_e32 vcc_lo, 0xffffff, v10
	v_sub_nc_u32_e32 v8, v14, v36
	v_cndmask_b32_e64 v14, 0, 1, vcc_lo
	v_add_co_ci_u32_e64 v8, null, 0, v8, vcc_lo
	v_lshrrev_b32_e32 v10, v14, v10
; %bb.8794:                             ;   in Loop: Header=BB6_8366 Depth=3
	s_andn2_saveexec_b32 s17, s17
; %bb.8795:                             ;   in Loop: Header=BB6_8366 Depth=3
	v_bfe_u32 v8, v10, 23, 1
; %bb.8796:                             ;   in Loop: Header=BB6_8366 Depth=3
	s_or_b32 exec_lo, exec_lo, s17
	v_lshrrev_b32_e32 v10, 20, v10
	v_min_i32_e32 v14, 15, v8
	v_cmp_gt_i32_e32 vcc_lo, 16, v8
	v_and_b32_sdwa v9, v9, v62 dst_sel:DWORD dst_unused:UNUSED_PAD src0_sel:BYTE_3 src1_sel:DWORD
	v_lshlrev_b32_e32 v14, 3, v14
	v_cndmask_b32_e32 v10, 7, v10, vcc_lo
	v_and_b32_e32 v14, 0xf8, v14
	v_and_b32_e32 v36, 7, v10
	v_or_b32_e32 v8, v8, v10
	v_or3_b32 v9, v9, v14, v36
	v_cmp_ne_u32_e32 vcc_lo, 0, v8
	v_lshlrev_b32_e32 v9, 8, v9
	v_cndmask_b32_e32 v14, 0, v9, vcc_lo
.LBB6_8797:                             ;   in Loop: Header=BB6_8366 Depth=3
	s_or_b32 exec_lo, exec_lo, s22
.LBB6_8798:                             ;   in Loop: Header=BB6_8366 Depth=3
	s_or_b32 exec_lo, exec_lo, s18
	v_and_b32_e32 v8, 7, v11
	v_bfe_u32 v36, v11, 3, 4
	v_lshlrev_b32_e32 v37, 24, v11
	v_cmp_gt_i16_sdwa s18, v15, v61 src0_sel:BYTE_0 src1_sel:DWORD
	s_mov_b32 s17, -1
	v_ffbh_u32_e32 v9, v8
	v_cmp_eq_u32_e32 vcc_lo, 0, v36
	v_min_u32_e32 v9, 32, v9
	v_subrev_nc_u32_e32 v10, 28, v9
	v_sub_nc_u32_e32 v9, 29, v9
	v_lshlrev_b32_e32 v10, v10, v11
	v_cndmask_b32_e32 v9, v36, v9, vcc_lo
	v_and_b32_e32 v10, 7, v10
	v_lshl_add_u32 v9, v9, 23, 0x3b800000
	v_cndmask_b32_e32 v8, v8, v10, vcc_lo
	v_and_b32_e32 v10, 0x80000000, v37
	s_and_b32 vcc_lo, exec_lo, s75
	v_lshlrev_b32_e32 v8, 20, v8
	v_or3_b32 v8, v10, v9, v8
                                        ; implicit-def: $vgpr9
	s_cbranch_vccz .LBB6_8812
; %bb.8799:                             ;   in Loop: Header=BB6_8366 Depth=3
	s_mov_b32 s17, 0
	s_and_saveexec_b32 s22, s18
	s_xor_b32 s18, exec_lo, s22
	s_cbranch_execz .LBB6_9041
; %bb.8800:                             ;   in Loop: Header=BB6_8366 Depth=3
	v_cmp_eq_u16_sdwa s23, v15, v62 src0_sel:BYTE_0 src1_sel:DWORD
	s_mov_b32 s17, -1
	s_and_saveexec_b32 s22, s23
; %bb.8801:                             ;   in Loop: Header=BB6_8366 Depth=3
	s_xor_b32 s17, exec_lo, -1
; %bb.8802:                             ;   in Loop: Header=BB6_8366 Depth=3
	s_or_b32 exec_lo, exec_lo, s22
	s_and_b32 s17, s17, exec_lo
	s_or_saveexec_b32 s18, s18
	v_mov_b32_e32 v9, 0x7f800001
	s_xor_b32 exec_lo, exec_lo, s18
	s_cbranch_execnz .LBB6_9042
.LBB6_8803:                             ;   in Loop: Header=BB6_8366 Depth=3
	s_or_b32 exec_lo, exec_lo, s18
	s_and_saveexec_b32 s18, s17
	s_cbranch_execz .LBB6_8805
.LBB6_8804:                             ;   in Loop: Header=BB6_8366 Depth=3
	v_and_b32_e32 v9, 7, v15
	v_bfe_u32 v37, v15, 3, 4
	v_lshlrev_b32_e32 v38, 24, v15
	v_ffbh_u32_e32 v10, v9
	v_cmp_eq_u32_e32 vcc_lo, 0, v37
	v_min_u32_e32 v10, 32, v10
	v_subrev_nc_u32_e32 v36, 28, v10
	v_sub_nc_u32_e32 v10, 29, v10
	v_lshlrev_b32_e32 v36, v36, v15
	v_cndmask_b32_e32 v10, v37, v10, vcc_lo
	v_and_b32_e32 v36, 7, v36
	v_lshl_add_u32 v10, v10, 23, 0x3b800000
	v_cndmask_b32_e32 v9, v9, v36, vcc_lo
	v_and_b32_e32 v36, 0x80000000, v38
	v_lshlrev_b32_e32 v9, 20, v9
	v_or3_b32 v9, v36, v10, v9
.LBB6_8805:                             ;   in Loop: Header=BB6_8366 Depth=3
	s_or_b32 exec_lo, exec_lo, s18
	v_cmp_gt_i16_sdwa s18, v11, v61 src0_sel:BYTE_0 src1_sel:DWORD
	s_mov_b32 s17, 0
	s_and_saveexec_b32 s22, s18
	s_xor_b32 s18, exec_lo, s22
	s_cbranch_execz .LBB6_9043
; %bb.8806:                             ;   in Loop: Header=BB6_8366 Depth=3
	v_cmp_eq_u16_sdwa s23, v11, v62 src0_sel:BYTE_0 src1_sel:DWORD
	s_mov_b32 s17, -1
	s_and_saveexec_b32 s22, s23
; %bb.8807:                             ;   in Loop: Header=BB6_8366 Depth=3
	s_xor_b32 s17, exec_lo, -1
; %bb.8808:                             ;   in Loop: Header=BB6_8366 Depth=3
	s_or_b32 exec_lo, exec_lo, s22
	s_and_b32 s17, s17, exec_lo
	s_or_saveexec_b32 s18, s18
	v_mov_b32_e32 v10, 0x7f800001
	s_xor_b32 exec_lo, exec_lo, s18
	s_cbranch_execnz .LBB6_9044
.LBB6_8809:                             ;   in Loop: Header=BB6_8366 Depth=3
	s_or_b32 exec_lo, exec_lo, s18
	s_and_saveexec_b32 s18, s17
.LBB6_8810:                             ;   in Loop: Header=BB6_8366 Depth=3
	v_mov_b32_e32 v10, v8
.LBB6_8811:                             ;   in Loop: Header=BB6_8366 Depth=3
	s_or_b32 exec_lo, exec_lo, s18
	v_max_f32_e32 v10, v10, v10
	v_max_f32_e32 v9, v9, v9
	s_mov_b32 s17, 0
	v_max_f32_e32 v9, v9, v10
.LBB6_8812:                             ;   in Loop: Header=BB6_8366 Depth=3
	s_and_b32 vcc_lo, exec_lo, s17
	s_cbranch_vccz .LBB6_8826
; %bb.8813:                             ;   in Loop: Header=BB6_8366 Depth=3
	v_cmp_gt_i16_sdwa s18, v15, v61 src0_sel:BYTE_0 src1_sel:DWORD
	s_mov_b32 s17, 0
	s_and_saveexec_b32 s22, s18
	s_xor_b32 s18, exec_lo, s22
	s_cbranch_execz .LBB6_9045
; %bb.8814:                             ;   in Loop: Header=BB6_8366 Depth=3
	v_cmp_eq_u16_sdwa s23, v15, v62 src0_sel:BYTE_0 src1_sel:DWORD
	s_mov_b32 s17, -1
	s_and_saveexec_b32 s22, s23
; %bb.8815:                             ;   in Loop: Header=BB6_8366 Depth=3
	s_xor_b32 s17, exec_lo, -1
; %bb.8816:                             ;   in Loop: Header=BB6_8366 Depth=3
	s_or_b32 exec_lo, exec_lo, s22
	s_and_b32 s17, s17, exec_lo
	s_or_saveexec_b32 s18, s18
	v_mov_b32_e32 v9, 0x7f800001
	s_xor_b32 exec_lo, exec_lo, s18
	s_cbranch_execnz .LBB6_9046
.LBB6_8817:                             ;   in Loop: Header=BB6_8366 Depth=3
	s_or_b32 exec_lo, exec_lo, s18
	s_and_saveexec_b32 s18, s17
	s_cbranch_execz .LBB6_8819
.LBB6_8818:                             ;   in Loop: Header=BB6_8366 Depth=3
	v_and_b32_e32 v9, 7, v15
	v_bfe_u32 v37, v15, 3, 4
	v_lshlrev_b32_e32 v38, 24, v15
	v_ffbh_u32_e32 v10, v9
	v_cmp_eq_u32_e32 vcc_lo, 0, v37
	v_min_u32_e32 v10, 32, v10
	v_subrev_nc_u32_e32 v36, 28, v10
	v_sub_nc_u32_e32 v10, 29, v10
	v_lshlrev_b32_e32 v36, v36, v15
	v_cndmask_b32_e32 v10, v37, v10, vcc_lo
	v_and_b32_e32 v36, 7, v36
	v_lshl_add_u32 v10, v10, 23, 0x3b800000
	v_cndmask_b32_e32 v9, v9, v36, vcc_lo
	v_and_b32_e32 v36, 0x80000000, v38
	v_lshlrev_b32_e32 v9, 20, v9
	v_or3_b32 v9, v36, v10, v9
.LBB6_8819:                             ;   in Loop: Header=BB6_8366 Depth=3
	s_or_b32 exec_lo, exec_lo, s18
	v_cmp_gt_i16_sdwa s18, v11, v61 src0_sel:BYTE_0 src1_sel:DWORD
	s_mov_b32 s17, 0
	s_and_saveexec_b32 s22, s18
	s_xor_b32 s18, exec_lo, s22
	s_cbranch_execz .LBB6_9047
; %bb.8820:                             ;   in Loop: Header=BB6_8366 Depth=3
	v_cmp_eq_u16_sdwa s23, v11, v62 src0_sel:BYTE_0 src1_sel:DWORD
	s_mov_b32 s17, -1
	s_and_saveexec_b32 s22, s23
; %bb.8821:                             ;   in Loop: Header=BB6_8366 Depth=3
	s_xor_b32 s17, exec_lo, -1
; %bb.8822:                             ;   in Loop: Header=BB6_8366 Depth=3
	s_or_b32 exec_lo, exec_lo, s22
	s_and_b32 s17, s17, exec_lo
	s_or_saveexec_b32 s18, s18
	v_mov_b32_e32 v10, 0x7f800001
	s_xor_b32 exec_lo, exec_lo, s18
	s_cbranch_execnz .LBB6_9048
.LBB6_8823:                             ;   in Loop: Header=BB6_8366 Depth=3
	s_or_b32 exec_lo, exec_lo, s18
	s_and_saveexec_b32 s18, s17
.LBB6_8824:                             ;   in Loop: Header=BB6_8366 Depth=3
	v_mov_b32_e32 v10, v8
.LBB6_8825:                             ;   in Loop: Header=BB6_8366 Depth=3
	s_or_b32 exec_lo, exec_lo, s18
	v_max_f32_e32 v8, v10, v10
	v_max_f32_e32 v9, v9, v9
	v_min_f32_e32 v9, v9, v8
.LBB6_8826:                             ;   in Loop: Header=BB6_8366 Depth=3
	v_and_b32_e32 v8, 0x7f800000, v9
	v_mov_b32_e32 v36, 0x80
	s_mov_b32 s18, exec_lo
	v_cmpx_ne_u32_e32 0x7f800000, v8
	s_cbranch_execz .LBB6_8834
; %bb.8827:                             ;   in Loop: Header=BB6_8366 Depth=3
	v_mov_b32_e32 v36, 0
	s_mov_b32 s22, exec_lo
	v_cmpx_ne_u32_e32 0, v9
	s_cbranch_execz .LBB6_8833
; %bb.8828:                             ;   in Loop: Header=BB6_8366 Depth=3
	v_bfe_u32 v8, v9, 23, 8
	v_and_b32_e32 v10, 0x7fffff, v9
	v_sub_nc_u32_e32 v36, 0x78, v8
	v_cmp_gt_u32_e32 vcc_lo, 0x79, v8
	v_or_b32_e32 v37, 0x800000, v10
	v_cndmask_b32_e32 v36, 0, v36, vcc_lo
	v_cmp_eq_u32_e32 vcc_lo, 0, v8
	v_add_nc_u32_e32 v8, 0xffffff89, v8
	v_cndmask_b32_e64 v36, v36, 0x77, vcc_lo
	v_cndmask_b32_e32 v10, v37, v10, vcc_lo
	v_cndmask_b32_e64 v8, v8, 0xffffff8a, vcc_lo
	v_lshl_add_u32 v37, 0x100000, v36, -1
	v_lshrrev_b32_e32 v38, v36, v10
	v_lshlrev_b32_e64 v48, v36, 0x80000
	v_add_nc_u32_e32 v36, v36, v8
	v_and_b32_e32 v10, v37, v10
	v_bfe_u32 v39, v38, 20, 1
	v_cmp_eq_u32_e64 s17, v10, v48
	v_add_nc_u32_e32 v37, -1, v39
	v_cndmask_b32_e64 v10, 0, v37, s17
	v_lshrrev_b32_e32 v37, 23, v38
	s_mov_b32 s17, exec_lo
	v_add_nc_u32_e32 v10, v10, v38
	v_xor_b32_e32 v37, 1, v37
	v_and_b32_e32 v8, 0xfffff, v10
	v_add_nc_u32_e32 v10, v8, v38
                                        ; implicit-def: $vgpr8
	v_cmpx_ne_u32_e64 v36, v37
	s_xor_b32 s17, exec_lo, s17
; %bb.8829:                             ;   in Loop: Header=BB6_8366 Depth=3
	v_cmp_lt_u32_e32 vcc_lo, 0xffffff, v10
	v_sub_nc_u32_e32 v8, v36, v37
	v_cndmask_b32_e64 v36, 0, 1, vcc_lo
	v_add_co_ci_u32_e64 v8, null, 0, v8, vcc_lo
	v_lshrrev_b32_e32 v10, v36, v10
; %bb.8830:                             ;   in Loop: Header=BB6_8366 Depth=3
	s_andn2_saveexec_b32 s17, s17
; %bb.8831:                             ;   in Loop: Header=BB6_8366 Depth=3
	v_bfe_u32 v8, v10, 23, 1
; %bb.8832:                             ;   in Loop: Header=BB6_8366 Depth=3
	s_or_b32 exec_lo, exec_lo, s17
	v_lshrrev_b32_e32 v10, 20, v10
	v_min_i32_e32 v36, 15, v8
	v_cmp_gt_i32_e32 vcc_lo, 16, v8
	v_and_b32_sdwa v9, v9, v62 dst_sel:DWORD dst_unused:UNUSED_PAD src0_sel:BYTE_3 src1_sel:DWORD
	v_lshlrev_b32_e32 v36, 3, v36
	v_cndmask_b32_e32 v10, 7, v10, vcc_lo
	v_and_b32_e32 v36, 0xf8, v36
	v_and_b32_e32 v37, 7, v10
	v_or_b32_e32 v8, v8, v10
	v_or3_b32 v9, v36, v9, v37
	v_cmp_ne_u32_e32 vcc_lo, 0, v8
	v_cndmask_b32_e32 v36, 0, v9, vcc_lo
.LBB6_8833:                             ;   in Loop: Header=BB6_8366 Depth=3
	s_or_b32 exec_lo, exec_lo, s22
.LBB6_8834:                             ;   in Loop: Header=BB6_8366 Depth=3
	s_or_b32 exec_lo, exec_lo, s18
	v_and_b32_sdwa v8, v63, v11 dst_sel:DWORD dst_unused:UNUSED_PAD src0_sel:DWORD src1_sel:BYTE_1
	v_cmp_gt_i16_sdwa s18, v15, v61 src0_sel:BYTE_1 src1_sel:DWORD
	s_mov_b32 s17, -1
	v_and_b32_e32 v9, 7, v8
	v_bfe_u32 v38, v8, 3, 4
	v_ffbh_u32_e32 v10, v9
	v_cmp_eq_u32_e32 vcc_lo, 0, v38
	v_min_u32_e32 v10, 32, v10
	v_subrev_nc_u32_e32 v37, 28, v10
	v_sub_nc_u32_e32 v10, 29, v10
	v_lshlrev_b32_e32 v8, v37, v8
	v_lshlrev_b32_sdwa v37, v73, v11 dst_sel:DWORD dst_unused:UNUSED_PAD src0_sel:DWORD src1_sel:BYTE_1
	v_cndmask_b32_e32 v10, v38, v10, vcc_lo
	v_and_b32_e32 v8, 7, v8
	v_lshl_add_u32 v10, v10, 23, 0x3b800000
	v_cndmask_b32_e32 v8, v9, v8, vcc_lo
	v_and_b32_e32 v9, 0x80000000, v37
	s_and_b32 vcc_lo, exec_lo, s75
	v_lshlrev_b32_e32 v8, 20, v8
	v_or3_b32 v8, v9, v10, v8
                                        ; implicit-def: $vgpr9
	s_cbranch_vccz .LBB6_8848
; %bb.8835:                             ;   in Loop: Header=BB6_8366 Depth=3
	s_mov_b32 s17, 0
	s_and_saveexec_b32 s22, s18
	s_xor_b32 s18, exec_lo, s22
	s_cbranch_execz .LBB6_9049
; %bb.8836:                             ;   in Loop: Header=BB6_8366 Depth=3
	v_cmp_eq_u16_sdwa s23, v15, v62 src0_sel:BYTE_1 src1_sel:DWORD
	s_mov_b32 s17, -1
	s_and_saveexec_b32 s22, s23
; %bb.8837:                             ;   in Loop: Header=BB6_8366 Depth=3
	s_xor_b32 s17, exec_lo, -1
; %bb.8838:                             ;   in Loop: Header=BB6_8366 Depth=3
	s_or_b32 exec_lo, exec_lo, s22
	s_and_b32 s17, s17, exec_lo
	s_or_saveexec_b32 s18, s18
	v_mov_b32_e32 v9, 0x7f800001
	s_xor_b32 exec_lo, exec_lo, s18
	s_cbranch_execnz .LBB6_9050
.LBB6_8839:                             ;   in Loop: Header=BB6_8366 Depth=3
	s_or_b32 exec_lo, exec_lo, s18
	s_and_saveexec_b32 s18, s17
	s_cbranch_execz .LBB6_8841
.LBB6_8840:                             ;   in Loop: Header=BB6_8366 Depth=3
	v_and_b32_sdwa v9, v63, v15 dst_sel:DWORD dst_unused:UNUSED_PAD src0_sel:DWORD src1_sel:BYTE_1
	v_and_b32_e32 v10, 7, v9
	v_bfe_u32 v39, v9, 3, 4
	v_ffbh_u32_e32 v37, v10
	v_cmp_eq_u32_e32 vcc_lo, 0, v39
	v_min_u32_e32 v37, 32, v37
	v_subrev_nc_u32_e32 v38, 28, v37
	v_sub_nc_u32_e32 v37, 29, v37
	v_lshlrev_b32_e32 v9, v38, v9
	v_lshlrev_b32_e32 v38, 16, v15
	v_cndmask_b32_e32 v37, v39, v37, vcc_lo
	v_and_b32_e32 v9, 7, v9
	v_lshl_add_u32 v37, v37, 23, 0x3b800000
	v_cndmask_b32_e32 v9, v10, v9, vcc_lo
	v_and_b32_e32 v10, 0x80000000, v38
	v_lshlrev_b32_e32 v9, 20, v9
	v_or3_b32 v9, v10, v37, v9
.LBB6_8841:                             ;   in Loop: Header=BB6_8366 Depth=3
	s_or_b32 exec_lo, exec_lo, s18
	v_cmp_gt_i16_sdwa s18, v11, v61 src0_sel:BYTE_1 src1_sel:DWORD
	s_mov_b32 s17, 0
	s_and_saveexec_b32 s22, s18
	s_xor_b32 s18, exec_lo, s22
	s_cbranch_execz .LBB6_9051
; %bb.8842:                             ;   in Loop: Header=BB6_8366 Depth=3
	v_cmp_eq_u16_sdwa s23, v11, v62 src0_sel:BYTE_1 src1_sel:DWORD
	s_mov_b32 s17, -1
	s_and_saveexec_b32 s22, s23
; %bb.8843:                             ;   in Loop: Header=BB6_8366 Depth=3
	s_xor_b32 s17, exec_lo, -1
; %bb.8844:                             ;   in Loop: Header=BB6_8366 Depth=3
	s_or_b32 exec_lo, exec_lo, s22
	s_and_b32 s17, s17, exec_lo
	s_or_saveexec_b32 s18, s18
	v_mov_b32_e32 v10, 0x7f800001
	s_xor_b32 exec_lo, exec_lo, s18
	s_cbranch_execnz .LBB6_9052
.LBB6_8845:                             ;   in Loop: Header=BB6_8366 Depth=3
	s_or_b32 exec_lo, exec_lo, s18
	s_and_saveexec_b32 s18, s17
.LBB6_8846:                             ;   in Loop: Header=BB6_8366 Depth=3
	v_mov_b32_e32 v10, v8
.LBB6_8847:                             ;   in Loop: Header=BB6_8366 Depth=3
	s_or_b32 exec_lo, exec_lo, s18
	v_max_f32_e32 v10, v10, v10
	v_max_f32_e32 v9, v9, v9
	s_mov_b32 s17, 0
	v_max_f32_e32 v9, v9, v10
.LBB6_8848:                             ;   in Loop: Header=BB6_8366 Depth=3
	s_and_b32 vcc_lo, exec_lo, s17
	s_cbranch_vccz .LBB6_8862
; %bb.8849:                             ;   in Loop: Header=BB6_8366 Depth=3
	v_cmp_gt_i16_sdwa s18, v15, v61 src0_sel:BYTE_1 src1_sel:DWORD
	s_mov_b32 s17, 0
	s_and_saveexec_b32 s22, s18
	s_xor_b32 s18, exec_lo, s22
	s_cbranch_execz .LBB6_9053
; %bb.8850:                             ;   in Loop: Header=BB6_8366 Depth=3
	v_cmp_eq_u16_sdwa s23, v15, v62 src0_sel:BYTE_1 src1_sel:DWORD
	s_mov_b32 s17, -1
	s_and_saveexec_b32 s22, s23
; %bb.8851:                             ;   in Loop: Header=BB6_8366 Depth=3
	s_xor_b32 s17, exec_lo, -1
; %bb.8852:                             ;   in Loop: Header=BB6_8366 Depth=3
	s_or_b32 exec_lo, exec_lo, s22
	s_and_b32 s17, s17, exec_lo
	s_or_saveexec_b32 s18, s18
	v_mov_b32_e32 v9, 0x7f800001
	s_xor_b32 exec_lo, exec_lo, s18
	s_cbranch_execnz .LBB6_9054
.LBB6_8853:                             ;   in Loop: Header=BB6_8366 Depth=3
	s_or_b32 exec_lo, exec_lo, s18
	s_and_saveexec_b32 s18, s17
	s_cbranch_execz .LBB6_8855
.LBB6_8854:                             ;   in Loop: Header=BB6_8366 Depth=3
	v_and_b32_sdwa v9, v63, v15 dst_sel:DWORD dst_unused:UNUSED_PAD src0_sel:DWORD src1_sel:BYTE_1
	v_and_b32_e32 v10, 7, v9
	v_bfe_u32 v39, v9, 3, 4
	v_ffbh_u32_e32 v37, v10
	v_cmp_eq_u32_e32 vcc_lo, 0, v39
	v_min_u32_e32 v37, 32, v37
	v_subrev_nc_u32_e32 v38, 28, v37
	v_sub_nc_u32_e32 v37, 29, v37
	v_lshlrev_b32_e32 v9, v38, v9
	v_lshlrev_b32_e32 v38, 16, v15
	v_cndmask_b32_e32 v37, v39, v37, vcc_lo
	v_and_b32_e32 v9, 7, v9
	v_lshl_add_u32 v37, v37, 23, 0x3b800000
	v_cndmask_b32_e32 v9, v10, v9, vcc_lo
	v_and_b32_e32 v10, 0x80000000, v38
	v_lshlrev_b32_e32 v9, 20, v9
	v_or3_b32 v9, v10, v37, v9
.LBB6_8855:                             ;   in Loop: Header=BB6_8366 Depth=3
	s_or_b32 exec_lo, exec_lo, s18
	v_cmp_gt_i16_sdwa s18, v11, v61 src0_sel:BYTE_1 src1_sel:DWORD
	s_mov_b32 s17, 0
	s_and_saveexec_b32 s22, s18
	s_xor_b32 s18, exec_lo, s22
	s_cbranch_execz .LBB6_9055
; %bb.8856:                             ;   in Loop: Header=BB6_8366 Depth=3
	v_cmp_eq_u16_sdwa s23, v11, v62 src0_sel:BYTE_1 src1_sel:DWORD
	s_mov_b32 s17, -1
	s_and_saveexec_b32 s22, s23
; %bb.8857:                             ;   in Loop: Header=BB6_8366 Depth=3
	s_xor_b32 s17, exec_lo, -1
; %bb.8858:                             ;   in Loop: Header=BB6_8366 Depth=3
	s_or_b32 exec_lo, exec_lo, s22
	s_and_b32 s17, s17, exec_lo
	s_or_saveexec_b32 s18, s18
	v_mov_b32_e32 v10, 0x7f800001
	s_xor_b32 exec_lo, exec_lo, s18
	s_cbranch_execnz .LBB6_9056
.LBB6_8859:                             ;   in Loop: Header=BB6_8366 Depth=3
	s_or_b32 exec_lo, exec_lo, s18
	s_and_saveexec_b32 s18, s17
.LBB6_8860:                             ;   in Loop: Header=BB6_8366 Depth=3
	v_mov_b32_e32 v10, v8
.LBB6_8861:                             ;   in Loop: Header=BB6_8366 Depth=3
	s_or_b32 exec_lo, exec_lo, s18
	v_max_f32_e32 v8, v10, v10
	v_max_f32_e32 v9, v9, v9
	v_min_f32_e32 v9, v9, v8
.LBB6_8862:                             ;   in Loop: Header=BB6_8366 Depth=3
	v_and_b32_e32 v8, 0x7f800000, v9
	v_mov_b32_e32 v37, 0x8000
	s_mov_b32 s18, exec_lo
	v_cmpx_ne_u32_e32 0x7f800000, v8
	s_cbranch_execz .LBB6_8870
; %bb.8863:                             ;   in Loop: Header=BB6_8366 Depth=3
	v_mov_b32_e32 v37, 0
	s_mov_b32 s22, exec_lo
	v_cmpx_ne_u32_e32 0, v9
	s_cbranch_execz .LBB6_8869
; %bb.8864:                             ;   in Loop: Header=BB6_8366 Depth=3
	v_bfe_u32 v8, v9, 23, 8
	v_and_b32_e32 v10, 0x7fffff, v9
	v_sub_nc_u32_e32 v37, 0x78, v8
	v_cmp_gt_u32_e32 vcc_lo, 0x79, v8
	v_or_b32_e32 v38, 0x800000, v10
	v_cndmask_b32_e32 v37, 0, v37, vcc_lo
	v_cmp_eq_u32_e32 vcc_lo, 0, v8
	v_add_nc_u32_e32 v8, 0xffffff89, v8
	v_cndmask_b32_e64 v37, v37, 0x77, vcc_lo
	v_cndmask_b32_e32 v10, v38, v10, vcc_lo
	v_cndmask_b32_e64 v8, v8, 0xffffff8a, vcc_lo
	v_lshl_add_u32 v38, 0x100000, v37, -1
	v_lshrrev_b32_e32 v39, v37, v10
	v_lshlrev_b32_e64 v49, v37, 0x80000
	v_add_nc_u32_e32 v37, v37, v8
	v_and_b32_e32 v10, v38, v10
	v_bfe_u32 v48, v39, 20, 1
	v_cmp_eq_u32_e64 s17, v10, v49
	v_add_nc_u32_e32 v38, -1, v48
	v_cndmask_b32_e64 v10, 0, v38, s17
	v_lshrrev_b32_e32 v38, 23, v39
	s_mov_b32 s17, exec_lo
	v_add_nc_u32_e32 v10, v10, v39
	v_xor_b32_e32 v38, 1, v38
	v_and_b32_e32 v8, 0xfffff, v10
	v_add_nc_u32_e32 v10, v8, v39
                                        ; implicit-def: $vgpr8
	v_cmpx_ne_u32_e64 v37, v38
	s_xor_b32 s17, exec_lo, s17
; %bb.8865:                             ;   in Loop: Header=BB6_8366 Depth=3
	v_cmp_lt_u32_e32 vcc_lo, 0xffffff, v10
	v_sub_nc_u32_e32 v8, v37, v38
	v_cndmask_b32_e64 v37, 0, 1, vcc_lo
	v_add_co_ci_u32_e64 v8, null, 0, v8, vcc_lo
	v_lshrrev_b32_e32 v10, v37, v10
; %bb.8866:                             ;   in Loop: Header=BB6_8366 Depth=3
	s_andn2_saveexec_b32 s17, s17
; %bb.8867:                             ;   in Loop: Header=BB6_8366 Depth=3
	v_bfe_u32 v8, v10, 23, 1
; %bb.8868:                             ;   in Loop: Header=BB6_8366 Depth=3
	s_or_b32 exec_lo, exec_lo, s17
	v_lshrrev_b32_e32 v10, 20, v10
	v_min_i32_e32 v37, 15, v8
	v_cmp_gt_i32_e32 vcc_lo, 16, v8
	v_and_b32_sdwa v9, v9, v62 dst_sel:DWORD dst_unused:UNUSED_PAD src0_sel:BYTE_3 src1_sel:DWORD
	v_lshlrev_b32_e32 v37, 3, v37
	v_cndmask_b32_e32 v10, 7, v10, vcc_lo
	v_and_b32_e32 v37, 0xf8, v37
	v_and_b32_e32 v38, 7, v10
	v_or_b32_e32 v8, v8, v10
	v_or3_b32 v9, v9, v37, v38
	v_cmp_ne_u32_e32 vcc_lo, 0, v8
	v_lshlrev_b32_e32 v9, 8, v9
	v_cndmask_b32_e32 v37, 0, v9, vcc_lo
.LBB6_8869:                             ;   in Loop: Header=BB6_8366 Depth=3
	s_or_b32 exec_lo, exec_lo, s22
.LBB6_8870:                             ;   in Loop: Header=BB6_8366 Depth=3
	s_or_b32 exec_lo, exec_lo, s18
	v_bfe_u32 v8, v11, 16, 3
	v_bfe_u32 v38, v11, 19, 4
	v_lshlrev_b32_e32 v39, 8, v11
	s_mov_b32 s18, -1
	v_ffbh_u32_e32 v9, v8
	v_cmp_eq_u32_e32 vcc_lo, 0, v38
	v_min_u32_e32 v9, 32, v9
	v_subrev_nc_u32_e32 v10, 28, v9
	v_sub_nc_u32_e32 v9, 29, v9
	v_lshlrev_b32_sdwa v10, v10, v11 dst_sel:DWORD dst_unused:UNUSED_PAD src0_sel:DWORD src1_sel:WORD_1
	v_cndmask_b32_e32 v9, v38, v9, vcc_lo
	v_and_b32_e32 v10, 7, v10
	v_lshl_add_u32 v38, v9, 23, 0x3b800000
	v_and_b32_sdwa v9, v15, v72 dst_sel:DWORD dst_unused:UNUSED_PAD src0_sel:WORD_1 src1_sel:DWORD
	v_cndmask_b32_e32 v8, v8, v10, vcc_lo
	v_and_b32_e32 v10, 0x80000000, v39
	v_cmp_lt_i16_e64 s17, 0x7f, v9
	s_and_b32 vcc_lo, exec_lo, s75
	v_lshlrev_b32_e32 v8, 20, v8
	v_or3_b32 v8, v10, v38, v8
                                        ; implicit-def: $vgpr10
	s_cbranch_vccz .LBB6_8884
; %bb.8871:                             ;   in Loop: Header=BB6_8366 Depth=3
	s_mov_b32 s18, 0
	s_and_saveexec_b32 s22, s17
	s_xor_b32 s17, exec_lo, s22
	s_cbranch_execz .LBB6_9057
; %bb.8872:                             ;   in Loop: Header=BB6_8366 Depth=3
	s_mov_b32 s18, -1
	s_mov_b32 s22, exec_lo
	v_cmpx_eq_u16_e32 0x80, v9
; %bb.8873:                             ;   in Loop: Header=BB6_8366 Depth=3
	s_xor_b32 s18, exec_lo, -1
; %bb.8874:                             ;   in Loop: Header=BB6_8366 Depth=3
	s_or_b32 exec_lo, exec_lo, s22
	s_and_b32 s18, s18, exec_lo
	s_or_saveexec_b32 s17, s17
	v_mov_b32_e32 v10, 0x7f800001
	s_xor_b32 exec_lo, exec_lo, s17
	s_cbranch_execnz .LBB6_9058
.LBB6_8875:                             ;   in Loop: Header=BB6_8366 Depth=3
	s_or_b32 exec_lo, exec_lo, s17
	s_and_saveexec_b32 s17, s18
	s_cbranch_execz .LBB6_8877
.LBB6_8876:                             ;   in Loop: Header=BB6_8366 Depth=3
	v_bfe_u32 v10, v15, 16, 3
	v_bfe_u32 v48, v15, 19, 4
	v_lshlrev_b32_sdwa v49, v73, v15 dst_sel:DWORD dst_unused:UNUSED_PAD src0_sel:DWORD src1_sel:WORD_1
	v_ffbh_u32_e32 v38, v10
	v_cmp_eq_u32_e32 vcc_lo, 0, v48
	v_min_u32_e32 v38, 32, v38
	v_subrev_nc_u32_e32 v39, 28, v38
	v_sub_nc_u32_e32 v38, 29, v38
	v_lshlrev_b32_sdwa v39, v39, v15 dst_sel:DWORD dst_unused:UNUSED_PAD src0_sel:DWORD src1_sel:WORD_1
	v_cndmask_b32_e32 v38, v48, v38, vcc_lo
	v_and_b32_e32 v39, 7, v39
	v_lshl_add_u32 v38, v38, 23, 0x3b800000
	v_cndmask_b32_e32 v10, v10, v39, vcc_lo
	v_and_b32_e32 v39, 0x80000000, v49
	v_lshlrev_b32_e32 v10, 20, v10
	v_or3_b32 v10, v39, v38, v10
.LBB6_8877:                             ;   in Loop: Header=BB6_8366 Depth=3
	s_or_b32 exec_lo, exec_lo, s17
	v_and_b32_sdwa v39, v11, v72 dst_sel:DWORD dst_unused:UNUSED_PAD src0_sel:WORD_1 src1_sel:DWORD
	s_mov_b32 s17, 0
	s_mov_b32 s18, exec_lo
	v_cmpx_lt_i16_e32 0x7f, v39
	s_xor_b32 s18, exec_lo, s18
	s_cbranch_execz .LBB6_9059
; %bb.8878:                             ;   in Loop: Header=BB6_8366 Depth=3
	s_mov_b32 s17, -1
	s_mov_b32 s22, exec_lo
	v_cmpx_eq_u16_e32 0x80, v39
; %bb.8879:                             ;   in Loop: Header=BB6_8366 Depth=3
	s_xor_b32 s17, exec_lo, -1
; %bb.8880:                             ;   in Loop: Header=BB6_8366 Depth=3
	s_or_b32 exec_lo, exec_lo, s22
	s_and_b32 s17, s17, exec_lo
                                        ; implicit-def: $vgpr39
	s_or_saveexec_b32 s18, s18
	v_mov_b32_e32 v38, 0x7f800001
	s_xor_b32 exec_lo, exec_lo, s18
	s_cbranch_execnz .LBB6_9060
.LBB6_8881:                             ;   in Loop: Header=BB6_8366 Depth=3
	s_or_b32 exec_lo, exec_lo, s18
	s_and_saveexec_b32 s18, s17
.LBB6_8882:                             ;   in Loop: Header=BB6_8366 Depth=3
	v_mov_b32_e32 v38, v8
.LBB6_8883:                             ;   in Loop: Header=BB6_8366 Depth=3
	s_or_b32 exec_lo, exec_lo, s18
	v_max_f32_e32 v38, v38, v38
	v_max_f32_e32 v10, v10, v10
	s_mov_b32 s18, 0
	v_max_f32_e32 v10, v10, v38
.LBB6_8884:                             ;   in Loop: Header=BB6_8366 Depth=3
	s_and_b32 vcc_lo, exec_lo, s18
	s_cbranch_vccz .LBB6_8898
; %bb.8885:                             ;   in Loop: Header=BB6_8366 Depth=3
	s_mov_b32 s17, 0
	s_mov_b32 s18, exec_lo
	v_cmpx_lt_i16_e32 0x7f, v9
	s_xor_b32 s18, exec_lo, s18
	s_cbranch_execz .LBB6_9061
; %bb.8886:                             ;   in Loop: Header=BB6_8366 Depth=3
	s_mov_b32 s17, -1
	s_mov_b32 s22, exec_lo
	v_cmpx_eq_u16_e32 0x80, v9
; %bb.8887:                             ;   in Loop: Header=BB6_8366 Depth=3
	s_xor_b32 s17, exec_lo, -1
; %bb.8888:                             ;   in Loop: Header=BB6_8366 Depth=3
	s_or_b32 exec_lo, exec_lo, s22
	s_and_b32 s17, s17, exec_lo
                                        ; implicit-def: $vgpr9
	s_or_saveexec_b32 s18, s18
	v_mov_b32_e32 v10, 0x7f800001
	s_xor_b32 exec_lo, exec_lo, s18
	s_cbranch_execnz .LBB6_9062
.LBB6_8889:                             ;   in Loop: Header=BB6_8366 Depth=3
	s_or_b32 exec_lo, exec_lo, s18
	s_and_saveexec_b32 s18, s17
	s_cbranch_execz .LBB6_8891
.LBB6_8890:                             ;   in Loop: Header=BB6_8366 Depth=3
	v_bfe_u32 v9, v15, 16, 3
	v_bfe_u32 v39, v15, 19, 4
	v_lshlrev_b32_sdwa v48, v73, v15 dst_sel:DWORD dst_unused:UNUSED_PAD src0_sel:DWORD src1_sel:WORD_1
	v_ffbh_u32_e32 v10, v9
	v_cmp_eq_u32_e32 vcc_lo, 0, v39
	v_min_u32_e32 v10, 32, v10
	v_subrev_nc_u32_e32 v38, 28, v10
	v_sub_nc_u32_e32 v10, 29, v10
	v_lshlrev_b32_sdwa v38, v38, v15 dst_sel:DWORD dst_unused:UNUSED_PAD src0_sel:DWORD src1_sel:WORD_1
	v_cndmask_b32_e32 v10, v39, v10, vcc_lo
	v_and_b32_e32 v38, 7, v38
	v_lshl_add_u32 v10, v10, 23, 0x3b800000
	v_cndmask_b32_e32 v9, v9, v38, vcc_lo
	v_and_b32_e32 v38, 0x80000000, v48
	v_lshlrev_b32_e32 v9, 20, v9
	v_or3_b32 v10, v38, v10, v9
.LBB6_8891:                             ;   in Loop: Header=BB6_8366 Depth=3
	s_or_b32 exec_lo, exec_lo, s18
	v_and_b32_sdwa v38, v11, v72 dst_sel:DWORD dst_unused:UNUSED_PAD src0_sel:WORD_1 src1_sel:DWORD
	s_mov_b32 s17, 0
	s_mov_b32 s18, exec_lo
	v_cmpx_lt_i16_e32 0x7f, v38
	s_xor_b32 s18, exec_lo, s18
	s_cbranch_execz .LBB6_9063
; %bb.8892:                             ;   in Loop: Header=BB6_8366 Depth=3
	s_mov_b32 s17, -1
	s_mov_b32 s22, exec_lo
	v_cmpx_eq_u16_e32 0x80, v38
; %bb.8893:                             ;   in Loop: Header=BB6_8366 Depth=3
	s_xor_b32 s17, exec_lo, -1
; %bb.8894:                             ;   in Loop: Header=BB6_8366 Depth=3
	s_or_b32 exec_lo, exec_lo, s22
	s_and_b32 s17, s17, exec_lo
                                        ; implicit-def: $vgpr38
	s_or_saveexec_b32 s18, s18
	v_mov_b32_e32 v9, 0x7f800001
	s_xor_b32 exec_lo, exec_lo, s18
	s_cbranch_execnz .LBB6_9064
.LBB6_8895:                             ;   in Loop: Header=BB6_8366 Depth=3
	s_or_b32 exec_lo, exec_lo, s18
	s_and_saveexec_b32 s18, s17
.LBB6_8896:                             ;   in Loop: Header=BB6_8366 Depth=3
	v_mov_b32_e32 v9, v8
.LBB6_8897:                             ;   in Loop: Header=BB6_8366 Depth=3
	s_or_b32 exec_lo, exec_lo, s18
	v_max_f32_e32 v8, v9, v9
	v_max_f32_e32 v9, v10, v10
	v_min_f32_e32 v10, v9, v8
.LBB6_8898:                             ;   in Loop: Header=BB6_8366 Depth=3
	v_and_b32_e32 v8, 0x7f800000, v10
	v_mov_b32_e32 v38, 0x80
	s_mov_b32 s18, exec_lo
	v_cmpx_ne_u32_e32 0x7f800000, v8
	s_cbranch_execz .LBB6_8906
; %bb.8899:                             ;   in Loop: Header=BB6_8366 Depth=3
	v_mov_b32_e32 v38, 0
	s_mov_b32 s22, exec_lo
	v_cmpx_ne_u32_e32 0, v10
	s_cbranch_execz .LBB6_8905
; %bb.8900:                             ;   in Loop: Header=BB6_8366 Depth=3
	v_bfe_u32 v8, v10, 23, 8
	v_and_b32_e32 v9, 0x7fffff, v10
	v_sub_nc_u32_e32 v38, 0x78, v8
	v_cmp_gt_u32_e32 vcc_lo, 0x79, v8
	v_or_b32_e32 v39, 0x800000, v9
	v_cndmask_b32_e32 v38, 0, v38, vcc_lo
	v_cmp_eq_u32_e32 vcc_lo, 0, v8
	v_add_nc_u32_e32 v8, 0xffffff89, v8
	v_cndmask_b32_e64 v38, v38, 0x77, vcc_lo
	v_cndmask_b32_e32 v9, v39, v9, vcc_lo
	v_cndmask_b32_e64 v8, v8, 0xffffff8a, vcc_lo
	v_lshl_add_u32 v39, 0x100000, v38, -1
	v_lshrrev_b32_e32 v48, v38, v9
	v_lshlrev_b32_e64 v50, v38, 0x80000
	v_add_nc_u32_e32 v38, v38, v8
	v_and_b32_e32 v9, v39, v9
	v_bfe_u32 v49, v48, 20, 1
	v_cmp_eq_u32_e64 s17, v9, v50
	v_add_nc_u32_e32 v39, -1, v49
	v_cndmask_b32_e64 v9, 0, v39, s17
	v_lshrrev_b32_e32 v39, 23, v48
	s_mov_b32 s17, exec_lo
	v_add_nc_u32_e32 v9, v9, v48
	v_xor_b32_e32 v39, 1, v39
	v_and_b32_e32 v8, 0xfffff, v9
	v_add_nc_u32_e32 v9, v8, v48
                                        ; implicit-def: $vgpr8
	v_cmpx_ne_u32_e64 v38, v39
	s_xor_b32 s17, exec_lo, s17
; %bb.8901:                             ;   in Loop: Header=BB6_8366 Depth=3
	v_cmp_lt_u32_e32 vcc_lo, 0xffffff, v9
	v_sub_nc_u32_e32 v8, v38, v39
	v_cndmask_b32_e64 v38, 0, 1, vcc_lo
	v_add_co_ci_u32_e64 v8, null, 0, v8, vcc_lo
	v_lshrrev_b32_e32 v9, v38, v9
; %bb.8902:                             ;   in Loop: Header=BB6_8366 Depth=3
	s_andn2_saveexec_b32 s17, s17
; %bb.8903:                             ;   in Loop: Header=BB6_8366 Depth=3
	v_bfe_u32 v8, v9, 23, 1
; %bb.8904:                             ;   in Loop: Header=BB6_8366 Depth=3
	s_or_b32 exec_lo, exec_lo, s17
	v_lshrrev_b32_e32 v9, 20, v9
	v_min_i32_e32 v38, 15, v8
	v_cmp_gt_i32_e32 vcc_lo, 16, v8
	v_and_b32_sdwa v10, v10, v62 dst_sel:DWORD dst_unused:UNUSED_PAD src0_sel:BYTE_3 src1_sel:DWORD
	v_lshlrev_b32_e32 v38, 3, v38
	v_cndmask_b32_e32 v9, 7, v9, vcc_lo
	v_and_b32_e32 v38, 0xf8, v38
	v_and_b32_e32 v39, 7, v9
	v_or_b32_e32 v8, v8, v9
	v_or3_b32 v9, v38, v10, v39
	v_cmp_ne_u32_e32 vcc_lo, 0, v8
	v_cndmask_b32_e32 v38, 0, v9, vcc_lo
.LBB6_8905:                             ;   in Loop: Header=BB6_8366 Depth=3
	s_or_b32 exec_lo, exec_lo, s22
.LBB6_8906:                             ;   in Loop: Header=BB6_8366 Depth=3
	s_or_b32 exec_lo, exec_lo, s18
	v_bfe_u32 v8, v11, 24, 3
	v_bfe_u32 v39, v11, 27, 4
	v_cmp_gt_i16_sdwa s18, v15, v61 src0_sel:BYTE_3 src1_sel:DWORD
	s_mov_b32 s17, -1
	v_ffbh_u32_e32 v9, v8
	v_cmp_eq_u32_e32 vcc_lo, 0, v39
	v_min_u32_e32 v9, 32, v9
	v_subrev_nc_u32_e32 v10, 28, v9
	v_sub_nc_u32_e32 v9, 29, v9
	v_lshlrev_b32_sdwa v10, v10, v11 dst_sel:DWORD dst_unused:UNUSED_PAD src0_sel:DWORD src1_sel:BYTE_3
	v_cndmask_b32_e32 v9, v39, v9, vcc_lo
	v_and_b32_e32 v10, 7, v10
	v_lshl_add_u32 v9, v9, 23, 0x3b800000
	v_cndmask_b32_e32 v8, v8, v10, vcc_lo
	v_and_b32_e32 v10, 0x80000000, v11
	s_and_b32 vcc_lo, exec_lo, s75
	v_lshlrev_b32_e32 v8, 20, v8
	v_or3_b32 v39, v10, v9, v8
                                        ; implicit-def: $vgpr8
	s_cbranch_vccz .LBB6_8920
; %bb.8907:                             ;   in Loop: Header=BB6_8366 Depth=3
	s_mov_b32 s17, 0
	s_and_saveexec_b32 s22, s18
	s_xor_b32 s18, exec_lo, s22
	s_cbranch_execz .LBB6_9065
; %bb.8908:                             ;   in Loop: Header=BB6_8366 Depth=3
	v_cmp_eq_u16_sdwa s23, v15, v62 src0_sel:BYTE_3 src1_sel:DWORD
	s_mov_b32 s17, -1
	s_and_saveexec_b32 s22, s23
; %bb.8909:                             ;   in Loop: Header=BB6_8366 Depth=3
	s_xor_b32 s17, exec_lo, -1
; %bb.8910:                             ;   in Loop: Header=BB6_8366 Depth=3
	s_or_b32 exec_lo, exec_lo, s22
	s_and_b32 s17, s17, exec_lo
	s_or_saveexec_b32 s18, s18
	v_mov_b32_e32 v8, 0x7f800001
	s_xor_b32 exec_lo, exec_lo, s18
	s_cbranch_execnz .LBB6_9066
.LBB6_8911:                             ;   in Loop: Header=BB6_8366 Depth=3
	s_or_b32 exec_lo, exec_lo, s18
	s_and_saveexec_b32 s18, s17
	s_cbranch_execz .LBB6_8913
.LBB6_8912:                             ;   in Loop: Header=BB6_8366 Depth=3
	v_bfe_u32 v8, v15, 24, 3
	v_bfe_u32 v48, v15, 27, 4
	v_ffbh_u32_e32 v9, v8
	v_cmp_eq_u32_e32 vcc_lo, 0, v48
	v_min_u32_e32 v9, 32, v9
	v_subrev_nc_u32_e32 v10, 28, v9
	v_sub_nc_u32_e32 v9, 29, v9
	v_lshlrev_b32_sdwa v10, v10, v15 dst_sel:DWORD dst_unused:UNUSED_PAD src0_sel:DWORD src1_sel:BYTE_3
	v_cndmask_b32_e32 v9, v48, v9, vcc_lo
	v_and_b32_e32 v10, 7, v10
	v_lshl_add_u32 v9, v9, 23, 0x3b800000
	v_cndmask_b32_e32 v8, v8, v10, vcc_lo
	v_and_b32_e32 v10, 0x80000000, v15
	v_lshlrev_b32_e32 v8, 20, v8
	v_or3_b32 v8, v10, v9, v8
.LBB6_8913:                             ;   in Loop: Header=BB6_8366 Depth=3
	s_or_b32 exec_lo, exec_lo, s18
	v_cmp_gt_i16_sdwa s18, v11, v61 src0_sel:BYTE_3 src1_sel:DWORD
	s_mov_b32 s17, 0
	s_and_saveexec_b32 s22, s18
	s_xor_b32 s18, exec_lo, s22
	s_cbranch_execz .LBB6_9067
; %bb.8914:                             ;   in Loop: Header=BB6_8366 Depth=3
	v_cmp_eq_u16_sdwa s23, v11, v62 src0_sel:BYTE_3 src1_sel:DWORD
	s_mov_b32 s17, -1
	s_and_saveexec_b32 s22, s23
; %bb.8915:                             ;   in Loop: Header=BB6_8366 Depth=3
	s_xor_b32 s17, exec_lo, -1
; %bb.8916:                             ;   in Loop: Header=BB6_8366 Depth=3
	s_or_b32 exec_lo, exec_lo, s22
	s_and_b32 s17, s17, exec_lo
	s_or_saveexec_b32 s18, s18
	v_mov_b32_e32 v9, 0x7f800001
	s_xor_b32 exec_lo, exec_lo, s18
	s_cbranch_execnz .LBB6_9068
.LBB6_8917:                             ;   in Loop: Header=BB6_8366 Depth=3
	s_or_b32 exec_lo, exec_lo, s18
	s_and_saveexec_b32 s18, s17
.LBB6_8918:                             ;   in Loop: Header=BB6_8366 Depth=3
	v_mov_b32_e32 v9, v39
.LBB6_8919:                             ;   in Loop: Header=BB6_8366 Depth=3
	s_or_b32 exec_lo, exec_lo, s18
	v_max_f32_e32 v9, v9, v9
	v_max_f32_e32 v8, v8, v8
	s_mov_b32 s17, 0
	v_max_f32_e32 v8, v8, v9
.LBB6_8920:                             ;   in Loop: Header=BB6_8366 Depth=3
	s_and_b32 vcc_lo, exec_lo, s17
	s_cbranch_vccz .LBB6_8934
; %bb.8921:                             ;   in Loop: Header=BB6_8366 Depth=3
	v_cmp_gt_i16_sdwa s18, v15, v61 src0_sel:BYTE_3 src1_sel:DWORD
	s_mov_b32 s17, 0
	s_and_saveexec_b32 s22, s18
	s_xor_b32 s18, exec_lo, s22
	s_cbranch_execz .LBB6_9069
; %bb.8922:                             ;   in Loop: Header=BB6_8366 Depth=3
	v_cmp_eq_u16_sdwa s23, v15, v62 src0_sel:BYTE_3 src1_sel:DWORD
	s_mov_b32 s17, -1
	s_and_saveexec_b32 s22, s23
; %bb.8923:                             ;   in Loop: Header=BB6_8366 Depth=3
	s_xor_b32 s17, exec_lo, -1
; %bb.8924:                             ;   in Loop: Header=BB6_8366 Depth=3
	s_or_b32 exec_lo, exec_lo, s22
	s_and_b32 s17, s17, exec_lo
	s_or_saveexec_b32 s18, s18
	v_mov_b32_e32 v48, 0x7f800001
	s_xor_b32 exec_lo, exec_lo, s18
	s_cbranch_execnz .LBB6_9070
.LBB6_8925:                             ;   in Loop: Header=BB6_8366 Depth=3
	s_or_b32 exec_lo, exec_lo, s18
	s_and_saveexec_b32 s18, s17
	s_cbranch_execz .LBB6_8927
.LBB6_8926:                             ;   in Loop: Header=BB6_8366 Depth=3
	v_bfe_u32 v8, v15, 24, 3
	v_bfe_u32 v48, v15, 27, 4
	v_ffbh_u32_e32 v9, v8
	v_cmp_eq_u32_e32 vcc_lo, 0, v48
	v_min_u32_e32 v9, 32, v9
	v_subrev_nc_u32_e32 v10, 28, v9
	v_sub_nc_u32_e32 v9, 29, v9
	v_lshlrev_b32_sdwa v10, v10, v15 dst_sel:DWORD dst_unused:UNUSED_PAD src0_sel:DWORD src1_sel:BYTE_3
	v_cndmask_b32_e32 v9, v48, v9, vcc_lo
	v_and_b32_e32 v10, 7, v10
	v_lshl_add_u32 v9, v9, 23, 0x3b800000
	v_cndmask_b32_e32 v8, v8, v10, vcc_lo
	v_and_b32_e32 v10, 0x80000000, v15
	v_lshlrev_b32_e32 v8, 20, v8
	v_or3_b32 v48, v10, v9, v8
.LBB6_8927:                             ;   in Loop: Header=BB6_8366 Depth=3
	s_or_b32 exec_lo, exec_lo, s18
	v_cmp_gt_i16_sdwa s18, v11, v61 src0_sel:BYTE_3 src1_sel:DWORD
	s_mov_b32 s17, 0
	s_and_saveexec_b32 s22, s18
	s_xor_b32 s18, exec_lo, s22
	s_cbranch_execz .LBB6_9071
; %bb.8928:                             ;   in Loop: Header=BB6_8366 Depth=3
	v_cmp_eq_u16_sdwa s23, v11, v62 src0_sel:BYTE_3 src1_sel:DWORD
	s_mov_b32 s17, -1
	s_and_saveexec_b32 s22, s23
; %bb.8929:                             ;   in Loop: Header=BB6_8366 Depth=3
	s_xor_b32 s17, exec_lo, -1
; %bb.8930:                             ;   in Loop: Header=BB6_8366 Depth=3
	s_or_b32 exec_lo, exec_lo, s22
	s_and_b32 s17, s17, exec_lo
                                        ; implicit-def: $vgpr8_vgpr9_vgpr10_vgpr11
	s_or_saveexec_b32 s18, s18
	v_mov_b32_e32 v8, 0x7f800001
	s_xor_b32 exec_lo, exec_lo, s18
	s_cbranch_execnz .LBB6_9072
.LBB6_8931:                             ;   in Loop: Header=BB6_8366 Depth=3
	s_or_b32 exec_lo, exec_lo, s18
	s_and_saveexec_b32 s18, s17
.LBB6_8932:                             ;   in Loop: Header=BB6_8366 Depth=3
	v_mov_b32_e32 v8, v39
.LBB6_8933:                             ;   in Loop: Header=BB6_8366 Depth=3
	s_or_b32 exec_lo, exec_lo, s18
	v_max_f32_e32 v8, v8, v8
	v_max_f32_e32 v9, v48, v48
	v_min_f32_e32 v8, v9, v8
.LBB6_8934:                             ;   in Loop: Header=BB6_8366 Depth=3
	v_and_b32_e32 v9, 0x7f800000, v8
	v_cmp_ne_u32_e32 vcc_lo, 0x7f800000, v9
	v_mov_b32_e32 v9, 0x8000
	s_and_saveexec_b32 s18, vcc_lo
	s_cbranch_execz .LBB6_8942
; %bb.8935:                             ;   in Loop: Header=BB6_8366 Depth=3
	v_mov_b32_e32 v9, 0
	s_mov_b32 s22, exec_lo
	v_cmpx_ne_u32_e32 0, v8
	s_cbranch_execz .LBB6_8941
; %bb.8936:                             ;   in Loop: Header=BB6_8366 Depth=3
	v_bfe_u32 v9, v8, 23, 8
	v_and_b32_e32 v10, 0x7fffff, v8
	v_sub_nc_u32_e32 v11, 0x78, v9
	v_cmp_gt_u32_e32 vcc_lo, 0x79, v9
	v_or_b32_e32 v15, 0x800000, v10
	v_cndmask_b32_e32 v11, 0, v11, vcc_lo
	v_cmp_eq_u32_e32 vcc_lo, 0, v9
	v_add_nc_u32_e32 v9, 0xffffff89, v9
	v_cndmask_b32_e64 v11, v11, 0x77, vcc_lo
	v_cndmask_b32_e32 v10, v15, v10, vcc_lo
	v_cndmask_b32_e64 v9, v9, 0xffffff8a, vcc_lo
	v_lshl_add_u32 v15, 0x100000, v11, -1
	v_lshrrev_b32_e32 v39, v11, v10
	v_lshlrev_b32_e64 v49, v11, 0x80000
	v_add_nc_u32_e32 v11, v11, v9
	v_and_b32_e32 v10, v15, v10
	v_bfe_u32 v48, v39, 20, 1
	v_cmp_eq_u32_e64 s17, v10, v49
	v_add_nc_u32_e32 v15, -1, v48
	v_cndmask_b32_e64 v10, 0, v15, s17
	v_lshrrev_b32_e32 v15, 23, v39
	s_mov_b32 s17, exec_lo
	v_add_nc_u32_e32 v10, v10, v39
	v_xor_b32_e32 v15, 1, v15
	v_and_b32_e32 v9, 0xfffff, v10
	v_add_nc_u32_e32 v10, v9, v39
                                        ; implicit-def: $vgpr9
	v_cmpx_ne_u32_e64 v11, v15
	s_xor_b32 s17, exec_lo, s17
; %bb.8937:                             ;   in Loop: Header=BB6_8366 Depth=3
	v_cmp_lt_u32_e32 vcc_lo, 0xffffff, v10
	v_sub_nc_u32_e32 v9, v11, v15
	v_cndmask_b32_e64 v11, 0, 1, vcc_lo
	v_add_co_ci_u32_e64 v9, null, 0, v9, vcc_lo
	v_lshrrev_b32_e32 v10, v11, v10
; %bb.8938:                             ;   in Loop: Header=BB6_8366 Depth=3
	s_andn2_saveexec_b32 s17, s17
; %bb.8939:                             ;   in Loop: Header=BB6_8366 Depth=3
	v_bfe_u32 v9, v10, 23, 1
; %bb.8940:                             ;   in Loop: Header=BB6_8366 Depth=3
	s_or_b32 exec_lo, exec_lo, s17
	v_lshrrev_b32_e32 v10, 20, v10
	v_min_i32_e32 v11, 15, v9
	v_cmp_gt_i32_e32 vcc_lo, 16, v9
	v_and_b32_sdwa v8, v8, v62 dst_sel:DWORD dst_unused:UNUSED_PAD src0_sel:BYTE_3 src1_sel:DWORD
	v_lshlrev_b32_e32 v11, 3, v11
	v_cndmask_b32_e32 v10, 7, v10, vcc_lo
	v_and_b32_e32 v11, 0xf8, v11
	v_and_b32_e32 v15, 7, v10
	v_or_b32_e32 v9, v9, v10
	v_or3_b32 v8, v8, v11, v15
	v_cmp_ne_u32_e32 vcc_lo, 0, v9
	v_lshlrev_b32_e32 v8, 8, v8
	v_cndmask_b32_e32 v9, 0, v8, vcc_lo
.LBB6_8941:                             ;   in Loop: Header=BB6_8366 Depth=3
	s_or_b32 exec_lo, exec_lo, s22
.LBB6_8942:                             ;   in Loop: Header=BB6_8366 Depth=3
	s_or_b32 exec_lo, exec_lo, s18
	v_or_b32_sdwa v8, v13, v32 dst_sel:WORD_1 dst_unused:UNUSED_PAD src0_sel:DWORD src1_sel:DWORD
	v_or_b32_sdwa v10, v12, v29 dst_sel:WORD_1 dst_unused:UNUSED_PAD src0_sel:DWORD src1_sel:DWORD
	;; [unrolled: 1-line block ×4, first 2 shown]
	s_mov_b64 s[22:23], 0
	v_or3_b32 v9, v31, v30, v8
	v_or3_b32 v8, v28, v27, v10
	;; [unrolled: 1-line block ×4, first 2 shown]
	s_mov_b32 s76, -1
	.p2align	6
.LBB6_8943:                             ;   Parent Loop BB6_47 Depth=1
                                        ;     Parent Loop BB6_5463 Depth=2
                                        ;       Parent Loop BB6_8366 Depth=3
                                        ; =>      This Inner Loop Header: Depth=4
	s_cmp_eq_u32 s22, 1
	s_cselect_b32 vcc_lo, -1, 0
	s_cmp_eq_u32 s22, 0
	v_cndmask_b32_e32 v12, v23, v25, vcc_lo
	v_cndmask_b32_e32 v13, v24, v26, vcc_lo
	s_mov_b64 s[22:23], 1
	v_add_co_u32 v14, s17, 0x200, v12
	v_add_co_ci_u32_e64 v15, null, 0, v13, s17
	s_cselect_b32 s17, -1, 0
	v_cndmask_b32_e32 v25, v25, v14, vcc_lo
	v_cndmask_b32_e64 v23, v23, v14, s17
	v_cndmask_b32_e32 v26, v26, v15, vcc_lo
	v_cndmask_b32_e64 v24, v24, v15, s17
	s_and_b32 s18, exec_lo, s76
	s_mov_b32 s76, 0
	s_mov_b32 vcc_lo, s18
	global_store_dwordx4 v[12:13], v[8:11], off glc slc
	s_cbranch_vccnz .LBB6_8943
; %bb.8944:                             ;   in Loop: Header=BB6_8366 Depth=3
	v_add_co_u32 v16, vcc_lo, v16, v95
	v_sub_nc_u32_e32 v22, v22, v76
	v_add_co_ci_u32_e64 v17, null, v17, v104, vcc_lo
	v_add_co_u32 v18, vcc_lo, v18, v95
	v_add_co_ci_u32_e64 v19, null, v19, v104, vcc_lo
	v_add_co_u32 v23, vcc_lo, v23, v89
	v_add_co_ci_u32_e64 v24, null, v24, v92, vcc_lo
	v_cmp_gt_i32_e32 vcc_lo, 16, v22
	v_add_co_u32 v25, s17, v25, v89
	v_add_co_ci_u32_e64 v26, null, v26, v92, s17
	v_sub_nc_u32_e32 v21, v21, v47
	s_or_b32 s74, vcc_lo, s74
	s_andn2_b32 exec_lo, exec_lo, s74
	s_cbranch_execnz .LBB6_8366
	s_branch .LBB6_9073
.LBB6_8945:                             ;   in Loop: Header=BB6_8366 Depth=3
	s_or_saveexec_b32 s18, s18
	v_mov_b32_e32 v28, 0x7f800001
	s_xor_b32 exec_lo, exec_lo, s18
	s_cbranch_execz .LBB6_8371
.LBB6_8946:                             ;   in Loop: Header=BB6_8366 Depth=3
	v_cmp_ne_u16_sdwa s22, v12, v2 src0_sel:BYTE_0 src1_sel:DWORD
	v_mov_b32_e32 v28, 0
	s_andn2_b32 s17, s17, exec_lo
	s_and_b32 s22, s22, exec_lo
	s_or_b32 s17, s17, s22
	s_or_b32 exec_lo, exec_lo, s18
	s_and_saveexec_b32 s18, s17
	s_cbranch_execnz .LBB6_8372
	s_branch .LBB6_8373
.LBB6_8947:                             ;   in Loop: Header=BB6_8366 Depth=3
	s_or_saveexec_b32 s18, s18
	v_mov_b32_e32 v29, 0x7f800001
	s_xor_b32 exec_lo, exec_lo, s18
	s_cbranch_execz .LBB6_8377
.LBB6_8948:                             ;   in Loop: Header=BB6_8366 Depth=3
	v_cmp_ne_u16_sdwa s22, v8, v2 src0_sel:BYTE_0 src1_sel:DWORD
	v_mov_b32_e32 v29, 0
	s_andn2_b32 s17, s17, exec_lo
	s_and_b32 s22, s22, exec_lo
	s_or_b32 s17, s17, s22
	s_or_b32 exec_lo, exec_lo, s18
	s_and_saveexec_b32 s18, s17
	s_cbranch_execnz .LBB6_8378
	s_branch .LBB6_8379
.LBB6_8949:                             ;   in Loop: Header=BB6_8366 Depth=3
	s_or_saveexec_b32 s18, s18
	v_mov_b32_e32 v28, 0x7f800001
	s_xor_b32 exec_lo, exec_lo, s18
	s_cbranch_execz .LBB6_8385
.LBB6_8950:                             ;   in Loop: Header=BB6_8366 Depth=3
	v_cmp_ne_u16_sdwa s22, v12, v2 src0_sel:BYTE_0 src1_sel:DWORD
	v_mov_b32_e32 v28, 0
	s_andn2_b32 s17, s17, exec_lo
	s_and_b32 s22, s22, exec_lo
	s_or_b32 s17, s17, s22
	s_or_b32 exec_lo, exec_lo, s18
	s_and_saveexec_b32 s18, s17
	s_cbranch_execnz .LBB6_8386
	s_branch .LBB6_8387
.LBB6_8951:                             ;   in Loop: Header=BB6_8366 Depth=3
	s_or_saveexec_b32 s18, s18
	v_mov_b32_e32 v29, 0x7f800001
	s_xor_b32 exec_lo, exec_lo, s18
	s_cbranch_execz .LBB6_8391
.LBB6_8952:                             ;   in Loop: Header=BB6_8366 Depth=3
	v_cmp_ne_u16_sdwa s22, v8, v2 src0_sel:BYTE_0 src1_sel:DWORD
	v_mov_b32_e32 v29, 0
	s_andn2_b32 s17, s17, exec_lo
	s_and_b32 s22, s22, exec_lo
	s_or_b32 s17, s17, s22
	s_or_b32 exec_lo, exec_lo, s18
	s_and_saveexec_b32 s18, s17
	s_cbranch_execnz .LBB6_8392
	s_branch .LBB6_8393
.LBB6_8953:                             ;   in Loop: Header=BB6_8366 Depth=3
	s_or_saveexec_b32 s18, s18
	v_mov_b32_e32 v29, 0x7f800001
	s_xor_b32 exec_lo, exec_lo, s18
	s_cbranch_execz .LBB6_8407
.LBB6_8954:                             ;   in Loop: Header=BB6_8366 Depth=3
	v_cmp_ne_u16_sdwa s22, v12, v2 src0_sel:BYTE_1 src1_sel:DWORD
	v_mov_b32_e32 v29, 0
	s_andn2_b32 s17, s17, exec_lo
	s_and_b32 s22, s22, exec_lo
	s_or_b32 s17, s17, s22
	s_or_b32 exec_lo, exec_lo, s18
	s_and_saveexec_b32 s18, s17
	s_cbranch_execnz .LBB6_8408
	s_branch .LBB6_8409
.LBB6_8955:                             ;   in Loop: Header=BB6_8366 Depth=3
	s_or_saveexec_b32 s18, s18
	v_mov_b32_e32 v30, 0x7f800001
	s_xor_b32 exec_lo, exec_lo, s18
	s_cbranch_execz .LBB6_8413
.LBB6_8956:                             ;   in Loop: Header=BB6_8366 Depth=3
	v_cmp_ne_u16_sdwa s22, v8, v2 src0_sel:BYTE_1 src1_sel:DWORD
	v_mov_b32_e32 v30, 0
	s_andn2_b32 s17, s17, exec_lo
	s_and_b32 s22, s22, exec_lo
	s_or_b32 s17, s17, s22
	s_or_b32 exec_lo, exec_lo, s18
	s_and_saveexec_b32 s18, s17
	s_cbranch_execnz .LBB6_8414
	s_branch .LBB6_8415
.LBB6_8957:                             ;   in Loop: Header=BB6_8366 Depth=3
	s_or_saveexec_b32 s18, s18
	v_mov_b32_e32 v29, 0x7f800001
	s_xor_b32 exec_lo, exec_lo, s18
	s_cbranch_execz .LBB6_8421
.LBB6_8958:                             ;   in Loop: Header=BB6_8366 Depth=3
	v_cmp_ne_u16_sdwa s22, v12, v2 src0_sel:BYTE_1 src1_sel:DWORD
	v_mov_b32_e32 v29, 0
	s_andn2_b32 s17, s17, exec_lo
	s_and_b32 s22, s22, exec_lo
	s_or_b32 s17, s17, s22
	s_or_b32 exec_lo, exec_lo, s18
	s_and_saveexec_b32 s18, s17
	s_cbranch_execnz .LBB6_8422
	s_branch .LBB6_8423
.LBB6_8959:                             ;   in Loop: Header=BB6_8366 Depth=3
	s_or_saveexec_b32 s18, s18
	v_mov_b32_e32 v30, 0x7f800001
	s_xor_b32 exec_lo, exec_lo, s18
	s_cbranch_execz .LBB6_8427
.LBB6_8960:                             ;   in Loop: Header=BB6_8366 Depth=3
	v_cmp_ne_u16_sdwa s22, v8, v2 src0_sel:BYTE_1 src1_sel:DWORD
	v_mov_b32_e32 v30, 0
	s_andn2_b32 s17, s17, exec_lo
	s_and_b32 s22, s22, exec_lo
	s_or_b32 s17, s17, s22
	s_or_b32 exec_lo, exec_lo, s18
	s_and_saveexec_b32 s18, s17
	s_cbranch_execnz .LBB6_8428
	s_branch .LBB6_8429
.LBB6_8961:                             ;   in Loop: Header=BB6_8366 Depth=3
	s_or_saveexec_b32 s17, s17
	v_mov_b32_e32 v31, 0x7f800001
	s_xor_b32 exec_lo, exec_lo, s17
	s_cbranch_execz .LBB6_8443
.LBB6_8962:                             ;   in Loop: Header=BB6_8366 Depth=3
	v_cmp_ne_u16_e32 vcc_lo, 0, v30
	v_mov_b32_e32 v31, 0
	s_andn2_b32 s18, s18, exec_lo
	s_and_b32 s22, vcc_lo, exec_lo
	s_or_b32 s18, s18, s22
	s_or_b32 exec_lo, exec_lo, s17
	s_and_saveexec_b32 s17, s18
	s_cbranch_execnz .LBB6_8444
	s_branch .LBB6_8445
.LBB6_8963:                             ;   in Loop: Header=BB6_8366 Depth=3
	s_or_saveexec_b32 s18, s18
	v_mov_b32_e32 v32, 0x7f800001
	s_xor_b32 exec_lo, exec_lo, s18
	s_cbranch_execz .LBB6_8449
.LBB6_8964:                             ;   in Loop: Header=BB6_8366 Depth=3
	v_cmp_ne_u16_e32 vcc_lo, 0, v33
	v_mov_b32_e32 v32, 0
	s_andn2_b32 s17, s17, exec_lo
	s_and_b32 s22, vcc_lo, exec_lo
	s_or_b32 s17, s17, s22
	s_or_b32 exec_lo, exec_lo, s18
	s_and_saveexec_b32 s18, s17
	s_cbranch_execnz .LBB6_8450
	s_branch .LBB6_8451
.LBB6_8965:                             ;   in Loop: Header=BB6_8366 Depth=3
	s_or_saveexec_b32 s18, s18
	v_mov_b32_e32 v31, 0x7f800001
	s_xor_b32 exec_lo, exec_lo, s18
	s_cbranch_execz .LBB6_8457
.LBB6_8966:                             ;   in Loop: Header=BB6_8366 Depth=3
	v_cmp_ne_u16_e32 vcc_lo, 0, v30
	v_mov_b32_e32 v31, 0
	s_andn2_b32 s17, s17, exec_lo
	s_and_b32 s22, vcc_lo, exec_lo
	s_or_b32 s17, s17, s22
	s_or_b32 exec_lo, exec_lo, s18
	s_and_saveexec_b32 s18, s17
	s_cbranch_execnz .LBB6_8458
	s_branch .LBB6_8459
.LBB6_8967:                             ;   in Loop: Header=BB6_8366 Depth=3
	s_or_saveexec_b32 s18, s18
	v_mov_b32_e32 v30, 0x7f800001
	s_xor_b32 exec_lo, exec_lo, s18
	s_cbranch_execz .LBB6_8463
.LBB6_8968:                             ;   in Loop: Header=BB6_8366 Depth=3
	v_cmp_ne_u16_e32 vcc_lo, 0, v32
	v_mov_b32_e32 v30, 0
	s_andn2_b32 s17, s17, exec_lo
	s_and_b32 s22, vcc_lo, exec_lo
	s_or_b32 s17, s17, s22
	s_or_b32 exec_lo, exec_lo, s18
	s_and_saveexec_b32 s18, s17
	s_cbranch_execnz .LBB6_8464
	s_branch .LBB6_8465
.LBB6_8969:                             ;   in Loop: Header=BB6_8366 Depth=3
	s_or_saveexec_b32 s18, s18
	v_mov_b32_e32 v31, 0x7f800001
	s_xor_b32 exec_lo, exec_lo, s18
	s_cbranch_execz .LBB6_8479
.LBB6_8970:                             ;   in Loop: Header=BB6_8366 Depth=3
	v_cmp_ne_u16_sdwa s22, v12, v2 src0_sel:BYTE_3 src1_sel:DWORD
	v_mov_b32_e32 v31, 0
	s_andn2_b32 s17, s17, exec_lo
	s_and_b32 s22, s22, exec_lo
	s_or_b32 s17, s17, s22
	s_or_b32 exec_lo, exec_lo, s18
	s_and_saveexec_b32 s18, s17
	s_cbranch_execnz .LBB6_8480
	s_branch .LBB6_8481
.LBB6_8971:                             ;   in Loop: Header=BB6_8366 Depth=3
	s_or_saveexec_b32 s18, s18
	v_mov_b32_e32 v32, 0x7f800001
	s_xor_b32 exec_lo, exec_lo, s18
	s_cbranch_execz .LBB6_8485
.LBB6_8972:                             ;   in Loop: Header=BB6_8366 Depth=3
	v_cmp_ne_u16_sdwa s22, v8, v2 src0_sel:BYTE_3 src1_sel:DWORD
	v_mov_b32_e32 v32, 0
	s_andn2_b32 s17, s17, exec_lo
	s_and_b32 s22, s22, exec_lo
	s_or_b32 s17, s17, s22
	s_or_b32 exec_lo, exec_lo, s18
	s_and_saveexec_b32 s18, s17
	s_cbranch_execnz .LBB6_8486
	s_branch .LBB6_8487
.LBB6_8973:                             ;   in Loop: Header=BB6_8366 Depth=3
	s_or_saveexec_b32 s18, s18
	v_mov_b32_e32 v31, 0x7f800001
	s_xor_b32 exec_lo, exec_lo, s18
	s_cbranch_execz .LBB6_8493
.LBB6_8974:                             ;   in Loop: Header=BB6_8366 Depth=3
	v_cmp_ne_u16_sdwa s22, v12, v2 src0_sel:BYTE_3 src1_sel:DWORD
	v_mov_b32_e32 v31, 0
	s_andn2_b32 s17, s17, exec_lo
	s_and_b32 s22, s22, exec_lo
	s_or_b32 s17, s17, s22
	s_or_b32 exec_lo, exec_lo, s18
	s_and_saveexec_b32 s18, s17
	s_cbranch_execnz .LBB6_8494
	s_branch .LBB6_8495
.LBB6_8975:                             ;   in Loop: Header=BB6_8366 Depth=3
	s_or_saveexec_b32 s18, s18
	v_mov_b32_e32 v12, 0x7f800001
	s_xor_b32 exec_lo, exec_lo, s18
	s_cbranch_execz .LBB6_8499
.LBB6_8976:                             ;   in Loop: Header=BB6_8366 Depth=3
	v_cmp_ne_u16_sdwa s22, v8, v2 src0_sel:BYTE_3 src1_sel:DWORD
	v_mov_b32_e32 v12, 0
	s_andn2_b32 s17, s17, exec_lo
	s_and_b32 s22, s22, exec_lo
	s_or_b32 s17, s17, s22
	s_or_b32 exec_lo, exec_lo, s18
	s_and_saveexec_b32 s18, s17
	s_cbranch_execnz .LBB6_8500
	s_branch .LBB6_8501
.LBB6_8977:                             ;   in Loop: Header=BB6_8366 Depth=3
	s_or_saveexec_b32 s18, s18
	v_mov_b32_e32 v30, 0x7f800001
	s_xor_b32 exec_lo, exec_lo, s18
	s_cbranch_execz .LBB6_8515
.LBB6_8978:                             ;   in Loop: Header=BB6_8366 Depth=3
	v_cmp_ne_u16_sdwa s22, v13, v2 src0_sel:BYTE_0 src1_sel:DWORD
	v_mov_b32_e32 v30, 0
	s_andn2_b32 s17, s17, exec_lo
	s_and_b32 s22, s22, exec_lo
	s_or_b32 s17, s17, s22
	s_or_b32 exec_lo, exec_lo, s18
	s_and_saveexec_b32 s18, s17
	s_cbranch_execnz .LBB6_8516
	s_branch .LBB6_8517
.LBB6_8979:                             ;   in Loop: Header=BB6_8366 Depth=3
	s_or_saveexec_b32 s18, s18
	v_mov_b32_e32 v31, 0x7f800001
	s_xor_b32 exec_lo, exec_lo, s18
	s_cbranch_execz .LBB6_8521
.LBB6_8980:                             ;   in Loop: Header=BB6_8366 Depth=3
	v_cmp_ne_u16_sdwa s22, v9, v2 src0_sel:BYTE_0 src1_sel:DWORD
	v_mov_b32_e32 v31, 0
	s_andn2_b32 s17, s17, exec_lo
	s_and_b32 s22, s22, exec_lo
	s_or_b32 s17, s17, s22
	s_or_b32 exec_lo, exec_lo, s18
	s_and_saveexec_b32 s18, s17
	s_cbranch_execnz .LBB6_8522
	s_branch .LBB6_8523
.LBB6_8981:                             ;   in Loop: Header=BB6_8366 Depth=3
	s_or_saveexec_b32 s18, s18
	v_mov_b32_e32 v30, 0x7f800001
	s_xor_b32 exec_lo, exec_lo, s18
	s_cbranch_execz .LBB6_8529
.LBB6_8982:                             ;   in Loop: Header=BB6_8366 Depth=3
	v_cmp_ne_u16_sdwa s22, v13, v2 src0_sel:BYTE_0 src1_sel:DWORD
	v_mov_b32_e32 v30, 0
	s_andn2_b32 s17, s17, exec_lo
	s_and_b32 s22, s22, exec_lo
	s_or_b32 s17, s17, s22
	s_or_b32 exec_lo, exec_lo, s18
	s_and_saveexec_b32 s18, s17
	s_cbranch_execnz .LBB6_8530
	s_branch .LBB6_8531
.LBB6_8983:                             ;   in Loop: Header=BB6_8366 Depth=3
	s_or_saveexec_b32 s18, s18
	v_mov_b32_e32 v31, 0x7f800001
	s_xor_b32 exec_lo, exec_lo, s18
	s_cbranch_execz .LBB6_8535
.LBB6_8984:                             ;   in Loop: Header=BB6_8366 Depth=3
	v_cmp_ne_u16_sdwa s22, v9, v2 src0_sel:BYTE_0 src1_sel:DWORD
	v_mov_b32_e32 v31, 0
	s_andn2_b32 s17, s17, exec_lo
	s_and_b32 s22, s22, exec_lo
	s_or_b32 s17, s17, s22
	s_or_b32 exec_lo, exec_lo, s18
	s_and_saveexec_b32 s18, s17
	s_cbranch_execnz .LBB6_8536
	s_branch .LBB6_8537
.LBB6_8985:                             ;   in Loop: Header=BB6_8366 Depth=3
	s_or_saveexec_b32 s18, s18
	v_mov_b32_e32 v31, 0x7f800001
	s_xor_b32 exec_lo, exec_lo, s18
	s_cbranch_execz .LBB6_8551
.LBB6_8986:                             ;   in Loop: Header=BB6_8366 Depth=3
	v_cmp_ne_u16_sdwa s22, v13, v2 src0_sel:BYTE_1 src1_sel:DWORD
	v_mov_b32_e32 v31, 0
	s_andn2_b32 s17, s17, exec_lo
	s_and_b32 s22, s22, exec_lo
	s_or_b32 s17, s17, s22
	s_or_b32 exec_lo, exec_lo, s18
	s_and_saveexec_b32 s18, s17
	s_cbranch_execnz .LBB6_8552
	s_branch .LBB6_8553
.LBB6_8987:                             ;   in Loop: Header=BB6_8366 Depth=3
	s_or_saveexec_b32 s18, s18
	v_mov_b32_e32 v32, 0x7f800001
	s_xor_b32 exec_lo, exec_lo, s18
	s_cbranch_execz .LBB6_8557
.LBB6_8988:                             ;   in Loop: Header=BB6_8366 Depth=3
	v_cmp_ne_u16_sdwa s22, v9, v2 src0_sel:BYTE_1 src1_sel:DWORD
	v_mov_b32_e32 v32, 0
	s_andn2_b32 s17, s17, exec_lo
	s_and_b32 s22, s22, exec_lo
	s_or_b32 s17, s17, s22
	s_or_b32 exec_lo, exec_lo, s18
	s_and_saveexec_b32 s18, s17
	s_cbranch_execnz .LBB6_8558
	s_branch .LBB6_8559
.LBB6_8989:                             ;   in Loop: Header=BB6_8366 Depth=3
	s_or_saveexec_b32 s18, s18
	v_mov_b32_e32 v31, 0x7f800001
	s_xor_b32 exec_lo, exec_lo, s18
	s_cbranch_execz .LBB6_8565
.LBB6_8990:                             ;   in Loop: Header=BB6_8366 Depth=3
	v_cmp_ne_u16_sdwa s22, v13, v2 src0_sel:BYTE_1 src1_sel:DWORD
	v_mov_b32_e32 v31, 0
	s_andn2_b32 s17, s17, exec_lo
	s_and_b32 s22, s22, exec_lo
	s_or_b32 s17, s17, s22
	s_or_b32 exec_lo, exec_lo, s18
	s_and_saveexec_b32 s18, s17
	s_cbranch_execnz .LBB6_8566
	s_branch .LBB6_8567
.LBB6_8991:                             ;   in Loop: Header=BB6_8366 Depth=3
	s_or_saveexec_b32 s18, s18
	v_mov_b32_e32 v32, 0x7f800001
	s_xor_b32 exec_lo, exec_lo, s18
	s_cbranch_execz .LBB6_8571
.LBB6_8992:                             ;   in Loop: Header=BB6_8366 Depth=3
	v_cmp_ne_u16_sdwa s22, v9, v2 src0_sel:BYTE_1 src1_sel:DWORD
	v_mov_b32_e32 v32, 0
	s_andn2_b32 s17, s17, exec_lo
	s_and_b32 s22, s22, exec_lo
	s_or_b32 s17, s17, s22
	s_or_b32 exec_lo, exec_lo, s18
	s_and_saveexec_b32 s18, s17
	s_cbranch_execnz .LBB6_8572
	s_branch .LBB6_8573
.LBB6_8993:                             ;   in Loop: Header=BB6_8366 Depth=3
	s_or_saveexec_b32 s17, s17
	v_mov_b32_e32 v33, 0x7f800001
	s_xor_b32 exec_lo, exec_lo, s17
	s_cbranch_execz .LBB6_8587
.LBB6_8994:                             ;   in Loop: Header=BB6_8366 Depth=3
	v_cmp_ne_u16_e32 vcc_lo, 0, v32
	v_mov_b32_e32 v33, 0
	s_andn2_b32 s18, s18, exec_lo
	s_and_b32 s22, vcc_lo, exec_lo
	s_or_b32 s18, s18, s22
	s_or_b32 exec_lo, exec_lo, s17
	s_and_saveexec_b32 s17, s18
	s_cbranch_execnz .LBB6_8588
	s_branch .LBB6_8589
.LBB6_8995:                             ;   in Loop: Header=BB6_8366 Depth=3
	s_or_saveexec_b32 s18, s18
	v_mov_b32_e32 v34, 0x7f800001
	s_xor_b32 exec_lo, exec_lo, s18
	s_cbranch_execz .LBB6_8593
.LBB6_8996:                             ;   in Loop: Header=BB6_8366 Depth=3
	v_cmp_ne_u16_e32 vcc_lo, 0, v35
	v_mov_b32_e32 v34, 0
	s_andn2_b32 s17, s17, exec_lo
	s_and_b32 s22, vcc_lo, exec_lo
	s_or_b32 s17, s17, s22
	s_or_b32 exec_lo, exec_lo, s18
	s_and_saveexec_b32 s18, s17
	s_cbranch_execnz .LBB6_8594
	s_branch .LBB6_8595
.LBB6_8997:                             ;   in Loop: Header=BB6_8366 Depth=3
	s_or_saveexec_b32 s18, s18
	v_mov_b32_e32 v33, 0x7f800001
	s_xor_b32 exec_lo, exec_lo, s18
	s_cbranch_execz .LBB6_8601
.LBB6_8998:                             ;   in Loop: Header=BB6_8366 Depth=3
	v_cmp_ne_u16_e32 vcc_lo, 0, v32
	v_mov_b32_e32 v33, 0
	s_andn2_b32 s17, s17, exec_lo
	s_and_b32 s22, vcc_lo, exec_lo
	s_or_b32 s17, s17, s22
	s_or_b32 exec_lo, exec_lo, s18
	s_and_saveexec_b32 s18, s17
	s_cbranch_execnz .LBB6_8602
	s_branch .LBB6_8603
.LBB6_8999:                             ;   in Loop: Header=BB6_8366 Depth=3
	s_or_saveexec_b32 s18, s18
	v_mov_b32_e32 v32, 0x7f800001
	s_xor_b32 exec_lo, exec_lo, s18
	s_cbranch_execz .LBB6_8607
.LBB6_9000:                             ;   in Loop: Header=BB6_8366 Depth=3
	v_cmp_ne_u16_e32 vcc_lo, 0, v34
	v_mov_b32_e32 v32, 0
	s_andn2_b32 s17, s17, exec_lo
	s_and_b32 s22, vcc_lo, exec_lo
	s_or_b32 s17, s17, s22
	s_or_b32 exec_lo, exec_lo, s18
	s_and_saveexec_b32 s18, s17
	s_cbranch_execnz .LBB6_8608
	s_branch .LBB6_8609
.LBB6_9001:                             ;   in Loop: Header=BB6_8366 Depth=3
	s_or_saveexec_b32 s18, s18
	v_mov_b32_e32 v33, 0x7f800001
	s_xor_b32 exec_lo, exec_lo, s18
	s_cbranch_execz .LBB6_8623
.LBB6_9002:                             ;   in Loop: Header=BB6_8366 Depth=3
	v_cmp_ne_u16_sdwa s22, v13, v2 src0_sel:BYTE_3 src1_sel:DWORD
	v_mov_b32_e32 v33, 0
	s_andn2_b32 s17, s17, exec_lo
	s_and_b32 s22, s22, exec_lo
	s_or_b32 s17, s17, s22
	s_or_b32 exec_lo, exec_lo, s18
	s_and_saveexec_b32 s18, s17
	s_cbranch_execnz .LBB6_8624
	s_branch .LBB6_8625
.LBB6_9003:                             ;   in Loop: Header=BB6_8366 Depth=3
	s_or_saveexec_b32 s18, s18
	v_mov_b32_e32 v34, 0x7f800001
	s_xor_b32 exec_lo, exec_lo, s18
	s_cbranch_execz .LBB6_8629
.LBB6_9004:                             ;   in Loop: Header=BB6_8366 Depth=3
	v_cmp_ne_u16_sdwa s22, v9, v2 src0_sel:BYTE_3 src1_sel:DWORD
	v_mov_b32_e32 v34, 0
	s_andn2_b32 s17, s17, exec_lo
	s_and_b32 s22, s22, exec_lo
	s_or_b32 s17, s17, s22
	s_or_b32 exec_lo, exec_lo, s18
	s_and_saveexec_b32 s18, s17
	s_cbranch_execnz .LBB6_8630
	s_branch .LBB6_8631
.LBB6_9005:                             ;   in Loop: Header=BB6_8366 Depth=3
	s_or_saveexec_b32 s18, s18
	v_mov_b32_e32 v33, 0x7f800001
	s_xor_b32 exec_lo, exec_lo, s18
	s_cbranch_execz .LBB6_8637
.LBB6_9006:                             ;   in Loop: Header=BB6_8366 Depth=3
	v_cmp_ne_u16_sdwa s22, v13, v2 src0_sel:BYTE_3 src1_sel:DWORD
	v_mov_b32_e32 v33, 0
	s_andn2_b32 s17, s17, exec_lo
	s_and_b32 s22, s22, exec_lo
	s_or_b32 s17, s17, s22
	s_or_b32 exec_lo, exec_lo, s18
	s_and_saveexec_b32 s18, s17
	s_cbranch_execnz .LBB6_8638
	s_branch .LBB6_8639
.LBB6_9007:                             ;   in Loop: Header=BB6_8366 Depth=3
	s_or_saveexec_b32 s18, s18
	v_mov_b32_e32 v13, 0x7f800001
	s_xor_b32 exec_lo, exec_lo, s18
	s_cbranch_execz .LBB6_8643
.LBB6_9008:                             ;   in Loop: Header=BB6_8366 Depth=3
	v_cmp_ne_u16_sdwa s22, v9, v2 src0_sel:BYTE_3 src1_sel:DWORD
	v_mov_b32_e32 v13, 0
	s_andn2_b32 s17, s17, exec_lo
	s_and_b32 s22, s22, exec_lo
	s_or_b32 s17, s17, s22
	s_or_b32 exec_lo, exec_lo, s18
	s_and_saveexec_b32 s18, s17
	s_cbranch_execnz .LBB6_8644
	s_branch .LBB6_8645
.LBB6_9009:                             ;   in Loop: Header=BB6_8366 Depth=3
	s_or_saveexec_b32 s18, s18
	v_mov_b32_e32 v9, 0x7f800001
	s_xor_b32 exec_lo, exec_lo, s18
	s_cbranch_execz .LBB6_8659
.LBB6_9010:                             ;   in Loop: Header=BB6_8366 Depth=3
	v_cmp_ne_u16_sdwa s22, v14, v2 src0_sel:BYTE_0 src1_sel:DWORD
	v_mov_b32_e32 v9, 0
	s_andn2_b32 s17, s17, exec_lo
	s_and_b32 s22, s22, exec_lo
	s_or_b32 s17, s17, s22
	s_or_b32 exec_lo, exec_lo, s18
	s_and_saveexec_b32 s18, s17
	s_cbranch_execnz .LBB6_8660
	s_branch .LBB6_8661
.LBB6_9011:                             ;   in Loop: Header=BB6_8366 Depth=3
	s_or_saveexec_b32 s18, s18
	v_mov_b32_e32 v33, 0x7f800001
	s_xor_b32 exec_lo, exec_lo, s18
	s_cbranch_execz .LBB6_8665
.LBB6_9012:                             ;   in Loop: Header=BB6_8366 Depth=3
	v_cmp_ne_u16_sdwa s22, v10, v2 src0_sel:BYTE_0 src1_sel:DWORD
	v_mov_b32_e32 v33, 0
	s_andn2_b32 s17, s17, exec_lo
	s_and_b32 s22, s22, exec_lo
	s_or_b32 s17, s17, s22
	s_or_b32 exec_lo, exec_lo, s18
	s_and_saveexec_b32 s18, s17
	s_cbranch_execnz .LBB6_8666
	s_branch .LBB6_8667
.LBB6_9013:                             ;   in Loop: Header=BB6_8366 Depth=3
	s_or_saveexec_b32 s18, s18
	v_mov_b32_e32 v9, 0x7f800001
	s_xor_b32 exec_lo, exec_lo, s18
	s_cbranch_execz .LBB6_8673
.LBB6_9014:                             ;   in Loop: Header=BB6_8366 Depth=3
	v_cmp_ne_u16_sdwa s22, v14, v2 src0_sel:BYTE_0 src1_sel:DWORD
	v_mov_b32_e32 v9, 0
	s_andn2_b32 s17, s17, exec_lo
	s_and_b32 s22, s22, exec_lo
	s_or_b32 s17, s17, s22
	s_or_b32 exec_lo, exec_lo, s18
	s_and_saveexec_b32 s18, s17
	s_cbranch_execnz .LBB6_8674
	s_branch .LBB6_8675
.LBB6_9015:                             ;   in Loop: Header=BB6_8366 Depth=3
	s_or_saveexec_b32 s18, s18
	v_mov_b32_e32 v33, 0x7f800001
	s_xor_b32 exec_lo, exec_lo, s18
	s_cbranch_execz .LBB6_8679
.LBB6_9016:                             ;   in Loop: Header=BB6_8366 Depth=3
	v_cmp_ne_u16_sdwa s22, v10, v2 src0_sel:BYTE_0 src1_sel:DWORD
	v_mov_b32_e32 v33, 0
	s_andn2_b32 s17, s17, exec_lo
	s_and_b32 s22, s22, exec_lo
	s_or_b32 s17, s17, s22
	s_or_b32 exec_lo, exec_lo, s18
	s_and_saveexec_b32 s18, s17
	s_cbranch_execnz .LBB6_8680
	s_branch .LBB6_8681
.LBB6_9017:                             ;   in Loop: Header=BB6_8366 Depth=3
	s_or_saveexec_b32 s18, s18
	v_mov_b32_e32 v9, 0x7f800001
	s_xor_b32 exec_lo, exec_lo, s18
	s_cbranch_execz .LBB6_8695
.LBB6_9018:                             ;   in Loop: Header=BB6_8366 Depth=3
	v_cmp_ne_u16_sdwa s22, v14, v2 src0_sel:BYTE_1 src1_sel:DWORD
	v_mov_b32_e32 v9, 0
	s_andn2_b32 s17, s17, exec_lo
	s_and_b32 s22, s22, exec_lo
	s_or_b32 s17, s17, s22
	s_or_b32 exec_lo, exec_lo, s18
	s_and_saveexec_b32 s18, s17
	s_cbranch_execnz .LBB6_8696
	s_branch .LBB6_8697
.LBB6_9019:                             ;   in Loop: Header=BB6_8366 Depth=3
	s_or_saveexec_b32 s18, s18
	v_mov_b32_e32 v34, 0x7f800001
	s_xor_b32 exec_lo, exec_lo, s18
	s_cbranch_execz .LBB6_8701
.LBB6_9020:                             ;   in Loop: Header=BB6_8366 Depth=3
	v_cmp_ne_u16_sdwa s22, v10, v2 src0_sel:BYTE_1 src1_sel:DWORD
	v_mov_b32_e32 v34, 0
	s_andn2_b32 s17, s17, exec_lo
	s_and_b32 s22, s22, exec_lo
	s_or_b32 s17, s17, s22
	s_or_b32 exec_lo, exec_lo, s18
	s_and_saveexec_b32 s18, s17
	s_cbranch_execnz .LBB6_8702
	s_branch .LBB6_8703
.LBB6_9021:                             ;   in Loop: Header=BB6_8366 Depth=3
	s_or_saveexec_b32 s18, s18
	v_mov_b32_e32 v9, 0x7f800001
	s_xor_b32 exec_lo, exec_lo, s18
	s_cbranch_execz .LBB6_8709
.LBB6_9022:                             ;   in Loop: Header=BB6_8366 Depth=3
	v_cmp_ne_u16_sdwa s22, v14, v2 src0_sel:BYTE_1 src1_sel:DWORD
	v_mov_b32_e32 v9, 0
	s_andn2_b32 s17, s17, exec_lo
	s_and_b32 s22, s22, exec_lo
	s_or_b32 s17, s17, s22
	s_or_b32 exec_lo, exec_lo, s18
	s_and_saveexec_b32 s18, s17
	s_cbranch_execnz .LBB6_8710
	s_branch .LBB6_8711
.LBB6_9023:                             ;   in Loop: Header=BB6_8366 Depth=3
	s_or_saveexec_b32 s18, s18
	v_mov_b32_e32 v34, 0x7f800001
	s_xor_b32 exec_lo, exec_lo, s18
	s_cbranch_execz .LBB6_8715
.LBB6_9024:                             ;   in Loop: Header=BB6_8366 Depth=3
	v_cmp_ne_u16_sdwa s22, v10, v2 src0_sel:BYTE_1 src1_sel:DWORD
	v_mov_b32_e32 v34, 0
	s_andn2_b32 s17, s17, exec_lo
	s_and_b32 s22, s22, exec_lo
	s_or_b32 s17, s17, s22
	s_or_b32 exec_lo, exec_lo, s18
	s_and_saveexec_b32 s18, s17
	s_cbranch_execnz .LBB6_8716
	s_branch .LBB6_8717
.LBB6_9025:                             ;   in Loop: Header=BB6_8366 Depth=3
	s_or_saveexec_b32 s17, s17
	v_mov_b32_e32 v35, 0x7f800001
	s_xor_b32 exec_lo, exec_lo, s17
	s_cbranch_execz .LBB6_8731
.LBB6_9026:                             ;   in Loop: Header=BB6_8366 Depth=3
	v_cmp_ne_u16_e32 vcc_lo, 0, v9
	v_mov_b32_e32 v35, 0
	s_andn2_b32 s18, s18, exec_lo
	s_and_b32 s22, vcc_lo, exec_lo
	s_or_b32 s18, s18, s22
	s_or_b32 exec_lo, exec_lo, s17
	s_and_saveexec_b32 s17, s18
	s_cbranch_execnz .LBB6_8732
	s_branch .LBB6_8733
.LBB6_9027:                             ;   in Loop: Header=BB6_8366 Depth=3
	s_or_saveexec_b32 s18, s18
	v_mov_b32_e32 v36, 0x7f800001
	s_xor_b32 exec_lo, exec_lo, s18
	s_cbranch_execz .LBB6_8737
.LBB6_9028:                             ;   in Loop: Header=BB6_8366 Depth=3
	v_cmp_ne_u16_e32 vcc_lo, 0, v37
	v_mov_b32_e32 v36, 0
	s_andn2_b32 s17, s17, exec_lo
	s_and_b32 s22, vcc_lo, exec_lo
	s_or_b32 s17, s17, s22
	s_or_b32 exec_lo, exec_lo, s18
	s_and_saveexec_b32 s18, s17
	s_cbranch_execnz .LBB6_8738
	s_branch .LBB6_8739
.LBB6_9029:                             ;   in Loop: Header=BB6_8366 Depth=3
	s_or_saveexec_b32 s18, s18
	v_mov_b32_e32 v35, 0x7f800001
	s_xor_b32 exec_lo, exec_lo, s18
	s_cbranch_execz .LBB6_8745
.LBB6_9030:                             ;   in Loop: Header=BB6_8366 Depth=3
	v_cmp_ne_u16_e32 vcc_lo, 0, v9
	v_mov_b32_e32 v35, 0
	s_andn2_b32 s17, s17, exec_lo
	s_and_b32 s22, vcc_lo, exec_lo
	s_or_b32 s17, s17, s22
	s_or_b32 exec_lo, exec_lo, s18
	s_and_saveexec_b32 s18, s17
	s_cbranch_execnz .LBB6_8746
	s_branch .LBB6_8747
.LBB6_9031:                             ;   in Loop: Header=BB6_8366 Depth=3
	s_or_saveexec_b32 s18, s18
	v_mov_b32_e32 v9, 0x7f800001
	s_xor_b32 exec_lo, exec_lo, s18
	s_cbranch_execz .LBB6_8751
.LBB6_9032:                             ;   in Loop: Header=BB6_8366 Depth=3
	v_cmp_ne_u16_e32 vcc_lo, 0, v36
	v_mov_b32_e32 v9, 0
	s_andn2_b32 s17, s17, exec_lo
	s_and_b32 s22, vcc_lo, exec_lo
	s_or_b32 s17, s17, s22
	s_or_b32 exec_lo, exec_lo, s18
	s_and_saveexec_b32 s18, s17
	s_cbranch_execnz .LBB6_8752
	s_branch .LBB6_8753
.LBB6_9033:                             ;   in Loop: Header=BB6_8366 Depth=3
	s_or_saveexec_b32 s18, s18
	v_mov_b32_e32 v9, 0x7f800001
	s_xor_b32 exec_lo, exec_lo, s18
	s_cbranch_execz .LBB6_8767
.LBB6_9034:                             ;   in Loop: Header=BB6_8366 Depth=3
	v_cmp_ne_u16_sdwa s22, v14, v2 src0_sel:BYTE_3 src1_sel:DWORD
	v_mov_b32_e32 v9, 0
	s_andn2_b32 s17, s17, exec_lo
	s_and_b32 s22, s22, exec_lo
	s_or_b32 s17, s17, s22
	s_or_b32 exec_lo, exec_lo, s18
	s_and_saveexec_b32 s18, s17
	s_cbranch_execnz .LBB6_8768
	s_branch .LBB6_8769
.LBB6_9035:                             ;   in Loop: Header=BB6_8366 Depth=3
	s_or_saveexec_b32 s18, s18
	v_mov_b32_e32 v36, 0x7f800001
	s_xor_b32 exec_lo, exec_lo, s18
	s_cbranch_execz .LBB6_8773
.LBB6_9036:                             ;   in Loop: Header=BB6_8366 Depth=3
	v_cmp_ne_u16_sdwa s22, v10, v2 src0_sel:BYTE_3 src1_sel:DWORD
	v_mov_b32_e32 v36, 0
	s_andn2_b32 s17, s17, exec_lo
	s_and_b32 s22, s22, exec_lo
	s_or_b32 s17, s17, s22
	s_or_b32 exec_lo, exec_lo, s18
	s_and_saveexec_b32 s18, s17
	s_cbranch_execnz .LBB6_8774
	s_branch .LBB6_8775
.LBB6_9037:                             ;   in Loop: Header=BB6_8366 Depth=3
	s_or_saveexec_b32 s18, s18
	v_mov_b32_e32 v9, 0x7f800001
	s_xor_b32 exec_lo, exec_lo, s18
	s_cbranch_execz .LBB6_8781
.LBB6_9038:                             ;   in Loop: Header=BB6_8366 Depth=3
	v_cmp_ne_u16_sdwa s22, v14, v2 src0_sel:BYTE_3 src1_sel:DWORD
	v_mov_b32_e32 v9, 0
	s_andn2_b32 s17, s17, exec_lo
	s_and_b32 s22, s22, exec_lo
	s_or_b32 s17, s17, s22
	s_or_b32 exec_lo, exec_lo, s18
	s_and_saveexec_b32 s18, s17
	s_cbranch_execnz .LBB6_8782
	s_branch .LBB6_8783
.LBB6_9039:                             ;   in Loop: Header=BB6_8366 Depth=3
	s_or_saveexec_b32 s18, s18
	v_mov_b32_e32 v14, 0x7f800001
	s_xor_b32 exec_lo, exec_lo, s18
	s_cbranch_execz .LBB6_8787
.LBB6_9040:                             ;   in Loop: Header=BB6_8366 Depth=3
	v_cmp_ne_u16_sdwa s22, v10, v2 src0_sel:BYTE_3 src1_sel:DWORD
	v_mov_b32_e32 v14, 0
	s_andn2_b32 s17, s17, exec_lo
	s_and_b32 s22, s22, exec_lo
	s_or_b32 s17, s17, s22
	s_or_b32 exec_lo, exec_lo, s18
	s_and_saveexec_b32 s18, s17
	s_cbranch_execnz .LBB6_8788
	s_branch .LBB6_8789
.LBB6_9041:                             ;   in Loop: Header=BB6_8366 Depth=3
	s_or_saveexec_b32 s18, s18
	v_mov_b32_e32 v9, 0x7f800001
	s_xor_b32 exec_lo, exec_lo, s18
	s_cbranch_execz .LBB6_8803
.LBB6_9042:                             ;   in Loop: Header=BB6_8366 Depth=3
	v_cmp_ne_u16_sdwa s22, v15, v2 src0_sel:BYTE_0 src1_sel:DWORD
	v_mov_b32_e32 v9, 0
	s_andn2_b32 s17, s17, exec_lo
	s_and_b32 s22, s22, exec_lo
	s_or_b32 s17, s17, s22
	s_or_b32 exec_lo, exec_lo, s18
	s_and_saveexec_b32 s18, s17
	s_cbranch_execnz .LBB6_8804
	s_branch .LBB6_8805
.LBB6_9043:                             ;   in Loop: Header=BB6_8366 Depth=3
	s_or_saveexec_b32 s18, s18
	v_mov_b32_e32 v10, 0x7f800001
	s_xor_b32 exec_lo, exec_lo, s18
	s_cbranch_execz .LBB6_8809
.LBB6_9044:                             ;   in Loop: Header=BB6_8366 Depth=3
	v_cmp_ne_u16_sdwa s22, v11, v2 src0_sel:BYTE_0 src1_sel:DWORD
	v_mov_b32_e32 v10, 0
	s_andn2_b32 s17, s17, exec_lo
	s_and_b32 s22, s22, exec_lo
	s_or_b32 s17, s17, s22
	s_or_b32 exec_lo, exec_lo, s18
	s_and_saveexec_b32 s18, s17
	s_cbranch_execnz .LBB6_8810
	s_branch .LBB6_8811
.LBB6_9045:                             ;   in Loop: Header=BB6_8366 Depth=3
	s_or_saveexec_b32 s18, s18
	v_mov_b32_e32 v9, 0x7f800001
	s_xor_b32 exec_lo, exec_lo, s18
	s_cbranch_execz .LBB6_8817
.LBB6_9046:                             ;   in Loop: Header=BB6_8366 Depth=3
	v_cmp_ne_u16_sdwa s22, v15, v2 src0_sel:BYTE_0 src1_sel:DWORD
	v_mov_b32_e32 v9, 0
	s_andn2_b32 s17, s17, exec_lo
	s_and_b32 s22, s22, exec_lo
	s_or_b32 s17, s17, s22
	s_or_b32 exec_lo, exec_lo, s18
	s_and_saveexec_b32 s18, s17
	s_cbranch_execnz .LBB6_8818
	s_branch .LBB6_8819
.LBB6_9047:                             ;   in Loop: Header=BB6_8366 Depth=3
	s_or_saveexec_b32 s18, s18
	v_mov_b32_e32 v10, 0x7f800001
	s_xor_b32 exec_lo, exec_lo, s18
	s_cbranch_execz .LBB6_8823
.LBB6_9048:                             ;   in Loop: Header=BB6_8366 Depth=3
	v_cmp_ne_u16_sdwa s22, v11, v2 src0_sel:BYTE_0 src1_sel:DWORD
	v_mov_b32_e32 v10, 0
	s_andn2_b32 s17, s17, exec_lo
	s_and_b32 s22, s22, exec_lo
	s_or_b32 s17, s17, s22
	s_or_b32 exec_lo, exec_lo, s18
	s_and_saveexec_b32 s18, s17
	s_cbranch_execnz .LBB6_8824
	s_branch .LBB6_8825
.LBB6_9049:                             ;   in Loop: Header=BB6_8366 Depth=3
	s_or_saveexec_b32 s18, s18
	v_mov_b32_e32 v9, 0x7f800001
	s_xor_b32 exec_lo, exec_lo, s18
	s_cbranch_execz .LBB6_8839
.LBB6_9050:                             ;   in Loop: Header=BB6_8366 Depth=3
	v_cmp_ne_u16_sdwa s22, v15, v2 src0_sel:BYTE_1 src1_sel:DWORD
	v_mov_b32_e32 v9, 0
	s_andn2_b32 s17, s17, exec_lo
	s_and_b32 s22, s22, exec_lo
	s_or_b32 s17, s17, s22
	s_or_b32 exec_lo, exec_lo, s18
	s_and_saveexec_b32 s18, s17
	s_cbranch_execnz .LBB6_8840
	s_branch .LBB6_8841
.LBB6_9051:                             ;   in Loop: Header=BB6_8366 Depth=3
	s_or_saveexec_b32 s18, s18
	v_mov_b32_e32 v10, 0x7f800001
	s_xor_b32 exec_lo, exec_lo, s18
	s_cbranch_execz .LBB6_8845
.LBB6_9052:                             ;   in Loop: Header=BB6_8366 Depth=3
	v_cmp_ne_u16_sdwa s22, v11, v2 src0_sel:BYTE_1 src1_sel:DWORD
	v_mov_b32_e32 v10, 0
	s_andn2_b32 s17, s17, exec_lo
	s_and_b32 s22, s22, exec_lo
	s_or_b32 s17, s17, s22
	s_or_b32 exec_lo, exec_lo, s18
	s_and_saveexec_b32 s18, s17
	s_cbranch_execnz .LBB6_8846
	s_branch .LBB6_8847
.LBB6_9053:                             ;   in Loop: Header=BB6_8366 Depth=3
	s_or_saveexec_b32 s18, s18
	v_mov_b32_e32 v9, 0x7f800001
	s_xor_b32 exec_lo, exec_lo, s18
	s_cbranch_execz .LBB6_8853
.LBB6_9054:                             ;   in Loop: Header=BB6_8366 Depth=3
	v_cmp_ne_u16_sdwa s22, v15, v2 src0_sel:BYTE_1 src1_sel:DWORD
	v_mov_b32_e32 v9, 0
	s_andn2_b32 s17, s17, exec_lo
	s_and_b32 s22, s22, exec_lo
	s_or_b32 s17, s17, s22
	s_or_b32 exec_lo, exec_lo, s18
	s_and_saveexec_b32 s18, s17
	s_cbranch_execnz .LBB6_8854
	s_branch .LBB6_8855
.LBB6_9055:                             ;   in Loop: Header=BB6_8366 Depth=3
	s_or_saveexec_b32 s18, s18
	v_mov_b32_e32 v10, 0x7f800001
	s_xor_b32 exec_lo, exec_lo, s18
	s_cbranch_execz .LBB6_8859
.LBB6_9056:                             ;   in Loop: Header=BB6_8366 Depth=3
	v_cmp_ne_u16_sdwa s22, v11, v2 src0_sel:BYTE_1 src1_sel:DWORD
	v_mov_b32_e32 v10, 0
	s_andn2_b32 s17, s17, exec_lo
	s_and_b32 s22, s22, exec_lo
	s_or_b32 s17, s17, s22
	s_or_b32 exec_lo, exec_lo, s18
	s_and_saveexec_b32 s18, s17
	s_cbranch_execnz .LBB6_8860
	s_branch .LBB6_8861
.LBB6_9057:                             ;   in Loop: Header=BB6_8366 Depth=3
	s_or_saveexec_b32 s17, s17
	v_mov_b32_e32 v10, 0x7f800001
	s_xor_b32 exec_lo, exec_lo, s17
	s_cbranch_execz .LBB6_8875
.LBB6_9058:                             ;   in Loop: Header=BB6_8366 Depth=3
	v_cmp_ne_u16_e32 vcc_lo, 0, v9
	v_mov_b32_e32 v10, 0
	s_andn2_b32 s18, s18, exec_lo
	s_and_b32 s22, vcc_lo, exec_lo
	s_or_b32 s18, s18, s22
	s_or_b32 exec_lo, exec_lo, s17
	s_and_saveexec_b32 s17, s18
	s_cbranch_execnz .LBB6_8876
	s_branch .LBB6_8877
.LBB6_9059:                             ;   in Loop: Header=BB6_8366 Depth=3
	s_or_saveexec_b32 s18, s18
	v_mov_b32_e32 v38, 0x7f800001
	s_xor_b32 exec_lo, exec_lo, s18
	s_cbranch_execz .LBB6_8881
.LBB6_9060:                             ;   in Loop: Header=BB6_8366 Depth=3
	v_cmp_ne_u16_e32 vcc_lo, 0, v39
	v_mov_b32_e32 v38, 0
	s_andn2_b32 s17, s17, exec_lo
	s_and_b32 s22, vcc_lo, exec_lo
	s_or_b32 s17, s17, s22
	s_or_b32 exec_lo, exec_lo, s18
	s_and_saveexec_b32 s18, s17
	s_cbranch_execnz .LBB6_8882
	s_branch .LBB6_8883
.LBB6_9061:                             ;   in Loop: Header=BB6_8366 Depth=3
	s_or_saveexec_b32 s18, s18
	v_mov_b32_e32 v10, 0x7f800001
	s_xor_b32 exec_lo, exec_lo, s18
	s_cbranch_execz .LBB6_8889
.LBB6_9062:                             ;   in Loop: Header=BB6_8366 Depth=3
	v_cmp_ne_u16_e32 vcc_lo, 0, v9
	v_mov_b32_e32 v10, 0
	s_andn2_b32 s17, s17, exec_lo
	s_and_b32 s22, vcc_lo, exec_lo
	s_or_b32 s17, s17, s22
	s_or_b32 exec_lo, exec_lo, s18
	s_and_saveexec_b32 s18, s17
	s_cbranch_execnz .LBB6_8890
	s_branch .LBB6_8891
.LBB6_9063:                             ;   in Loop: Header=BB6_8366 Depth=3
	s_or_saveexec_b32 s18, s18
	v_mov_b32_e32 v9, 0x7f800001
	s_xor_b32 exec_lo, exec_lo, s18
	s_cbranch_execz .LBB6_8895
.LBB6_9064:                             ;   in Loop: Header=BB6_8366 Depth=3
	v_cmp_ne_u16_e32 vcc_lo, 0, v38
	v_mov_b32_e32 v9, 0
	s_andn2_b32 s17, s17, exec_lo
	s_and_b32 s22, vcc_lo, exec_lo
	s_or_b32 s17, s17, s22
	s_or_b32 exec_lo, exec_lo, s18
	s_and_saveexec_b32 s18, s17
	s_cbranch_execnz .LBB6_8896
	s_branch .LBB6_8897
.LBB6_9065:                             ;   in Loop: Header=BB6_8366 Depth=3
	s_or_saveexec_b32 s18, s18
	v_mov_b32_e32 v8, 0x7f800001
	s_xor_b32 exec_lo, exec_lo, s18
	s_cbranch_execz .LBB6_8911
.LBB6_9066:                             ;   in Loop: Header=BB6_8366 Depth=3
	v_cmp_ne_u16_sdwa s22, v15, v2 src0_sel:BYTE_3 src1_sel:DWORD
	v_mov_b32_e32 v8, 0
	s_andn2_b32 s17, s17, exec_lo
	s_and_b32 s22, s22, exec_lo
	s_or_b32 s17, s17, s22
	s_or_b32 exec_lo, exec_lo, s18
	s_and_saveexec_b32 s18, s17
	s_cbranch_execnz .LBB6_8912
	s_branch .LBB6_8913
.LBB6_9067:                             ;   in Loop: Header=BB6_8366 Depth=3
	s_or_saveexec_b32 s18, s18
	v_mov_b32_e32 v9, 0x7f800001
	s_xor_b32 exec_lo, exec_lo, s18
	s_cbranch_execz .LBB6_8917
.LBB6_9068:                             ;   in Loop: Header=BB6_8366 Depth=3
	v_cmp_ne_u16_sdwa s22, v11, v2 src0_sel:BYTE_3 src1_sel:DWORD
	v_mov_b32_e32 v9, 0
	s_andn2_b32 s17, s17, exec_lo
	s_and_b32 s22, s22, exec_lo
	s_or_b32 s17, s17, s22
	s_or_b32 exec_lo, exec_lo, s18
	s_and_saveexec_b32 s18, s17
	s_cbranch_execnz .LBB6_8918
	s_branch .LBB6_8919
.LBB6_9069:                             ;   in Loop: Header=BB6_8366 Depth=3
	s_or_saveexec_b32 s18, s18
	v_mov_b32_e32 v48, 0x7f800001
	s_xor_b32 exec_lo, exec_lo, s18
	s_cbranch_execz .LBB6_8925
.LBB6_9070:                             ;   in Loop: Header=BB6_8366 Depth=3
	v_cmp_ne_u16_sdwa s22, v15, v2 src0_sel:BYTE_3 src1_sel:DWORD
	v_mov_b32_e32 v48, 0
	s_andn2_b32 s17, s17, exec_lo
	s_and_b32 s22, s22, exec_lo
	s_or_b32 s17, s17, s22
	s_or_b32 exec_lo, exec_lo, s18
	s_and_saveexec_b32 s18, s17
	s_cbranch_execnz .LBB6_8926
	s_branch .LBB6_8927
.LBB6_9071:                             ;   in Loop: Header=BB6_8366 Depth=3
	s_or_saveexec_b32 s18, s18
	v_mov_b32_e32 v8, 0x7f800001
	s_xor_b32 exec_lo, exec_lo, s18
	s_cbranch_execz .LBB6_8931
.LBB6_9072:                             ;   in Loop: Header=BB6_8366 Depth=3
	v_cmp_ne_u16_sdwa s22, v11, v2 src0_sel:BYTE_3 src1_sel:DWORD
	v_mov_b32_e32 v8, 0
	s_andn2_b32 s17, s17, exec_lo
	s_and_b32 s22, s22, exec_lo
	s_or_b32 s17, s17, s22
	s_or_b32 exec_lo, exec_lo, s18
	s_and_saveexec_b32 s18, s17
	s_cbranch_execnz .LBB6_8932
	s_branch .LBB6_8933
.LBB6_9073:                             ;   in Loop: Header=BB6_5463 Depth=2
	s_or_b32 exec_lo, exec_lo, s74
.LBB6_9074:                             ;   in Loop: Header=BB6_5463 Depth=2
	s_or_b32 exec_lo, exec_lo, s73
	buffer_load_dword v8, off, s[0:3], s33 offset:216 ; 4-byte Folded Reload
	v_cmp_lt_i32_e32 vcc_lo, 0, v21
	v_cndmask_b32_e32 v10, 0, v47, vcc_lo
	s_waitcnt vmcnt(0)
	v_and_b32_e32 v8, 15, v8
	v_sub_nc_u32_e32 v9, v5, v8
	v_cndmask_b32_e64 v5, v5, v8, s16
	v_cndmask_b32_e64 v8, 0, v9, s16
	v_sub_nc_u32_e32 v9, v10, v21
	v_cmp_ne_u32_e32 vcc_lo, 0, v5
	v_add3_u32 v4, v4, v1, v8
	v_lshl_add_u32 v16, v9, 5, v20
	s_and_b32 s16, vcc_lo, exec_lo
.LBB6_9075:                             ;   in Loop: Header=BB6_5463 Depth=2
	s_or_b32 exec_lo, exec_lo, s19
	s_and_saveexec_b32 s22, s16
	s_cbranch_execz .LBB6_10538
.LBB6_9076:                             ;   in Loop: Header=BB6_5463 Depth=2
	v_ashrrev_i32_e32 v1, 31, v16
	v_ashrrev_i32_e32 v8, 31, v5
	s_mov_b32 s17, exec_lo
	v_lshrrev_b32_e32 v1, 27, v1
	v_lshrrev_b32_e32 v8, 22, v8
	v_add_nc_u32_e32 v1, v16, v1
	v_add_nc_u32_e32 v8, v5, v8
	v_ashrrev_i32_e32 v9, 5, v1
	v_ashrrev_i32_e32 v19, 10, v8
	v_sub_nc_u32_e32 v18, v19, v9
	v_cmpx_lt_i32_e32 0, v18
	s_cbranch_execz .LBB6_10488
; %bb.9077:                             ;   in Loop: Header=BB6_5463 Depth=2
	v_and_b32_e32 v1, 0xffffffe0, v1
	v_lshlrev_b32_e32 v8, 10, v9
	buffer_store_dword v9, off, s[0:3], s33 offset:244 ; 4-byte Folded Spill
	s_trap 2
	ds_read_b64 v[14:15], v0
	v_sub_nc_u32_e32 v1, v16, v1
	s_bitcmp1_b32 s72, 0
	s_mov_b32 s18, 0
	s_cselect_b32 s19, -1, 0
	v_add3_u32 v1, v4, v1, v8
	s_clause 0x1
	buffer_load_dword v8, off, s[0:3], s33 offset:220
	buffer_load_dword v9, off, s[0:3], s33 offset:224
	v_ashrrev_i32_e32 v17, 31, v1
	s_waitcnt vmcnt(1)
	v_add_co_u32 v8, vcc_lo, v1, v8
	s_waitcnt vmcnt(0)
	v_add_co_ci_u32_e64 v9, null, v17, v9, vcc_lo
	v_add_co_u32 v10, vcc_lo, v1, v114
	v_add_co_ci_u32_e64 v11, null, v17, v115, vcc_lo
	v_add_co_u32 v12, vcc_lo, v1, v101
	v_add_co_ci_u32_e64 v13, null, v17, v102, vcc_lo
	s_waitcnt lgkmcnt(0)
	v_add_co_u32 v14, vcc_lo, v14, v1
	v_add_co_ci_u32_e64 v15, null, v15, v17, vcc_lo
	s_branch .LBB6_9081
.LBB6_9078:                             ;   in Loop: Header=BB6_9081 Depth=3
	s_or_b32 exec_lo, exec_lo, s16
	v_lshrrev_b32_e32 v17, 20, v27
	v_cmp_gt_i32_e32 vcc_lo, 16, v21
	v_min_i32_e32 v20, 15, v21
	v_and_b32_sdwa v24, v24, v62 dst_sel:DWORD dst_unused:UNUSED_PAD src0_sel:BYTE_3 src1_sel:DWORD
	v_cndmask_b32_e32 v17, 7, v17, vcc_lo
	v_lshlrev_b32_e32 v20, 3, v20
	v_and_b32_e32 v27, 7, v17
	v_or_b32_e32 v17, v21, v17
	v_or3_b32 v20, v20, v24, v27
	v_cmp_ne_u32_e32 vcc_lo, 0, v17
	v_cndmask_b32_e32 v17, 0, v20, vcc_lo
.LBB6_9079:                             ;   in Loop: Header=BB6_9081 Depth=3
	s_or_b32 exec_lo, exec_lo, s73
.LBB6_9080:                             ;   in Loop: Header=BB6_9081 Depth=3
	s_or_b32 exec_lo, exec_lo, s23
	v_add_co_u32 v12, vcc_lo, v12, v77
	v_sub_nc_u32_e32 v18, v18, v47
	v_add_co_ci_u32_e64 v13, null, 0, v13, vcc_lo
	v_add_co_u32 v14, vcc_lo, v14, v77
	flat_store_byte v[8:9], v22 glc slc
	flat_store_byte v[8:9], v25 offset:32 glc slc
	flat_store_byte v[8:9], v28 offset:64 glc slc
	;; [unrolled: 1-line block ×31, first 2 shown]
	flat_store_byte v[10:11], v22 glc slc
	flat_store_byte v[10:11], v25 offset:32 glc slc
	flat_store_byte v[10:11], v28 offset:64 glc slc
	;; [unrolled: 1-line block ×31, first 2 shown]
	v_add_co_ci_u32_e64 v15, null, 0, v15, vcc_lo
	v_add_co_u32 v8, vcc_lo, v8, v77
	v_add_co_ci_u32_e64 v9, null, 0, v9, vcc_lo
	v_cmp_gt_i32_e32 vcc_lo, 1, v18
	v_add_co_u32 v10, s16, v10, v77
	v_add_co_ci_u32_e64 v11, null, 0, v11, s16
	s_or_b32 s18, vcc_lo, s18
	s_andn2_b32 exec_lo, exec_lo, s18
	s_cbranch_execz .LBB6_10487
.LBB6_9081:                             ;   Parent Loop BB6_47 Depth=1
                                        ;     Parent Loop BB6_5463 Depth=2
                                        ; =>    This Inner Loop Header: Depth=3
	s_clause 0x1f
	flat_load_ubyte v46, v[12:13] slc
	flat_load_ubyte v74, v[12:13] offset:32 slc
	flat_load_ubyte v113, v[12:13] offset:64 slc
	;; [unrolled: 1-line block ×31, first 2 shown]
	s_clause 0x1e
	flat_load_ubyte v22, v[14:15] slc
	flat_load_ubyte v25, v[14:15] offset:32 slc
	flat_load_ubyte v28, v[14:15] offset:64 slc
	;; [unrolled: 1-line block ×30, first 2 shown]
	s_waitcnt vmcnt(62) lgkmcnt(62)
	flat_load_ubyte v20, v[14:15] offset:992 slc
	s_mov_b32 s16, -1
	s_and_b32 vcc_lo, exec_lo, s19
                                        ; implicit-def: $vgpr17
	s_waitcnt vmcnt(62) lgkmcnt(62)
	v_cmp_gt_i16_sdwa s23, v46, v61 src0_sel:BYTE_0 src1_sel:DWORD
	s_cbranch_vccz .LBB6_9095
; %bb.9082:                             ;   in Loop: Header=BB6_9081 Depth=3
	s_mov_b32 s73, 0
	s_and_saveexec_b32 s16, s23
	s_xor_b32 s16, exec_lo, s16
	s_cbranch_execz .LBB6_10231
; %bb.9083:                             ;   in Loop: Header=BB6_9081 Depth=3
	v_cmp_eq_u16_sdwa s74, v46, v62 src0_sel:BYTE_0 src1_sel:DWORD
	s_mov_b32 s23, -1
	s_and_saveexec_b32 s73, s74
; %bb.9084:                             ;   in Loop: Header=BB6_9081 Depth=3
	s_xor_b32 s23, exec_lo, -1
; %bb.9085:                             ;   in Loop: Header=BB6_9081 Depth=3
	s_or_b32 exec_lo, exec_lo, s73
	s_and_b32 s73, s23, exec_lo
	s_or_saveexec_b32 s16, s16
	v_mov_b32_e32 v17, 0x7f800001
	s_xor_b32 exec_lo, exec_lo, s16
	s_cbranch_execnz .LBB6_10232
.LBB6_9086:                             ;   in Loop: Header=BB6_9081 Depth=3
	s_or_b32 exec_lo, exec_lo, s16
	s_and_saveexec_b32 s16, s73
	s_cbranch_execz .LBB6_9088
.LBB6_9087:                             ;   in Loop: Header=BB6_9081 Depth=3
	v_and_b32_e32 v17, 7, v46
	v_lshrrev_b16 v87, 3, v46
	v_lshlrev_b32_e32 v105, 24, v46
	v_ffbh_u32_e32 v86, v17
	v_and_b32_e32 v87, 15, v87
	v_min_u32_e32 v86, 32, v86
	v_cmp_eq_u32_e32 vcc_lo, 0, v87
	v_subrev_nc_u32_e32 v60, 28, v86
	v_sub_nc_u32_e32 v86, 29, v86
	v_lshlrev_b32_e32 v60, v60, v46
	v_cndmask_b32_e32 v86, v87, v86, vcc_lo
	v_and_b32_e32 v87, 0x80000000, v105
	v_and_b32_e32 v60, 7, v60
	v_lshl_add_u32 v86, v86, 23, 0x3b800000
	v_cndmask_b32_e32 v17, v17, v60, vcc_lo
	v_lshlrev_b32_e32 v17, 20, v17
	v_or3_b32 v17, v87, v86, v17
.LBB6_9088:                             ;   in Loop: Header=BB6_9081 Depth=3
	s_or_b32 exec_lo, exec_lo, s16
	s_waitcnt vmcnt(31) lgkmcnt(31)
	v_cmp_gt_i16_sdwa s16, v22, v61 src0_sel:BYTE_0 src1_sel:DWORD
	s_mov_b32 s23, 0
	s_and_saveexec_b32 s73, s16
	s_xor_b32 s16, exec_lo, s73
	s_cbranch_execz .LBB6_10233
; %bb.9089:                             ;   in Loop: Header=BB6_9081 Depth=3
	v_cmp_eq_u16_sdwa s74, v22, v62 src0_sel:BYTE_0 src1_sel:DWORD
	s_mov_b32 s23, -1
	s_and_saveexec_b32 s73, s74
; %bb.9090:                             ;   in Loop: Header=BB6_9081 Depth=3
	s_xor_b32 s23, exec_lo, -1
; %bb.9091:                             ;   in Loop: Header=BB6_9081 Depth=3
	s_or_b32 exec_lo, exec_lo, s73
	s_and_b32 s23, s23, exec_lo
	s_or_saveexec_b32 s16, s16
	v_mov_b32_e32 v86, 0x7f800001
	s_xor_b32 exec_lo, exec_lo, s16
	s_cbranch_execnz .LBB6_10234
.LBB6_9092:                             ;   in Loop: Header=BB6_9081 Depth=3
	s_or_b32 exec_lo, exec_lo, s16
	s_and_saveexec_b32 s16, s23
	s_cbranch_execz .LBB6_9094
.LBB6_9093:                             ;   in Loop: Header=BB6_9081 Depth=3
	v_and_b32_e32 v86, 7, v22
	v_lshrrev_b16 v60, 3, v22
	v_lshlrev_b32_e32 v106, 24, v22
	v_ffbh_u32_e32 v87, v86
	v_and_b32_e32 v60, 15, v60
	v_min_u32_e32 v87, 32, v87
	v_cmp_eq_u32_e32 vcc_lo, 0, v60
	v_subrev_nc_u32_e32 v105, 28, v87
	v_sub_nc_u32_e32 v87, 29, v87
	v_lshlrev_b32_e32 v105, v105, v22
	v_cndmask_b32_e32 v87, v60, v87, vcc_lo
	v_and_b32_e32 v60, 0x80000000, v106
	v_and_b32_e32 v105, 7, v105
	v_lshl_add_u32 v87, v87, 23, 0x3b800000
	v_cndmask_b32_e32 v86, v86, v105, vcc_lo
	v_lshlrev_b32_e32 v86, 20, v86
	v_or3_b32 v86, v60, v87, v86
.LBB6_9094:                             ;   in Loop: Header=BB6_9081 Depth=3
	s_or_b32 exec_lo, exec_lo, s16
	v_max_f32_e32 v86, v86, v86
	v_max_f32_e32 v17, v17, v17
	s_mov_b32 s16, 0
	v_max_f32_e32 v17, v17, v86
.LBB6_9095:                             ;   in Loop: Header=BB6_9081 Depth=3
	s_and_b32 vcc_lo, exec_lo, s16
	s_cbranch_vccz .LBB6_9109
; %bb.9096:                             ;   in Loop: Header=BB6_9081 Depth=3
	v_cmp_gt_i16_sdwa s16, v46, v61 src0_sel:BYTE_0 src1_sel:DWORD
	s_mov_b32 s23, 0
	s_and_saveexec_b32 s73, s16
	s_xor_b32 s16, exec_lo, s73
	s_cbranch_execz .LBB6_10235
; %bb.9097:                             ;   in Loop: Header=BB6_9081 Depth=3
	v_cmp_eq_u16_sdwa s74, v46, v62 src0_sel:BYTE_0 src1_sel:DWORD
	s_mov_b32 s23, -1
	s_and_saveexec_b32 s73, s74
; %bb.9098:                             ;   in Loop: Header=BB6_9081 Depth=3
	s_xor_b32 s23, exec_lo, -1
; %bb.9099:                             ;   in Loop: Header=BB6_9081 Depth=3
	s_or_b32 exec_lo, exec_lo, s73
	s_and_b32 s23, s23, exec_lo
	s_or_saveexec_b32 s16, s16
	v_mov_b32_e32 v17, 0x7f800001
	s_xor_b32 exec_lo, exec_lo, s16
	s_cbranch_execnz .LBB6_10236
.LBB6_9100:                             ;   in Loop: Header=BB6_9081 Depth=3
	s_or_b32 exec_lo, exec_lo, s16
	s_and_saveexec_b32 s16, s23
	s_cbranch_execz .LBB6_9102
.LBB6_9101:                             ;   in Loop: Header=BB6_9081 Depth=3
	v_and_b32_e32 v17, 7, v46
	v_lshrrev_b16 v87, 3, v46
	v_ffbh_u32_e32 v86, v17
	v_and_b32_e32 v87, 15, v87
	v_min_u32_e32 v86, 32, v86
	v_cmp_eq_u32_e32 vcc_lo, 0, v87
	v_subrev_nc_u32_e32 v60, 28, v86
	v_sub_nc_u32_e32 v86, 29, v86
	v_lshlrev_b32_e32 v60, v60, v46
	v_lshlrev_b32_e32 v46, 24, v46
	v_cndmask_b32_e32 v86, v87, v86, vcc_lo
	v_and_b32_e32 v60, 7, v60
	v_and_b32_e32 v87, 0x80000000, v46
	v_lshl_add_u32 v86, v86, 23, 0x3b800000
	v_cndmask_b32_e32 v17, v17, v60, vcc_lo
	v_lshlrev_b32_e32 v17, 20, v17
	v_or3_b32 v17, v87, v86, v17
.LBB6_9102:                             ;   in Loop: Header=BB6_9081 Depth=3
	s_or_b32 exec_lo, exec_lo, s16
	s_waitcnt vmcnt(31) lgkmcnt(31)
	v_cmp_gt_i16_sdwa s16, v22, v61 src0_sel:BYTE_0 src1_sel:DWORD
	s_mov_b32 s23, 0
	s_and_saveexec_b32 s73, s16
	s_xor_b32 s16, exec_lo, s73
	s_cbranch_execz .LBB6_10237
; %bb.9103:                             ;   in Loop: Header=BB6_9081 Depth=3
	v_cmp_eq_u16_sdwa s74, v22, v62 src0_sel:BYTE_0 src1_sel:DWORD
	s_mov_b32 s23, -1
	s_and_saveexec_b32 s73, s74
; %bb.9104:                             ;   in Loop: Header=BB6_9081 Depth=3
	s_xor_b32 s23, exec_lo, -1
; %bb.9105:                             ;   in Loop: Header=BB6_9081 Depth=3
	s_or_b32 exec_lo, exec_lo, s73
	s_and_b32 s23, s23, exec_lo
	s_or_saveexec_b32 s16, s16
	v_mov_b32_e32 v86, 0x7f800001
	s_xor_b32 exec_lo, exec_lo, s16
	s_cbranch_execnz .LBB6_10238
.LBB6_9106:                             ;   in Loop: Header=BB6_9081 Depth=3
	s_or_b32 exec_lo, exec_lo, s16
	s_and_saveexec_b32 s16, s23
	s_cbranch_execz .LBB6_9108
.LBB6_9107:                             ;   in Loop: Header=BB6_9081 Depth=3
	v_and_b32_e32 v86, 7, v22
	v_lshrrev_b16 v46, 3, v22
	v_ffbh_u32_e32 v87, v86
	v_and_b32_e32 v46, 15, v46
	v_min_u32_e32 v87, 32, v87
	v_cmp_eq_u32_e32 vcc_lo, 0, v46
	v_subrev_nc_u32_e32 v60, 28, v87
	v_sub_nc_u32_e32 v87, 29, v87
	v_lshlrev_b32_e32 v60, v60, v22
	v_lshlrev_b32_e32 v22, 24, v22
	v_cndmask_b32_e32 v87, v46, v87, vcc_lo
	v_and_b32_e32 v60, 7, v60
	v_and_b32_e32 v22, 0x80000000, v22
	v_lshl_add_u32 v87, v87, 23, 0x3b800000
	v_cndmask_b32_e32 v86, v86, v60, vcc_lo
	v_lshlrev_b32_e32 v86, 20, v86
	v_or3_b32 v86, v22, v87, v86
.LBB6_9108:                             ;   in Loop: Header=BB6_9081 Depth=3
	s_or_b32 exec_lo, exec_lo, s16
	v_max_f32_e32 v22, v86, v86
	v_max_f32_e32 v17, v17, v17
	v_min_f32_e32 v17, v17, v22
.LBB6_9109:                             ;   in Loop: Header=BB6_9081 Depth=3
	s_waitcnt vmcnt(31) lgkmcnt(31)
	v_and_b32_e32 v22, 0x7f800000, v17
	v_cmp_ne_u32_e32 vcc_lo, 0x7f800000, v22
	v_mov_b32_e32 v22, 0x80
	s_and_saveexec_b32 s23, vcc_lo
	s_cbranch_execz .LBB6_9117
; %bb.9110:                             ;   in Loop: Header=BB6_9081 Depth=3
	v_mov_b32_e32 v22, 0
	s_mov_b32 s73, exec_lo
	v_cmpx_ne_u32_e32 0, v17
	s_cbranch_execz .LBB6_9116
; %bb.9111:                             ;   in Loop: Header=BB6_9081 Depth=3
	v_bfe_u32 v86, v17, 23, 8
	v_and_b32_e32 v22, 0x7fffff, v17
                                        ; implicit-def: $vgpr105
	v_cmp_gt_u32_e64 s16, 0x79, v86
	v_sub_nc_u32_e32 v87, 0x78, v86
	v_cmp_eq_u32_e32 vcc_lo, 0, v86
	v_or_b32_e32 v46, 0x800000, v22
	v_cndmask_b32_e64 v87, 0, v87, s16
	v_cndmask_b32_e32 v22, v46, v22, vcc_lo
	v_cndmask_b32_e64 v87, v87, 0x77, vcc_lo
	v_lshl_add_u32 v46, 0x100000, v87, -1
	v_lshlrev_b32_e64 v60, v87, 0x80000
	v_and_b32_e32 v46, v46, v22
	v_cmp_eq_u32_e64 s16, v46, v60
	v_lshrrev_b32_e32 v60, v87, v22
	v_add_nc_u32_e32 v22, 0xffffff89, v86
	v_lshrrev_b32_e32 v86, 23, v60
	v_cndmask_b32_e64 v22, v22, 0xffffff8a, vcc_lo
	v_xor_b32_e32 v46, 1, v86
	v_bfe_u32 v86, v60, 20, 1
	v_add_nc_u32_e32 v22, v87, v22
	v_add_nc_u32_e32 v86, -1, v86
	v_cndmask_b32_e64 v86, 0, v86, s16
	s_mov_b32 s16, exec_lo
	v_add_nc_u32_e32 v86, v86, v60
	v_and_b32_e32 v86, 0xfffff, v86
	v_add_nc_u32_e32 v60, v86, v60
	v_cmpx_ne_u32_e64 v22, v46
	s_xor_b32 s16, exec_lo, s16
; %bb.9112:                             ;   in Loop: Header=BB6_9081 Depth=3
	v_cmp_lt_u32_e32 vcc_lo, 0xffffff, v60
	v_sub_nc_u32_e32 v22, v22, v46
	v_cndmask_b32_e64 v86, 0, 1, vcc_lo
	v_add_co_ci_u32_e64 v105, null, 0, v22, vcc_lo
	v_lshrrev_b32_e32 v60, v86, v60
; %bb.9113:                             ;   in Loop: Header=BB6_9081 Depth=3
	s_andn2_saveexec_b32 s16, s16
; %bb.9114:                             ;   in Loop: Header=BB6_9081 Depth=3
	v_bfe_u32 v105, v60, 23, 1
; %bb.9115:                             ;   in Loop: Header=BB6_9081 Depth=3
	s_or_b32 exec_lo, exec_lo, s16
	v_lshrrev_b32_e32 v22, 20, v60
	v_cmp_gt_i32_e32 vcc_lo, 16, v105
	v_min_i32_e32 v86, 15, v105
	v_and_b32_sdwa v17, v17, v62 dst_sel:DWORD dst_unused:UNUSED_PAD src0_sel:BYTE_3 src1_sel:DWORD
	v_cndmask_b32_e32 v22, 7, v22, vcc_lo
	v_lshlrev_b32_e32 v86, 3, v86
	v_or_b32_e32 v87, v105, v22
	v_and_b32_e32 v22, 7, v22
	v_cmp_ne_u32_e32 vcc_lo, 0, v87
	v_or3_b32 v17, v86, v17, v22
	v_cndmask_b32_e32 v22, 0, v17, vcc_lo
.LBB6_9116:                             ;   in Loop: Header=BB6_9081 Depth=3
	s_or_b32 exec_lo, exec_lo, s73
.LBB6_9117:                             ;   in Loop: Header=BB6_9081 Depth=3
	s_or_b32 exec_lo, exec_lo, s23
	v_cmp_gt_i16_sdwa s23, v74, v61 src0_sel:BYTE_0 src1_sel:DWORD
	s_andn2_b32 vcc_lo, exec_lo, s19
	s_mov_b32 s16, -1
                                        ; implicit-def: $vgpr17
	s_cbranch_vccnz .LBB6_9131
; %bb.9118:                             ;   in Loop: Header=BB6_9081 Depth=3
	s_mov_b32 s16, 0
	s_and_saveexec_b32 s73, s23
	s_xor_b32 s23, exec_lo, s73
	s_cbranch_execz .LBB6_10239
; %bb.9119:                             ;   in Loop: Header=BB6_9081 Depth=3
	v_cmp_eq_u16_sdwa s74, v74, v62 src0_sel:BYTE_0 src1_sel:DWORD
	s_mov_b32 s16, -1
	s_and_saveexec_b32 s73, s74
; %bb.9120:                             ;   in Loop: Header=BB6_9081 Depth=3
	s_xor_b32 s16, exec_lo, -1
; %bb.9121:                             ;   in Loop: Header=BB6_9081 Depth=3
	s_or_b32 exec_lo, exec_lo, s73
	s_and_b32 s16, s16, exec_lo
	s_or_saveexec_b32 s23, s23
	v_mov_b32_e32 v17, 0x7f800001
	s_xor_b32 exec_lo, exec_lo, s23
	s_cbranch_execnz .LBB6_10240
.LBB6_9122:                             ;   in Loop: Header=BB6_9081 Depth=3
	s_or_b32 exec_lo, exec_lo, s23
	s_and_saveexec_b32 s23, s16
	s_cbranch_execz .LBB6_9124
.LBB6_9123:                             ;   in Loop: Header=BB6_9081 Depth=3
	v_and_b32_e32 v17, 7, v74
	v_lshrrev_b16 v87, 3, v74
	v_lshlrev_b32_e32 v60, 24, v74
	v_ffbh_u32_e32 v86, v17
	v_and_b32_e32 v87, 15, v87
	v_min_u32_e32 v86, 32, v86
	v_cmp_eq_u32_e32 vcc_lo, 0, v87
	v_subrev_nc_u32_e32 v46, 28, v86
	v_sub_nc_u32_e32 v86, 29, v86
	v_lshlrev_b32_e32 v46, v46, v74
	v_cndmask_b32_e32 v86, v87, v86, vcc_lo
	v_and_b32_e32 v87, 0x80000000, v60
	v_and_b32_e32 v46, 7, v46
	v_lshl_add_u32 v86, v86, 23, 0x3b800000
	v_cndmask_b32_e32 v17, v17, v46, vcc_lo
	v_lshlrev_b32_e32 v17, 20, v17
	v_or3_b32 v17, v87, v86, v17
.LBB6_9124:                             ;   in Loop: Header=BB6_9081 Depth=3
	s_or_b32 exec_lo, exec_lo, s23
	s_waitcnt vmcnt(30) lgkmcnt(30)
	v_cmp_gt_i16_sdwa s23, v25, v61 src0_sel:BYTE_0 src1_sel:DWORD
	s_mov_b32 s16, 0
	s_and_saveexec_b32 s73, s23
	s_xor_b32 s23, exec_lo, s73
	s_cbranch_execz .LBB6_10241
; %bb.9125:                             ;   in Loop: Header=BB6_9081 Depth=3
	v_cmp_eq_u16_sdwa s74, v25, v62 src0_sel:BYTE_0 src1_sel:DWORD
	s_mov_b32 s16, -1
	s_and_saveexec_b32 s73, s74
; %bb.9126:                             ;   in Loop: Header=BB6_9081 Depth=3
	s_xor_b32 s16, exec_lo, -1
; %bb.9127:                             ;   in Loop: Header=BB6_9081 Depth=3
	s_or_b32 exec_lo, exec_lo, s73
	s_and_b32 s16, s16, exec_lo
	s_or_saveexec_b32 s23, s23
	v_mov_b32_e32 v86, 0x7f800001
	s_xor_b32 exec_lo, exec_lo, s23
	s_cbranch_execnz .LBB6_10242
.LBB6_9128:                             ;   in Loop: Header=BB6_9081 Depth=3
	s_or_b32 exec_lo, exec_lo, s23
	s_and_saveexec_b32 s23, s16
	s_cbranch_execz .LBB6_9130
.LBB6_9129:                             ;   in Loop: Header=BB6_9081 Depth=3
	v_and_b32_e32 v86, 7, v25
	v_lshrrev_b16 v46, 3, v25
	v_lshlrev_b32_e32 v105, 24, v25
	v_ffbh_u32_e32 v87, v86
	v_and_b32_e32 v46, 15, v46
	v_min_u32_e32 v87, 32, v87
	v_cmp_eq_u32_e32 vcc_lo, 0, v46
	v_subrev_nc_u32_e32 v60, 28, v87
	v_sub_nc_u32_e32 v87, 29, v87
	v_lshlrev_b32_e32 v60, v60, v25
	v_cndmask_b32_e32 v87, v46, v87, vcc_lo
	v_and_b32_e32 v46, 0x80000000, v105
	v_and_b32_e32 v60, 7, v60
	v_lshl_add_u32 v87, v87, 23, 0x3b800000
	v_cndmask_b32_e32 v86, v86, v60, vcc_lo
	v_lshlrev_b32_e32 v86, 20, v86
	v_or3_b32 v86, v46, v87, v86
.LBB6_9130:                             ;   in Loop: Header=BB6_9081 Depth=3
	s_or_b32 exec_lo, exec_lo, s23
	v_max_f32_e32 v86, v86, v86
	v_max_f32_e32 v17, v17, v17
	s_mov_b32 s16, 0
	v_max_f32_e32 v17, v17, v86
.LBB6_9131:                             ;   in Loop: Header=BB6_9081 Depth=3
	s_and_b32 vcc_lo, exec_lo, s16
	s_cbranch_vccz .LBB6_9145
; %bb.9132:                             ;   in Loop: Header=BB6_9081 Depth=3
	v_cmp_gt_i16_sdwa s23, v74, v61 src0_sel:BYTE_0 src1_sel:DWORD
	s_mov_b32 s16, 0
	s_and_saveexec_b32 s73, s23
	s_xor_b32 s23, exec_lo, s73
	s_cbranch_execz .LBB6_10243
; %bb.9133:                             ;   in Loop: Header=BB6_9081 Depth=3
	v_cmp_eq_u16_sdwa s74, v74, v62 src0_sel:BYTE_0 src1_sel:DWORD
	s_mov_b32 s16, -1
	s_and_saveexec_b32 s73, s74
; %bb.9134:                             ;   in Loop: Header=BB6_9081 Depth=3
	s_xor_b32 s16, exec_lo, -1
; %bb.9135:                             ;   in Loop: Header=BB6_9081 Depth=3
	s_or_b32 exec_lo, exec_lo, s73
	s_and_b32 s16, s16, exec_lo
	s_or_saveexec_b32 s23, s23
	v_mov_b32_e32 v17, 0x7f800001
	s_xor_b32 exec_lo, exec_lo, s23
	s_cbranch_execnz .LBB6_10244
.LBB6_9136:                             ;   in Loop: Header=BB6_9081 Depth=3
	s_or_b32 exec_lo, exec_lo, s23
	s_and_saveexec_b32 s23, s16
	s_cbranch_execz .LBB6_9138
.LBB6_9137:                             ;   in Loop: Header=BB6_9081 Depth=3
	v_and_b32_e32 v17, 7, v74
	v_lshrrev_b16 v87, 3, v74
	v_lshlrev_b32_e32 v60, 24, v74
	v_ffbh_u32_e32 v86, v17
	v_and_b32_e32 v87, 15, v87
	v_min_u32_e32 v86, 32, v86
	v_cmp_eq_u32_e32 vcc_lo, 0, v87
	v_subrev_nc_u32_e32 v46, 28, v86
	v_sub_nc_u32_e32 v86, 29, v86
	v_lshlrev_b32_e32 v46, v46, v74
	v_cndmask_b32_e32 v86, v87, v86, vcc_lo
	v_and_b32_e32 v87, 0x80000000, v60
	v_and_b32_e32 v46, 7, v46
	v_lshl_add_u32 v86, v86, 23, 0x3b800000
	v_cndmask_b32_e32 v17, v17, v46, vcc_lo
	v_lshlrev_b32_e32 v17, 20, v17
	v_or3_b32 v17, v87, v86, v17
.LBB6_9138:                             ;   in Loop: Header=BB6_9081 Depth=3
	s_or_b32 exec_lo, exec_lo, s23
	s_waitcnt vmcnt(30) lgkmcnt(30)
	v_cmp_gt_i16_sdwa s23, v25, v61 src0_sel:BYTE_0 src1_sel:DWORD
	s_mov_b32 s16, 0
	s_and_saveexec_b32 s73, s23
	s_xor_b32 s23, exec_lo, s73
	s_cbranch_execz .LBB6_10245
; %bb.9139:                             ;   in Loop: Header=BB6_9081 Depth=3
	v_cmp_eq_u16_sdwa s74, v25, v62 src0_sel:BYTE_0 src1_sel:DWORD
	s_mov_b32 s16, -1
	s_and_saveexec_b32 s73, s74
; %bb.9140:                             ;   in Loop: Header=BB6_9081 Depth=3
	s_xor_b32 s16, exec_lo, -1
; %bb.9141:                             ;   in Loop: Header=BB6_9081 Depth=3
	s_or_b32 exec_lo, exec_lo, s73
	s_and_b32 s16, s16, exec_lo
	s_or_saveexec_b32 s23, s23
	v_mov_b32_e32 v86, 0x7f800001
	s_xor_b32 exec_lo, exec_lo, s23
	s_cbranch_execnz .LBB6_10246
.LBB6_9142:                             ;   in Loop: Header=BB6_9081 Depth=3
	s_or_b32 exec_lo, exec_lo, s23
	s_and_saveexec_b32 s23, s16
	s_cbranch_execz .LBB6_9144
.LBB6_9143:                             ;   in Loop: Header=BB6_9081 Depth=3
	v_and_b32_e32 v86, 7, v25
	v_lshrrev_b16 v46, 3, v25
	v_ffbh_u32_e32 v87, v86
	v_and_b32_e32 v46, 15, v46
	v_min_u32_e32 v87, 32, v87
	v_cmp_eq_u32_e32 vcc_lo, 0, v46
	v_subrev_nc_u32_e32 v60, 28, v87
	v_sub_nc_u32_e32 v87, 29, v87
	v_lshlrev_b32_e32 v60, v60, v25
	v_lshlrev_b32_e32 v25, 24, v25
	v_cndmask_b32_e32 v87, v46, v87, vcc_lo
	v_and_b32_e32 v60, 7, v60
	v_and_b32_e32 v25, 0x80000000, v25
	v_lshl_add_u32 v87, v87, 23, 0x3b800000
	v_cndmask_b32_e32 v86, v86, v60, vcc_lo
	v_lshlrev_b32_e32 v86, 20, v86
	v_or3_b32 v86, v25, v87, v86
.LBB6_9144:                             ;   in Loop: Header=BB6_9081 Depth=3
	s_or_b32 exec_lo, exec_lo, s23
	v_max_f32_e32 v25, v86, v86
	v_max_f32_e32 v17, v17, v17
	v_min_f32_e32 v17, v17, v25
.LBB6_9145:                             ;   in Loop: Header=BB6_9081 Depth=3
	s_waitcnt vmcnt(30) lgkmcnt(30)
	v_and_b32_e32 v25, 0x7f800000, v17
	v_cmp_ne_u32_e32 vcc_lo, 0x7f800000, v25
	v_mov_b32_e32 v25, 0x80
	s_and_saveexec_b32 s23, vcc_lo
	s_cbranch_execz .LBB6_9153
; %bb.9146:                             ;   in Loop: Header=BB6_9081 Depth=3
	v_mov_b32_e32 v25, 0
	s_mov_b32 s73, exec_lo
	v_cmpx_ne_u32_e32 0, v17
	s_cbranch_execz .LBB6_9152
; %bb.9147:                             ;   in Loop: Header=BB6_9081 Depth=3
	v_bfe_u32 v86, v17, 23, 8
	v_and_b32_e32 v25, 0x7fffff, v17
                                        ; implicit-def: $vgpr74
	v_cmp_gt_u32_e64 s16, 0x79, v86
	v_sub_nc_u32_e32 v87, 0x78, v86
	v_cmp_eq_u32_e32 vcc_lo, 0, v86
	v_or_b32_e32 v46, 0x800000, v25
	v_cndmask_b32_e64 v87, 0, v87, s16
	v_cndmask_b32_e32 v25, v46, v25, vcc_lo
	v_cndmask_b32_e64 v87, v87, 0x77, vcc_lo
	v_lshl_add_u32 v46, 0x100000, v87, -1
	v_lshlrev_b32_e64 v60, v87, 0x80000
	v_and_b32_e32 v46, v46, v25
	v_cmp_eq_u32_e64 s16, v46, v60
	v_lshrrev_b32_e32 v60, v87, v25
	v_add_nc_u32_e32 v25, 0xffffff89, v86
	v_lshrrev_b32_e32 v86, 23, v60
	v_cndmask_b32_e64 v25, v25, 0xffffff8a, vcc_lo
	v_xor_b32_e32 v46, 1, v86
	v_bfe_u32 v86, v60, 20, 1
	v_add_nc_u32_e32 v25, v87, v25
	v_add_nc_u32_e32 v86, -1, v86
	v_cndmask_b32_e64 v86, 0, v86, s16
	s_mov_b32 s16, exec_lo
	v_add_nc_u32_e32 v86, v86, v60
	v_and_b32_e32 v86, 0xfffff, v86
	v_add_nc_u32_e32 v60, v86, v60
	v_cmpx_ne_u32_e64 v25, v46
	s_xor_b32 s16, exec_lo, s16
; %bb.9148:                             ;   in Loop: Header=BB6_9081 Depth=3
	v_cmp_lt_u32_e32 vcc_lo, 0xffffff, v60
	v_sub_nc_u32_e32 v25, v25, v46
	v_cndmask_b32_e64 v86, 0, 1, vcc_lo
	v_add_co_ci_u32_e64 v74, null, 0, v25, vcc_lo
	v_lshrrev_b32_e32 v60, v86, v60
; %bb.9149:                             ;   in Loop: Header=BB6_9081 Depth=3
	s_andn2_saveexec_b32 s16, s16
; %bb.9150:                             ;   in Loop: Header=BB6_9081 Depth=3
	v_bfe_u32 v74, v60, 23, 1
; %bb.9151:                             ;   in Loop: Header=BB6_9081 Depth=3
	s_or_b32 exec_lo, exec_lo, s16
	v_lshrrev_b32_e32 v25, 20, v60
	v_cmp_gt_i32_e32 vcc_lo, 16, v74
	v_min_i32_e32 v86, 15, v74
	v_and_b32_sdwa v17, v17, v62 dst_sel:DWORD dst_unused:UNUSED_PAD src0_sel:BYTE_3 src1_sel:DWORD
	v_cndmask_b32_e32 v25, 7, v25, vcc_lo
	v_lshlrev_b32_e32 v86, 3, v86
	v_or_b32_e32 v87, v74, v25
	v_and_b32_e32 v25, 7, v25
	v_cmp_ne_u32_e32 vcc_lo, 0, v87
	v_or3_b32 v17, v86, v17, v25
	v_cndmask_b32_e32 v25, 0, v17, vcc_lo
.LBB6_9152:                             ;   in Loop: Header=BB6_9081 Depth=3
	s_or_b32 exec_lo, exec_lo, s73
.LBB6_9153:                             ;   in Loop: Header=BB6_9081 Depth=3
	s_or_b32 exec_lo, exec_lo, s23
	v_cmp_gt_i16_sdwa s23, v113, v61 src0_sel:BYTE_0 src1_sel:DWORD
	s_andn2_b32 vcc_lo, exec_lo, s19
	s_mov_b32 s16, -1
                                        ; implicit-def: $vgpr17
	s_cbranch_vccnz .LBB6_9167
; %bb.9154:                             ;   in Loop: Header=BB6_9081 Depth=3
	s_mov_b32 s16, 0
	s_and_saveexec_b32 s73, s23
	s_xor_b32 s23, exec_lo, s73
	s_cbranch_execz .LBB6_10247
; %bb.9155:                             ;   in Loop: Header=BB6_9081 Depth=3
	v_cmp_eq_u16_sdwa s74, v113, v62 src0_sel:BYTE_0 src1_sel:DWORD
	s_mov_b32 s16, -1
	s_and_saveexec_b32 s73, s74
; %bb.9156:                             ;   in Loop: Header=BB6_9081 Depth=3
	s_xor_b32 s16, exec_lo, -1
; %bb.9157:                             ;   in Loop: Header=BB6_9081 Depth=3
	s_or_b32 exec_lo, exec_lo, s73
	s_and_b32 s16, s16, exec_lo
	s_or_saveexec_b32 s23, s23
	v_mov_b32_e32 v17, 0x7f800001
	s_xor_b32 exec_lo, exec_lo, s23
	s_cbranch_execnz .LBB6_10248
.LBB6_9158:                             ;   in Loop: Header=BB6_9081 Depth=3
	s_or_b32 exec_lo, exec_lo, s23
	s_and_saveexec_b32 s23, s16
	s_cbranch_execz .LBB6_9160
.LBB6_9159:                             ;   in Loop: Header=BB6_9081 Depth=3
	v_and_b32_e32 v17, 7, v113
	v_lshrrev_b16 v87, 3, v113
	v_lshlrev_b32_e32 v60, 24, v113
	v_ffbh_u32_e32 v86, v17
	v_and_b32_e32 v87, 15, v87
	v_min_u32_e32 v86, 32, v86
	v_cmp_eq_u32_e32 vcc_lo, 0, v87
	v_subrev_nc_u32_e32 v46, 28, v86
	v_sub_nc_u32_e32 v86, 29, v86
	v_lshlrev_b32_e32 v46, v46, v113
	v_cndmask_b32_e32 v86, v87, v86, vcc_lo
	v_and_b32_e32 v87, 0x80000000, v60
	v_and_b32_e32 v46, 7, v46
	v_lshl_add_u32 v86, v86, 23, 0x3b800000
	v_cndmask_b32_e32 v17, v17, v46, vcc_lo
	v_lshlrev_b32_e32 v17, 20, v17
	v_or3_b32 v17, v87, v86, v17
.LBB6_9160:                             ;   in Loop: Header=BB6_9081 Depth=3
	s_or_b32 exec_lo, exec_lo, s23
	s_waitcnt vmcnt(29) lgkmcnt(29)
	v_cmp_gt_i16_sdwa s23, v28, v61 src0_sel:BYTE_0 src1_sel:DWORD
	s_mov_b32 s16, 0
	s_and_saveexec_b32 s73, s23
	s_xor_b32 s23, exec_lo, s73
	s_cbranch_execz .LBB6_10249
; %bb.9161:                             ;   in Loop: Header=BB6_9081 Depth=3
	v_cmp_eq_u16_sdwa s74, v28, v62 src0_sel:BYTE_0 src1_sel:DWORD
	s_mov_b32 s16, -1
	s_and_saveexec_b32 s73, s74
; %bb.9162:                             ;   in Loop: Header=BB6_9081 Depth=3
	s_xor_b32 s16, exec_lo, -1
; %bb.9163:                             ;   in Loop: Header=BB6_9081 Depth=3
	s_or_b32 exec_lo, exec_lo, s73
	s_and_b32 s16, s16, exec_lo
	s_or_saveexec_b32 s23, s23
	v_mov_b32_e32 v86, 0x7f800001
	s_xor_b32 exec_lo, exec_lo, s23
	s_cbranch_execnz .LBB6_10250
.LBB6_9164:                             ;   in Loop: Header=BB6_9081 Depth=3
	s_or_b32 exec_lo, exec_lo, s23
	s_and_saveexec_b32 s23, s16
	s_cbranch_execz .LBB6_9166
.LBB6_9165:                             ;   in Loop: Header=BB6_9081 Depth=3
	v_and_b32_e32 v86, 7, v28
	v_lshrrev_b16 v46, 3, v28
	v_lshlrev_b32_e32 v74, 24, v28
	v_ffbh_u32_e32 v87, v86
	v_and_b32_e32 v46, 15, v46
	v_min_u32_e32 v87, 32, v87
	v_cmp_eq_u32_e32 vcc_lo, 0, v46
	v_subrev_nc_u32_e32 v60, 28, v87
	v_sub_nc_u32_e32 v87, 29, v87
	v_lshlrev_b32_e32 v60, v60, v28
	v_cndmask_b32_e32 v87, v46, v87, vcc_lo
	v_and_b32_e32 v46, 0x80000000, v74
	v_and_b32_e32 v60, 7, v60
	v_lshl_add_u32 v87, v87, 23, 0x3b800000
	v_cndmask_b32_e32 v86, v86, v60, vcc_lo
	v_lshlrev_b32_e32 v86, 20, v86
	v_or3_b32 v86, v46, v87, v86
.LBB6_9166:                             ;   in Loop: Header=BB6_9081 Depth=3
	s_or_b32 exec_lo, exec_lo, s23
	v_max_f32_e32 v86, v86, v86
	v_max_f32_e32 v17, v17, v17
	s_mov_b32 s16, 0
	v_max_f32_e32 v17, v17, v86
.LBB6_9167:                             ;   in Loop: Header=BB6_9081 Depth=3
	s_and_b32 vcc_lo, exec_lo, s16
	s_cbranch_vccz .LBB6_9181
; %bb.9168:                             ;   in Loop: Header=BB6_9081 Depth=3
	v_cmp_gt_i16_sdwa s23, v113, v61 src0_sel:BYTE_0 src1_sel:DWORD
	s_mov_b32 s16, 0
	s_and_saveexec_b32 s73, s23
	s_xor_b32 s23, exec_lo, s73
	s_cbranch_execz .LBB6_10251
; %bb.9169:                             ;   in Loop: Header=BB6_9081 Depth=3
	v_cmp_eq_u16_sdwa s74, v113, v62 src0_sel:BYTE_0 src1_sel:DWORD
	s_mov_b32 s16, -1
	s_and_saveexec_b32 s73, s74
; %bb.9170:                             ;   in Loop: Header=BB6_9081 Depth=3
	s_xor_b32 s16, exec_lo, -1
; %bb.9171:                             ;   in Loop: Header=BB6_9081 Depth=3
	s_or_b32 exec_lo, exec_lo, s73
	s_and_b32 s16, s16, exec_lo
	s_or_saveexec_b32 s23, s23
	v_mov_b32_e32 v17, 0x7f800001
	s_xor_b32 exec_lo, exec_lo, s23
	s_cbranch_execnz .LBB6_10252
.LBB6_9172:                             ;   in Loop: Header=BB6_9081 Depth=3
	s_or_b32 exec_lo, exec_lo, s23
	s_and_saveexec_b32 s23, s16
	s_cbranch_execz .LBB6_9174
.LBB6_9173:                             ;   in Loop: Header=BB6_9081 Depth=3
	v_and_b32_e32 v17, 7, v113
	v_lshrrev_b16 v87, 3, v113
	v_ffbh_u32_e32 v86, v17
	v_and_b32_e32 v87, 15, v87
	v_min_u32_e32 v86, 32, v86
	v_cmp_eq_u32_e32 vcc_lo, 0, v87
	v_subrev_nc_u32_e32 v46, 28, v86
	v_sub_nc_u32_e32 v86, 29, v86
	v_lshlrev_b32_e32 v46, v46, v113
	v_lshlrev_b32_e32 v113, 24, v113
	v_cndmask_b32_e32 v86, v87, v86, vcc_lo
	v_and_b32_e32 v46, 7, v46
	v_and_b32_e32 v87, 0x80000000, v113
	v_lshl_add_u32 v86, v86, 23, 0x3b800000
	v_cndmask_b32_e32 v17, v17, v46, vcc_lo
	v_lshlrev_b32_e32 v17, 20, v17
	v_or3_b32 v17, v87, v86, v17
.LBB6_9174:                             ;   in Loop: Header=BB6_9081 Depth=3
	s_or_b32 exec_lo, exec_lo, s23
	s_waitcnt vmcnt(29) lgkmcnt(29)
	v_cmp_gt_i16_sdwa s23, v28, v61 src0_sel:BYTE_0 src1_sel:DWORD
	s_mov_b32 s16, 0
	s_and_saveexec_b32 s73, s23
	s_xor_b32 s23, exec_lo, s73
	s_cbranch_execz .LBB6_10253
; %bb.9175:                             ;   in Loop: Header=BB6_9081 Depth=3
	v_cmp_eq_u16_sdwa s74, v28, v62 src0_sel:BYTE_0 src1_sel:DWORD
	s_mov_b32 s16, -1
	s_and_saveexec_b32 s73, s74
; %bb.9176:                             ;   in Loop: Header=BB6_9081 Depth=3
	s_xor_b32 s16, exec_lo, -1
; %bb.9177:                             ;   in Loop: Header=BB6_9081 Depth=3
	s_or_b32 exec_lo, exec_lo, s73
	s_and_b32 s16, s16, exec_lo
	s_or_saveexec_b32 s23, s23
	v_mov_b32_e32 v86, 0x7f800001
	s_xor_b32 exec_lo, exec_lo, s23
	s_cbranch_execnz .LBB6_10254
.LBB6_9178:                             ;   in Loop: Header=BB6_9081 Depth=3
	s_or_b32 exec_lo, exec_lo, s23
	s_and_saveexec_b32 s23, s16
	s_cbranch_execz .LBB6_9180
.LBB6_9179:                             ;   in Loop: Header=BB6_9081 Depth=3
	v_and_b32_e32 v86, 7, v28
	v_lshrrev_b16 v113, 3, v28
	v_ffbh_u32_e32 v87, v86
	v_and_b32_e32 v113, 15, v113
	v_min_u32_e32 v87, 32, v87
	v_cmp_eq_u32_e32 vcc_lo, 0, v113
	v_subrev_nc_u32_e32 v46, 28, v87
	v_sub_nc_u32_e32 v87, 29, v87
	v_lshlrev_b32_e32 v46, v46, v28
	v_lshlrev_b32_e32 v28, 24, v28
	v_cndmask_b32_e32 v87, v113, v87, vcc_lo
	v_and_b32_e32 v46, 7, v46
	v_and_b32_e32 v28, 0x80000000, v28
	v_lshl_add_u32 v87, v87, 23, 0x3b800000
	v_cndmask_b32_e32 v86, v86, v46, vcc_lo
	v_lshlrev_b32_e32 v86, 20, v86
	v_or3_b32 v86, v28, v87, v86
.LBB6_9180:                             ;   in Loop: Header=BB6_9081 Depth=3
	s_or_b32 exec_lo, exec_lo, s23
	v_max_f32_e32 v28, v86, v86
	v_max_f32_e32 v17, v17, v17
	v_min_f32_e32 v17, v17, v28
.LBB6_9181:                             ;   in Loop: Header=BB6_9081 Depth=3
	s_waitcnt vmcnt(29) lgkmcnt(29)
	v_and_b32_e32 v28, 0x7f800000, v17
	v_cmp_ne_u32_e32 vcc_lo, 0x7f800000, v28
	v_mov_b32_e32 v28, 0x80
	s_and_saveexec_b32 s23, vcc_lo
	s_cbranch_execz .LBB6_9189
; %bb.9182:                             ;   in Loop: Header=BB6_9081 Depth=3
	v_mov_b32_e32 v28, 0
	s_mov_b32 s73, exec_lo
	v_cmpx_ne_u32_e32 0, v17
	s_cbranch_execz .LBB6_9188
; %bb.9183:                             ;   in Loop: Header=BB6_9081 Depth=3
	v_bfe_u32 v86, v17, 23, 8
	v_and_b32_e32 v28, 0x7fffff, v17
                                        ; implicit-def: $vgpr60
	v_cmp_gt_u32_e64 s16, 0x79, v86
	v_sub_nc_u32_e32 v87, 0x78, v86
	v_cmp_eq_u32_e32 vcc_lo, 0, v86
	v_or_b32_e32 v113, 0x800000, v28
	v_cndmask_b32_e64 v87, 0, v87, s16
	v_cndmask_b32_e32 v28, v113, v28, vcc_lo
	v_cndmask_b32_e64 v87, v87, 0x77, vcc_lo
	v_lshl_add_u32 v113, 0x100000, v87, -1
	v_lshlrev_b32_e64 v46, v87, 0x80000
	v_and_b32_e32 v113, v113, v28
	v_cmp_eq_u32_e64 s16, v113, v46
	v_lshrrev_b32_e32 v46, v87, v28
	v_add_nc_u32_e32 v28, 0xffffff89, v86
	v_lshrrev_b32_e32 v86, 23, v46
	v_cndmask_b32_e64 v28, v28, 0xffffff8a, vcc_lo
	v_xor_b32_e32 v113, 1, v86
	v_bfe_u32 v86, v46, 20, 1
	v_add_nc_u32_e32 v28, v87, v28
	v_add_nc_u32_e32 v86, -1, v86
	v_cndmask_b32_e64 v86, 0, v86, s16
	s_mov_b32 s16, exec_lo
	v_add_nc_u32_e32 v86, v86, v46
	v_and_b32_e32 v86, 0xfffff, v86
	v_add_nc_u32_e32 v46, v86, v46
	v_cmpx_ne_u32_e64 v28, v113
	s_xor_b32 s16, exec_lo, s16
; %bb.9184:                             ;   in Loop: Header=BB6_9081 Depth=3
	v_cmp_lt_u32_e32 vcc_lo, 0xffffff, v46
	v_sub_nc_u32_e32 v28, v28, v113
	v_cndmask_b32_e64 v86, 0, 1, vcc_lo
	v_add_co_ci_u32_e64 v60, null, 0, v28, vcc_lo
	v_lshrrev_b32_e32 v46, v86, v46
; %bb.9185:                             ;   in Loop: Header=BB6_9081 Depth=3
	s_andn2_saveexec_b32 s16, s16
; %bb.9186:                             ;   in Loop: Header=BB6_9081 Depth=3
	v_bfe_u32 v60, v46, 23, 1
; %bb.9187:                             ;   in Loop: Header=BB6_9081 Depth=3
	s_or_b32 exec_lo, exec_lo, s16
	v_lshrrev_b32_e32 v28, 20, v46
	v_cmp_gt_i32_e32 vcc_lo, 16, v60
	v_min_i32_e32 v86, 15, v60
	v_and_b32_sdwa v17, v17, v62 dst_sel:DWORD dst_unused:UNUSED_PAD src0_sel:BYTE_3 src1_sel:DWORD
	v_cndmask_b32_e32 v28, 7, v28, vcc_lo
	v_lshlrev_b32_e32 v86, 3, v86
	v_or_b32_e32 v87, v60, v28
	v_and_b32_e32 v28, 7, v28
	v_cmp_ne_u32_e32 vcc_lo, 0, v87
	v_or3_b32 v17, v86, v17, v28
	v_cndmask_b32_e32 v28, 0, v17, vcc_lo
.LBB6_9188:                             ;   in Loop: Header=BB6_9081 Depth=3
	s_or_b32 exec_lo, exec_lo, s73
.LBB6_9189:                             ;   in Loop: Header=BB6_9081 Depth=3
	s_or_b32 exec_lo, exec_lo, s23
	v_cmp_gt_i16_sdwa s23, v112, v61 src0_sel:BYTE_0 src1_sel:DWORD
	s_andn2_b32 vcc_lo, exec_lo, s19
	s_mov_b32 s16, -1
                                        ; implicit-def: $vgpr17
	s_cbranch_vccnz .LBB6_9203
; %bb.9190:                             ;   in Loop: Header=BB6_9081 Depth=3
	s_mov_b32 s16, 0
	s_and_saveexec_b32 s73, s23
	s_xor_b32 s23, exec_lo, s73
	s_cbranch_execz .LBB6_10255
; %bb.9191:                             ;   in Loop: Header=BB6_9081 Depth=3
	v_cmp_eq_u16_sdwa s74, v112, v62 src0_sel:BYTE_0 src1_sel:DWORD
	s_mov_b32 s16, -1
	s_and_saveexec_b32 s73, s74
; %bb.9192:                             ;   in Loop: Header=BB6_9081 Depth=3
	s_xor_b32 s16, exec_lo, -1
; %bb.9193:                             ;   in Loop: Header=BB6_9081 Depth=3
	s_or_b32 exec_lo, exec_lo, s73
	s_and_b32 s16, s16, exec_lo
	s_or_saveexec_b32 s23, s23
	v_mov_b32_e32 v17, 0x7f800001
	s_xor_b32 exec_lo, exec_lo, s23
	s_cbranch_execnz .LBB6_10256
.LBB6_9194:                             ;   in Loop: Header=BB6_9081 Depth=3
	s_or_b32 exec_lo, exec_lo, s23
	s_and_saveexec_b32 s23, s16
	s_cbranch_execz .LBB6_9196
.LBB6_9195:                             ;   in Loop: Header=BB6_9081 Depth=3
	v_and_b32_e32 v17, 7, v112
	v_lshrrev_b16 v87, 3, v112
	v_lshlrev_b32_e32 v46, 24, v112
	v_ffbh_u32_e32 v86, v17
	v_and_b32_e32 v87, 15, v87
	v_min_u32_e32 v86, 32, v86
	v_cmp_eq_u32_e32 vcc_lo, 0, v87
	v_subrev_nc_u32_e32 v113, 28, v86
	v_sub_nc_u32_e32 v86, 29, v86
	v_lshlrev_b32_e32 v113, v113, v112
	v_cndmask_b32_e32 v86, v87, v86, vcc_lo
	v_and_b32_e32 v87, 0x80000000, v46
	v_and_b32_e32 v113, 7, v113
	v_lshl_add_u32 v86, v86, 23, 0x3b800000
	v_cndmask_b32_e32 v17, v17, v113, vcc_lo
	v_lshlrev_b32_e32 v17, 20, v17
	v_or3_b32 v17, v87, v86, v17
.LBB6_9196:                             ;   in Loop: Header=BB6_9081 Depth=3
	s_or_b32 exec_lo, exec_lo, s23
	s_waitcnt vmcnt(28) lgkmcnt(28)
	v_cmp_gt_i16_sdwa s23, v32, v61 src0_sel:BYTE_0 src1_sel:DWORD
	s_mov_b32 s16, 0
	s_and_saveexec_b32 s73, s23
	s_xor_b32 s23, exec_lo, s73
	s_cbranch_execz .LBB6_10257
; %bb.9197:                             ;   in Loop: Header=BB6_9081 Depth=3
	v_cmp_eq_u16_sdwa s74, v32, v62 src0_sel:BYTE_0 src1_sel:DWORD
	s_mov_b32 s16, -1
	s_and_saveexec_b32 s73, s74
; %bb.9198:                             ;   in Loop: Header=BB6_9081 Depth=3
	s_xor_b32 s16, exec_lo, -1
; %bb.9199:                             ;   in Loop: Header=BB6_9081 Depth=3
	s_or_b32 exec_lo, exec_lo, s73
	s_and_b32 s16, s16, exec_lo
	s_or_saveexec_b32 s23, s23
	v_mov_b32_e32 v86, 0x7f800001
	s_xor_b32 exec_lo, exec_lo, s23
	s_cbranch_execnz .LBB6_10258
.LBB6_9200:                             ;   in Loop: Header=BB6_9081 Depth=3
	s_or_b32 exec_lo, exec_lo, s23
	s_and_saveexec_b32 s23, s16
	s_cbranch_execz .LBB6_9202
.LBB6_9201:                             ;   in Loop: Header=BB6_9081 Depth=3
	v_and_b32_e32 v86, 7, v32
	v_lshrrev_b16 v113, 3, v32
	v_lshlrev_b32_e32 v60, 24, v32
	v_ffbh_u32_e32 v87, v86
	v_and_b32_e32 v113, 15, v113
	v_min_u32_e32 v87, 32, v87
	v_cmp_eq_u32_e32 vcc_lo, 0, v113
	v_subrev_nc_u32_e32 v46, 28, v87
	v_sub_nc_u32_e32 v87, 29, v87
	v_lshlrev_b32_e32 v46, v46, v32
	v_cndmask_b32_e32 v87, v113, v87, vcc_lo
	v_and_b32_e32 v113, 0x80000000, v60
	v_and_b32_e32 v46, 7, v46
	v_lshl_add_u32 v87, v87, 23, 0x3b800000
	v_cndmask_b32_e32 v86, v86, v46, vcc_lo
	v_lshlrev_b32_e32 v86, 20, v86
	v_or3_b32 v86, v113, v87, v86
.LBB6_9202:                             ;   in Loop: Header=BB6_9081 Depth=3
	s_or_b32 exec_lo, exec_lo, s23
	v_max_f32_e32 v86, v86, v86
	v_max_f32_e32 v17, v17, v17
	s_mov_b32 s16, 0
	v_max_f32_e32 v17, v17, v86
.LBB6_9203:                             ;   in Loop: Header=BB6_9081 Depth=3
	s_and_b32 vcc_lo, exec_lo, s16
	s_cbranch_vccz .LBB6_9217
; %bb.9204:                             ;   in Loop: Header=BB6_9081 Depth=3
	v_cmp_gt_i16_sdwa s23, v112, v61 src0_sel:BYTE_0 src1_sel:DWORD
	s_mov_b32 s16, 0
	s_and_saveexec_b32 s73, s23
	s_xor_b32 s23, exec_lo, s73
	s_cbranch_execz .LBB6_10259
; %bb.9205:                             ;   in Loop: Header=BB6_9081 Depth=3
	v_cmp_eq_u16_sdwa s74, v112, v62 src0_sel:BYTE_0 src1_sel:DWORD
	s_mov_b32 s16, -1
	s_and_saveexec_b32 s73, s74
; %bb.9206:                             ;   in Loop: Header=BB6_9081 Depth=3
	s_xor_b32 s16, exec_lo, -1
; %bb.9207:                             ;   in Loop: Header=BB6_9081 Depth=3
	s_or_b32 exec_lo, exec_lo, s73
	s_and_b32 s16, s16, exec_lo
	s_or_saveexec_b32 s23, s23
	v_mov_b32_e32 v17, 0x7f800001
	s_xor_b32 exec_lo, exec_lo, s23
	s_cbranch_execnz .LBB6_10260
.LBB6_9208:                             ;   in Loop: Header=BB6_9081 Depth=3
	s_or_b32 exec_lo, exec_lo, s23
	s_and_saveexec_b32 s23, s16
	s_cbranch_execz .LBB6_9210
.LBB6_9209:                             ;   in Loop: Header=BB6_9081 Depth=3
	v_and_b32_e32 v17, 7, v112
	v_lshrrev_b16 v87, 3, v112
	v_ffbh_u32_e32 v86, v17
	v_and_b32_e32 v87, 15, v87
	v_min_u32_e32 v86, 32, v86
	v_cmp_eq_u32_e32 vcc_lo, 0, v87
	v_subrev_nc_u32_e32 v113, 28, v86
	v_sub_nc_u32_e32 v86, 29, v86
	v_lshlrev_b32_e32 v113, v113, v112
	v_lshlrev_b32_e32 v112, 24, v112
	v_cndmask_b32_e32 v86, v87, v86, vcc_lo
	v_and_b32_e32 v113, 7, v113
	v_and_b32_e32 v87, 0x80000000, v112
	v_lshl_add_u32 v86, v86, 23, 0x3b800000
	v_cndmask_b32_e32 v17, v17, v113, vcc_lo
	v_lshlrev_b32_e32 v17, 20, v17
	v_or3_b32 v17, v87, v86, v17
.LBB6_9210:                             ;   in Loop: Header=BB6_9081 Depth=3
	s_or_b32 exec_lo, exec_lo, s23
	s_waitcnt vmcnt(28) lgkmcnt(28)
	v_cmp_gt_i16_sdwa s23, v32, v61 src0_sel:BYTE_0 src1_sel:DWORD
	s_mov_b32 s16, 0
	s_and_saveexec_b32 s73, s23
	s_xor_b32 s23, exec_lo, s73
	s_cbranch_execz .LBB6_10261
; %bb.9211:                             ;   in Loop: Header=BB6_9081 Depth=3
	v_cmp_eq_u16_sdwa s74, v32, v62 src0_sel:BYTE_0 src1_sel:DWORD
	s_mov_b32 s16, -1
	s_and_saveexec_b32 s73, s74
; %bb.9212:                             ;   in Loop: Header=BB6_9081 Depth=3
	s_xor_b32 s16, exec_lo, -1
; %bb.9213:                             ;   in Loop: Header=BB6_9081 Depth=3
	s_or_b32 exec_lo, exec_lo, s73
	s_and_b32 s16, s16, exec_lo
	s_or_saveexec_b32 s23, s23
	v_mov_b32_e32 v86, 0x7f800001
	s_xor_b32 exec_lo, exec_lo, s23
	s_cbranch_execnz .LBB6_10262
.LBB6_9214:                             ;   in Loop: Header=BB6_9081 Depth=3
	s_or_b32 exec_lo, exec_lo, s23
	s_and_saveexec_b32 s23, s16
	s_cbranch_execz .LBB6_9216
.LBB6_9215:                             ;   in Loop: Header=BB6_9081 Depth=3
	v_and_b32_e32 v86, 7, v32
	v_lshrrev_b16 v112, 3, v32
	v_ffbh_u32_e32 v87, v86
	v_and_b32_e32 v112, 15, v112
	v_min_u32_e32 v87, 32, v87
	v_cmp_eq_u32_e32 vcc_lo, 0, v112
	v_subrev_nc_u32_e32 v113, 28, v87
	v_sub_nc_u32_e32 v87, 29, v87
	v_lshlrev_b32_e32 v113, v113, v32
	v_lshlrev_b32_e32 v32, 24, v32
	v_cndmask_b32_e32 v87, v112, v87, vcc_lo
	v_and_b32_e32 v113, 7, v113
	v_and_b32_e32 v32, 0x80000000, v32
	v_lshl_add_u32 v87, v87, 23, 0x3b800000
	v_cndmask_b32_e32 v86, v86, v113, vcc_lo
	v_lshlrev_b32_e32 v86, 20, v86
	v_or3_b32 v86, v32, v87, v86
.LBB6_9216:                             ;   in Loop: Header=BB6_9081 Depth=3
	s_or_b32 exec_lo, exec_lo, s23
	v_max_f32_e32 v32, v86, v86
	v_max_f32_e32 v17, v17, v17
	v_min_f32_e32 v17, v17, v32
.LBB6_9217:                             ;   in Loop: Header=BB6_9081 Depth=3
	s_waitcnt vmcnt(28) lgkmcnt(28)
	v_and_b32_e32 v32, 0x7f800000, v17
	v_cmp_ne_u32_e32 vcc_lo, 0x7f800000, v32
	v_mov_b32_e32 v32, 0x80
	s_and_saveexec_b32 s23, vcc_lo
	s_cbranch_execz .LBB6_9225
; %bb.9218:                             ;   in Loop: Header=BB6_9081 Depth=3
	v_mov_b32_e32 v32, 0
	s_mov_b32 s73, exec_lo
	v_cmpx_ne_u32_e32 0, v17
	s_cbranch_execz .LBB6_9224
; %bb.9219:                             ;   in Loop: Header=BB6_9081 Depth=3
	v_bfe_u32 v86, v17, 23, 8
	v_and_b32_e32 v32, 0x7fffff, v17
                                        ; implicit-def: $vgpr46
	v_cmp_gt_u32_e64 s16, 0x79, v86
	v_sub_nc_u32_e32 v87, 0x78, v86
	v_cmp_eq_u32_e32 vcc_lo, 0, v86
	v_or_b32_e32 v112, 0x800000, v32
	v_cndmask_b32_e64 v87, 0, v87, s16
	v_cndmask_b32_e32 v32, v112, v32, vcc_lo
	v_cndmask_b32_e64 v87, v87, 0x77, vcc_lo
	v_lshl_add_u32 v112, 0x100000, v87, -1
	v_lshlrev_b32_e64 v113, v87, 0x80000
	v_and_b32_e32 v112, v112, v32
	v_cmp_eq_u32_e64 s16, v112, v113
	v_lshrrev_b32_e32 v113, v87, v32
	v_add_nc_u32_e32 v32, 0xffffff89, v86
	v_lshrrev_b32_e32 v86, 23, v113
	v_cndmask_b32_e64 v32, v32, 0xffffff8a, vcc_lo
	v_xor_b32_e32 v112, 1, v86
	v_bfe_u32 v86, v113, 20, 1
	v_add_nc_u32_e32 v32, v87, v32
	v_add_nc_u32_e32 v86, -1, v86
	v_cndmask_b32_e64 v86, 0, v86, s16
	s_mov_b32 s16, exec_lo
	v_add_nc_u32_e32 v86, v86, v113
	v_and_b32_e32 v86, 0xfffff, v86
	v_add_nc_u32_e32 v113, v86, v113
	v_cmpx_ne_u32_e64 v32, v112
	s_xor_b32 s16, exec_lo, s16
; %bb.9220:                             ;   in Loop: Header=BB6_9081 Depth=3
	v_cmp_lt_u32_e32 vcc_lo, 0xffffff, v113
	v_sub_nc_u32_e32 v32, v32, v112
	v_cndmask_b32_e64 v86, 0, 1, vcc_lo
	v_add_co_ci_u32_e64 v46, null, 0, v32, vcc_lo
	v_lshrrev_b32_e32 v113, v86, v113
; %bb.9221:                             ;   in Loop: Header=BB6_9081 Depth=3
	s_andn2_saveexec_b32 s16, s16
; %bb.9222:                             ;   in Loop: Header=BB6_9081 Depth=3
	v_bfe_u32 v46, v113, 23, 1
; %bb.9223:                             ;   in Loop: Header=BB6_9081 Depth=3
	s_or_b32 exec_lo, exec_lo, s16
	v_lshrrev_b32_e32 v32, 20, v113
	v_cmp_gt_i32_e32 vcc_lo, 16, v46
	v_min_i32_e32 v86, 15, v46
	v_and_b32_sdwa v17, v17, v62 dst_sel:DWORD dst_unused:UNUSED_PAD src0_sel:BYTE_3 src1_sel:DWORD
	v_cndmask_b32_e32 v32, 7, v32, vcc_lo
	v_lshlrev_b32_e32 v86, 3, v86
	v_or_b32_e32 v87, v46, v32
	v_and_b32_e32 v32, 7, v32
	v_cmp_ne_u32_e32 vcc_lo, 0, v87
	v_or3_b32 v17, v86, v17, v32
	v_cndmask_b32_e32 v32, 0, v17, vcc_lo
.LBB6_9224:                             ;   in Loop: Header=BB6_9081 Depth=3
	s_or_b32 exec_lo, exec_lo, s73
.LBB6_9225:                             ;   in Loop: Header=BB6_9081 Depth=3
	s_or_b32 exec_lo, exec_lo, s23
	v_cmp_gt_i16_sdwa s23, v88, v61 src0_sel:BYTE_0 src1_sel:DWORD
	s_andn2_b32 vcc_lo, exec_lo, s19
	s_mov_b32 s16, -1
                                        ; implicit-def: $vgpr17
	s_cbranch_vccnz .LBB6_9239
; %bb.9226:                             ;   in Loop: Header=BB6_9081 Depth=3
	s_mov_b32 s16, 0
	s_and_saveexec_b32 s73, s23
	s_xor_b32 s23, exec_lo, s73
	s_cbranch_execz .LBB6_10263
; %bb.9227:                             ;   in Loop: Header=BB6_9081 Depth=3
	v_cmp_eq_u16_sdwa s74, v88, v62 src0_sel:BYTE_0 src1_sel:DWORD
	s_mov_b32 s16, -1
	s_and_saveexec_b32 s73, s74
; %bb.9228:                             ;   in Loop: Header=BB6_9081 Depth=3
	s_xor_b32 s16, exec_lo, -1
; %bb.9229:                             ;   in Loop: Header=BB6_9081 Depth=3
	s_or_b32 exec_lo, exec_lo, s73
	s_and_b32 s16, s16, exec_lo
	s_or_saveexec_b32 s23, s23
	v_mov_b32_e32 v17, 0x7f800001
	s_xor_b32 exec_lo, exec_lo, s23
	s_cbranch_execnz .LBB6_10264
.LBB6_9230:                             ;   in Loop: Header=BB6_9081 Depth=3
	s_or_b32 exec_lo, exec_lo, s23
	s_and_saveexec_b32 s23, s16
	s_cbranch_execz .LBB6_9232
.LBB6_9231:                             ;   in Loop: Header=BB6_9081 Depth=3
	v_and_b32_e32 v17, 7, v88
	v_lshrrev_b16 v87, 3, v88
	v_lshlrev_b32_e32 v113, 24, v88
	v_ffbh_u32_e32 v86, v17
	v_and_b32_e32 v87, 15, v87
	v_min_u32_e32 v86, 32, v86
	v_cmp_eq_u32_e32 vcc_lo, 0, v87
	v_subrev_nc_u32_e32 v112, 28, v86
	v_sub_nc_u32_e32 v86, 29, v86
	v_lshlrev_b32_e32 v112, v112, v88
	v_cndmask_b32_e32 v86, v87, v86, vcc_lo
	v_and_b32_e32 v87, 0x80000000, v113
	v_and_b32_e32 v112, 7, v112
	v_lshl_add_u32 v86, v86, 23, 0x3b800000
	v_cndmask_b32_e32 v17, v17, v112, vcc_lo
	v_lshlrev_b32_e32 v17, 20, v17
	v_or3_b32 v17, v87, v86, v17
.LBB6_9232:                             ;   in Loop: Header=BB6_9081 Depth=3
	s_or_b32 exec_lo, exec_lo, s23
	s_waitcnt vmcnt(27) lgkmcnt(27)
	v_cmp_gt_i16_sdwa s23, v35, v61 src0_sel:BYTE_0 src1_sel:DWORD
	s_mov_b32 s16, 0
	s_and_saveexec_b32 s73, s23
	s_xor_b32 s23, exec_lo, s73
	s_cbranch_execz .LBB6_10265
; %bb.9233:                             ;   in Loop: Header=BB6_9081 Depth=3
	v_cmp_eq_u16_sdwa s74, v35, v62 src0_sel:BYTE_0 src1_sel:DWORD
	s_mov_b32 s16, -1
	s_and_saveexec_b32 s73, s74
; %bb.9234:                             ;   in Loop: Header=BB6_9081 Depth=3
	s_xor_b32 s16, exec_lo, -1
; %bb.9235:                             ;   in Loop: Header=BB6_9081 Depth=3
	s_or_b32 exec_lo, exec_lo, s73
	s_and_b32 s16, s16, exec_lo
	s_or_saveexec_b32 s23, s23
	v_mov_b32_e32 v86, 0x7f800001
	s_xor_b32 exec_lo, exec_lo, s23
	s_cbranch_execnz .LBB6_10266
.LBB6_9236:                             ;   in Loop: Header=BB6_9081 Depth=3
	s_or_b32 exec_lo, exec_lo, s23
	s_and_saveexec_b32 s23, s16
	s_cbranch_execz .LBB6_9238
.LBB6_9237:                             ;   in Loop: Header=BB6_9081 Depth=3
	v_and_b32_e32 v86, 7, v35
	v_lshrrev_b16 v112, 3, v35
	v_lshlrev_b32_e32 v46, 24, v35
	v_ffbh_u32_e32 v87, v86
	v_and_b32_e32 v112, 15, v112
	v_min_u32_e32 v87, 32, v87
	v_cmp_eq_u32_e32 vcc_lo, 0, v112
	v_subrev_nc_u32_e32 v113, 28, v87
	v_sub_nc_u32_e32 v87, 29, v87
	v_lshlrev_b32_e32 v113, v113, v35
	v_cndmask_b32_e32 v87, v112, v87, vcc_lo
	v_and_b32_e32 v112, 0x80000000, v46
	v_and_b32_e32 v113, 7, v113
	v_lshl_add_u32 v87, v87, 23, 0x3b800000
	v_cndmask_b32_e32 v86, v86, v113, vcc_lo
	v_lshlrev_b32_e32 v86, 20, v86
	v_or3_b32 v86, v112, v87, v86
.LBB6_9238:                             ;   in Loop: Header=BB6_9081 Depth=3
	s_or_b32 exec_lo, exec_lo, s23
	v_max_f32_e32 v86, v86, v86
	v_max_f32_e32 v17, v17, v17
	s_mov_b32 s16, 0
	v_max_f32_e32 v17, v17, v86
.LBB6_9239:                             ;   in Loop: Header=BB6_9081 Depth=3
	s_and_b32 vcc_lo, exec_lo, s16
	s_cbranch_vccz .LBB6_9253
; %bb.9240:                             ;   in Loop: Header=BB6_9081 Depth=3
	v_cmp_gt_i16_sdwa s23, v88, v61 src0_sel:BYTE_0 src1_sel:DWORD
	s_mov_b32 s16, 0
	s_and_saveexec_b32 s73, s23
	s_xor_b32 s23, exec_lo, s73
	s_cbranch_execz .LBB6_10267
; %bb.9241:                             ;   in Loop: Header=BB6_9081 Depth=3
	v_cmp_eq_u16_sdwa s74, v88, v62 src0_sel:BYTE_0 src1_sel:DWORD
	s_mov_b32 s16, -1
	s_and_saveexec_b32 s73, s74
; %bb.9242:                             ;   in Loop: Header=BB6_9081 Depth=3
	s_xor_b32 s16, exec_lo, -1
; %bb.9243:                             ;   in Loop: Header=BB6_9081 Depth=3
	s_or_b32 exec_lo, exec_lo, s73
	s_and_b32 s16, s16, exec_lo
	s_or_saveexec_b32 s23, s23
	v_mov_b32_e32 v17, 0x7f800001
	s_xor_b32 exec_lo, exec_lo, s23
	s_cbranch_execnz .LBB6_10268
.LBB6_9244:                             ;   in Loop: Header=BB6_9081 Depth=3
	s_or_b32 exec_lo, exec_lo, s23
	s_and_saveexec_b32 s23, s16
	s_cbranch_execz .LBB6_9246
.LBB6_9245:                             ;   in Loop: Header=BB6_9081 Depth=3
	v_and_b32_e32 v17, 7, v88
	v_lshrrev_b16 v87, 3, v88
	v_lshlrev_b32_e32 v113, 24, v88
	v_ffbh_u32_e32 v86, v17
	v_and_b32_e32 v87, 15, v87
	v_min_u32_e32 v86, 32, v86
	v_cmp_eq_u32_e32 vcc_lo, 0, v87
	v_subrev_nc_u32_e32 v112, 28, v86
	v_sub_nc_u32_e32 v86, 29, v86
	v_lshlrev_b32_e32 v112, v112, v88
	v_cndmask_b32_e32 v86, v87, v86, vcc_lo
	v_and_b32_e32 v87, 0x80000000, v113
	v_and_b32_e32 v112, 7, v112
	v_lshl_add_u32 v86, v86, 23, 0x3b800000
	v_cndmask_b32_e32 v17, v17, v112, vcc_lo
	v_lshlrev_b32_e32 v17, 20, v17
	v_or3_b32 v17, v87, v86, v17
.LBB6_9246:                             ;   in Loop: Header=BB6_9081 Depth=3
	s_or_b32 exec_lo, exec_lo, s23
	s_waitcnt vmcnt(27) lgkmcnt(27)
	v_cmp_gt_i16_sdwa s23, v35, v61 src0_sel:BYTE_0 src1_sel:DWORD
	s_mov_b32 s16, 0
	s_and_saveexec_b32 s73, s23
	s_xor_b32 s23, exec_lo, s73
	s_cbranch_execz .LBB6_10269
; %bb.9247:                             ;   in Loop: Header=BB6_9081 Depth=3
	v_cmp_eq_u16_sdwa s74, v35, v62 src0_sel:BYTE_0 src1_sel:DWORD
	s_mov_b32 s16, -1
	s_and_saveexec_b32 s73, s74
; %bb.9248:                             ;   in Loop: Header=BB6_9081 Depth=3
	s_xor_b32 s16, exec_lo, -1
; %bb.9249:                             ;   in Loop: Header=BB6_9081 Depth=3
	s_or_b32 exec_lo, exec_lo, s73
	s_and_b32 s16, s16, exec_lo
	s_or_saveexec_b32 s23, s23
	v_mov_b32_e32 v86, 0x7f800001
	s_xor_b32 exec_lo, exec_lo, s23
	s_cbranch_execnz .LBB6_10270
.LBB6_9250:                             ;   in Loop: Header=BB6_9081 Depth=3
	s_or_b32 exec_lo, exec_lo, s23
	s_and_saveexec_b32 s23, s16
	s_cbranch_execz .LBB6_9252
.LBB6_9251:                             ;   in Loop: Header=BB6_9081 Depth=3
	v_and_b32_e32 v86, 7, v35
	v_lshrrev_b16 v112, 3, v35
	v_ffbh_u32_e32 v87, v86
	v_and_b32_e32 v112, 15, v112
	v_min_u32_e32 v87, 32, v87
	v_cmp_eq_u32_e32 vcc_lo, 0, v112
	v_subrev_nc_u32_e32 v113, 28, v87
	v_sub_nc_u32_e32 v87, 29, v87
	v_lshlrev_b32_e32 v113, v113, v35
	v_lshlrev_b32_e32 v35, 24, v35
	v_cndmask_b32_e32 v87, v112, v87, vcc_lo
	v_and_b32_e32 v113, 7, v113
	v_and_b32_e32 v35, 0x80000000, v35
	v_lshl_add_u32 v87, v87, 23, 0x3b800000
	v_cndmask_b32_e32 v86, v86, v113, vcc_lo
	v_lshlrev_b32_e32 v86, 20, v86
	v_or3_b32 v86, v35, v87, v86
.LBB6_9252:                             ;   in Loop: Header=BB6_9081 Depth=3
	s_or_b32 exec_lo, exec_lo, s23
	v_max_f32_e32 v35, v86, v86
	v_max_f32_e32 v17, v17, v17
	v_min_f32_e32 v17, v17, v35
.LBB6_9253:                             ;   in Loop: Header=BB6_9081 Depth=3
	s_waitcnt vmcnt(27) lgkmcnt(27)
	v_and_b32_e32 v35, 0x7f800000, v17
	v_cmp_ne_u32_e32 vcc_lo, 0x7f800000, v35
	v_mov_b32_e32 v35, 0x80
	s_and_saveexec_b32 s23, vcc_lo
	s_cbranch_execz .LBB6_9261
; %bb.9254:                             ;   in Loop: Header=BB6_9081 Depth=3
	v_mov_b32_e32 v35, 0
	s_mov_b32 s73, exec_lo
	v_cmpx_ne_u32_e32 0, v17
	s_cbranch_execz .LBB6_9260
; %bb.9255:                             ;   in Loop: Header=BB6_9081 Depth=3
	v_bfe_u32 v86, v17, 23, 8
	v_and_b32_e32 v35, 0x7fffff, v17
                                        ; implicit-def: $vgpr46
	v_cmp_gt_u32_e64 s16, 0x79, v86
	v_sub_nc_u32_e32 v87, 0x78, v86
	v_cmp_eq_u32_e32 vcc_lo, 0, v86
	v_or_b32_e32 v112, 0x800000, v35
	v_cndmask_b32_e64 v87, 0, v87, s16
	v_cndmask_b32_e32 v35, v112, v35, vcc_lo
	v_cndmask_b32_e64 v87, v87, 0x77, vcc_lo
	v_lshl_add_u32 v112, 0x100000, v87, -1
	v_lshlrev_b32_e64 v113, v87, 0x80000
	v_and_b32_e32 v112, v112, v35
	v_cmp_eq_u32_e64 s16, v112, v113
	v_lshrrev_b32_e32 v113, v87, v35
	v_add_nc_u32_e32 v35, 0xffffff89, v86
	v_lshrrev_b32_e32 v86, 23, v113
	v_cndmask_b32_e64 v35, v35, 0xffffff8a, vcc_lo
	v_xor_b32_e32 v112, 1, v86
	v_bfe_u32 v86, v113, 20, 1
	v_add_nc_u32_e32 v35, v87, v35
	v_add_nc_u32_e32 v86, -1, v86
	v_cndmask_b32_e64 v86, 0, v86, s16
	s_mov_b32 s16, exec_lo
	v_add_nc_u32_e32 v86, v86, v113
	v_and_b32_e32 v86, 0xfffff, v86
	v_add_nc_u32_e32 v113, v86, v113
	v_cmpx_ne_u32_e64 v35, v112
	s_xor_b32 s16, exec_lo, s16
; %bb.9256:                             ;   in Loop: Header=BB6_9081 Depth=3
	v_cmp_lt_u32_e32 vcc_lo, 0xffffff, v113
	v_sub_nc_u32_e32 v35, v35, v112
	v_cndmask_b32_e64 v86, 0, 1, vcc_lo
	v_add_co_ci_u32_e64 v46, null, 0, v35, vcc_lo
	v_lshrrev_b32_e32 v113, v86, v113
; %bb.9257:                             ;   in Loop: Header=BB6_9081 Depth=3
	s_andn2_saveexec_b32 s16, s16
; %bb.9258:                             ;   in Loop: Header=BB6_9081 Depth=3
	v_bfe_u32 v46, v113, 23, 1
; %bb.9259:                             ;   in Loop: Header=BB6_9081 Depth=3
	s_or_b32 exec_lo, exec_lo, s16
	v_lshrrev_b32_e32 v35, 20, v113
	v_cmp_gt_i32_e32 vcc_lo, 16, v46
	v_min_i32_e32 v86, 15, v46
	v_and_b32_sdwa v17, v17, v62 dst_sel:DWORD dst_unused:UNUSED_PAD src0_sel:BYTE_3 src1_sel:DWORD
	v_cndmask_b32_e32 v35, 7, v35, vcc_lo
	v_lshlrev_b32_e32 v86, 3, v86
	v_or_b32_e32 v87, v46, v35
	v_and_b32_e32 v35, 7, v35
	v_cmp_ne_u32_e32 vcc_lo, 0, v87
	v_or3_b32 v17, v86, v17, v35
	v_cndmask_b32_e32 v35, 0, v17, vcc_lo
.LBB6_9260:                             ;   in Loop: Header=BB6_9081 Depth=3
	s_or_b32 exec_lo, exec_lo, s73
.LBB6_9261:                             ;   in Loop: Header=BB6_9081 Depth=3
	s_or_b32 exec_lo, exec_lo, s23
	v_cmp_gt_i16_sdwa s23, v126, v61 src0_sel:BYTE_0 src1_sel:DWORD
	s_andn2_b32 vcc_lo, exec_lo, s19
	s_mov_b32 s16, -1
                                        ; implicit-def: $vgpr17
	s_cbranch_vccnz .LBB6_9275
; %bb.9262:                             ;   in Loop: Header=BB6_9081 Depth=3
	s_mov_b32 s16, 0
	s_and_saveexec_b32 s73, s23
	s_xor_b32 s23, exec_lo, s73
	s_cbranch_execz .LBB6_10271
; %bb.9263:                             ;   in Loop: Header=BB6_9081 Depth=3
	v_cmp_eq_u16_sdwa s74, v126, v62 src0_sel:BYTE_0 src1_sel:DWORD
	s_mov_b32 s16, -1
	s_and_saveexec_b32 s73, s74
; %bb.9264:                             ;   in Loop: Header=BB6_9081 Depth=3
	s_xor_b32 s16, exec_lo, -1
; %bb.9265:                             ;   in Loop: Header=BB6_9081 Depth=3
	s_or_b32 exec_lo, exec_lo, s73
	s_and_b32 s16, s16, exec_lo
	s_or_saveexec_b32 s23, s23
	v_mov_b32_e32 v17, 0x7f800001
	s_xor_b32 exec_lo, exec_lo, s23
	s_cbranch_execnz .LBB6_10272
.LBB6_9266:                             ;   in Loop: Header=BB6_9081 Depth=3
	s_or_b32 exec_lo, exec_lo, s23
	s_and_saveexec_b32 s23, s16
	s_cbranch_execz .LBB6_9268
.LBB6_9267:                             ;   in Loop: Header=BB6_9081 Depth=3
	v_and_b32_e32 v17, 7, v126
	v_lshrrev_b16 v87, 3, v126
	v_lshlrev_b32_e32 v113, 24, v126
	v_ffbh_u32_e32 v86, v17
	v_and_b32_e32 v87, 15, v87
	v_min_u32_e32 v86, 32, v86
	v_cmp_eq_u32_e32 vcc_lo, 0, v87
	v_subrev_nc_u32_e32 v112, 28, v86
	v_sub_nc_u32_e32 v86, 29, v86
	v_lshlrev_b32_e32 v112, v112, v126
	v_cndmask_b32_e32 v86, v87, v86, vcc_lo
	v_and_b32_e32 v87, 0x80000000, v113
	v_and_b32_e32 v112, 7, v112
	v_lshl_add_u32 v86, v86, 23, 0x3b800000
	v_cndmask_b32_e32 v17, v17, v112, vcc_lo
	v_lshlrev_b32_e32 v17, 20, v17
	v_or3_b32 v17, v87, v86, v17
.LBB6_9268:                             ;   in Loop: Header=BB6_9081 Depth=3
	s_or_b32 exec_lo, exec_lo, s23
	s_waitcnt vmcnt(26) lgkmcnt(26)
	v_cmp_gt_i16_sdwa s23, v38, v61 src0_sel:BYTE_0 src1_sel:DWORD
	s_mov_b32 s16, 0
	s_and_saveexec_b32 s73, s23
	s_xor_b32 s23, exec_lo, s73
	s_cbranch_execz .LBB6_10273
; %bb.9269:                             ;   in Loop: Header=BB6_9081 Depth=3
	v_cmp_eq_u16_sdwa s74, v38, v62 src0_sel:BYTE_0 src1_sel:DWORD
	s_mov_b32 s16, -1
	s_and_saveexec_b32 s73, s74
; %bb.9270:                             ;   in Loop: Header=BB6_9081 Depth=3
	s_xor_b32 s16, exec_lo, -1
; %bb.9271:                             ;   in Loop: Header=BB6_9081 Depth=3
	s_or_b32 exec_lo, exec_lo, s73
	s_and_b32 s16, s16, exec_lo
	s_or_saveexec_b32 s23, s23
	v_mov_b32_e32 v86, 0x7f800001
	s_xor_b32 exec_lo, exec_lo, s23
	s_cbranch_execnz .LBB6_10274
.LBB6_9272:                             ;   in Loop: Header=BB6_9081 Depth=3
	s_or_b32 exec_lo, exec_lo, s23
	s_and_saveexec_b32 s23, s16
	s_cbranch_execz .LBB6_9274
.LBB6_9273:                             ;   in Loop: Header=BB6_9081 Depth=3
	v_and_b32_e32 v86, 7, v38
	v_lshrrev_b16 v112, 3, v38
	v_lshlrev_b32_e32 v46, 24, v38
	v_ffbh_u32_e32 v87, v86
	v_and_b32_e32 v112, 15, v112
	v_min_u32_e32 v87, 32, v87
	v_cmp_eq_u32_e32 vcc_lo, 0, v112
	v_subrev_nc_u32_e32 v113, 28, v87
	v_sub_nc_u32_e32 v87, 29, v87
	v_lshlrev_b32_e32 v113, v113, v38
	v_cndmask_b32_e32 v87, v112, v87, vcc_lo
	v_and_b32_e32 v112, 0x80000000, v46
	v_and_b32_e32 v113, 7, v113
	v_lshl_add_u32 v87, v87, 23, 0x3b800000
	v_cndmask_b32_e32 v86, v86, v113, vcc_lo
	v_lshlrev_b32_e32 v86, 20, v86
	v_or3_b32 v86, v112, v87, v86
.LBB6_9274:                             ;   in Loop: Header=BB6_9081 Depth=3
	s_or_b32 exec_lo, exec_lo, s23
	v_max_f32_e32 v86, v86, v86
	v_max_f32_e32 v17, v17, v17
	s_mov_b32 s16, 0
	v_max_f32_e32 v17, v17, v86
.LBB6_9275:                             ;   in Loop: Header=BB6_9081 Depth=3
	s_and_b32 vcc_lo, exec_lo, s16
	s_cbranch_vccz .LBB6_9289
; %bb.9276:                             ;   in Loop: Header=BB6_9081 Depth=3
	v_cmp_gt_i16_sdwa s23, v126, v61 src0_sel:BYTE_0 src1_sel:DWORD
	s_mov_b32 s16, 0
	s_and_saveexec_b32 s73, s23
	s_xor_b32 s23, exec_lo, s73
	s_cbranch_execz .LBB6_10275
; %bb.9277:                             ;   in Loop: Header=BB6_9081 Depth=3
	v_cmp_eq_u16_sdwa s74, v126, v62 src0_sel:BYTE_0 src1_sel:DWORD
	s_mov_b32 s16, -1
	s_and_saveexec_b32 s73, s74
; %bb.9278:                             ;   in Loop: Header=BB6_9081 Depth=3
	s_xor_b32 s16, exec_lo, -1
; %bb.9279:                             ;   in Loop: Header=BB6_9081 Depth=3
	s_or_b32 exec_lo, exec_lo, s73
	s_and_b32 s16, s16, exec_lo
	s_or_saveexec_b32 s23, s23
	v_mov_b32_e32 v17, 0x7f800001
	s_xor_b32 exec_lo, exec_lo, s23
	s_cbranch_execnz .LBB6_10276
.LBB6_9280:                             ;   in Loop: Header=BB6_9081 Depth=3
	s_or_b32 exec_lo, exec_lo, s23
	s_and_saveexec_b32 s23, s16
	s_cbranch_execz .LBB6_9282
.LBB6_9281:                             ;   in Loop: Header=BB6_9081 Depth=3
	v_and_b32_e32 v17, 7, v126
	v_lshrrev_b16 v87, 3, v126
	v_lshlrev_b32_e32 v113, 24, v126
	v_ffbh_u32_e32 v86, v17
	v_and_b32_e32 v87, 15, v87
	v_min_u32_e32 v86, 32, v86
	v_cmp_eq_u32_e32 vcc_lo, 0, v87
	v_subrev_nc_u32_e32 v112, 28, v86
	v_sub_nc_u32_e32 v86, 29, v86
	v_lshlrev_b32_e32 v112, v112, v126
	v_cndmask_b32_e32 v86, v87, v86, vcc_lo
	v_and_b32_e32 v87, 0x80000000, v113
	v_and_b32_e32 v112, 7, v112
	v_lshl_add_u32 v86, v86, 23, 0x3b800000
	v_cndmask_b32_e32 v17, v17, v112, vcc_lo
	v_lshlrev_b32_e32 v17, 20, v17
	v_or3_b32 v17, v87, v86, v17
.LBB6_9282:                             ;   in Loop: Header=BB6_9081 Depth=3
	s_or_b32 exec_lo, exec_lo, s23
	s_waitcnt vmcnt(26) lgkmcnt(26)
	v_cmp_gt_i16_sdwa s23, v38, v61 src0_sel:BYTE_0 src1_sel:DWORD
	s_mov_b32 s16, 0
	s_and_saveexec_b32 s73, s23
	s_xor_b32 s23, exec_lo, s73
	s_cbranch_execz .LBB6_10277
; %bb.9283:                             ;   in Loop: Header=BB6_9081 Depth=3
	v_cmp_eq_u16_sdwa s74, v38, v62 src0_sel:BYTE_0 src1_sel:DWORD
	s_mov_b32 s16, -1
	s_and_saveexec_b32 s73, s74
; %bb.9284:                             ;   in Loop: Header=BB6_9081 Depth=3
	s_xor_b32 s16, exec_lo, -1
; %bb.9285:                             ;   in Loop: Header=BB6_9081 Depth=3
	s_or_b32 exec_lo, exec_lo, s73
	s_and_b32 s16, s16, exec_lo
	s_or_saveexec_b32 s23, s23
	v_mov_b32_e32 v86, 0x7f800001
	s_xor_b32 exec_lo, exec_lo, s23
	s_cbranch_execnz .LBB6_10278
.LBB6_9286:                             ;   in Loop: Header=BB6_9081 Depth=3
	s_or_b32 exec_lo, exec_lo, s23
	s_and_saveexec_b32 s23, s16
	s_cbranch_execz .LBB6_9288
.LBB6_9287:                             ;   in Loop: Header=BB6_9081 Depth=3
	v_and_b32_e32 v86, 7, v38
	v_lshrrev_b16 v112, 3, v38
	v_ffbh_u32_e32 v87, v86
	v_and_b32_e32 v112, 15, v112
	v_min_u32_e32 v87, 32, v87
	v_cmp_eq_u32_e32 vcc_lo, 0, v112
	v_subrev_nc_u32_e32 v113, 28, v87
	v_sub_nc_u32_e32 v87, 29, v87
	v_lshlrev_b32_e32 v113, v113, v38
	v_lshlrev_b32_e32 v38, 24, v38
	v_cndmask_b32_e32 v87, v112, v87, vcc_lo
	v_and_b32_e32 v113, 7, v113
	v_and_b32_e32 v38, 0x80000000, v38
	v_lshl_add_u32 v87, v87, 23, 0x3b800000
	v_cndmask_b32_e32 v86, v86, v113, vcc_lo
	v_lshlrev_b32_e32 v86, 20, v86
	v_or3_b32 v86, v38, v87, v86
.LBB6_9288:                             ;   in Loop: Header=BB6_9081 Depth=3
	s_or_b32 exec_lo, exec_lo, s23
	v_max_f32_e32 v38, v86, v86
	v_max_f32_e32 v17, v17, v17
	v_min_f32_e32 v17, v17, v38
.LBB6_9289:                             ;   in Loop: Header=BB6_9081 Depth=3
	s_waitcnt vmcnt(26) lgkmcnt(26)
	v_and_b32_e32 v38, 0x7f800000, v17
	v_cmp_ne_u32_e32 vcc_lo, 0x7f800000, v38
	v_mov_b32_e32 v38, 0x80
	s_and_saveexec_b32 s23, vcc_lo
	s_cbranch_execz .LBB6_9297
; %bb.9290:                             ;   in Loop: Header=BB6_9081 Depth=3
	v_mov_b32_e32 v38, 0
	s_mov_b32 s73, exec_lo
	v_cmpx_ne_u32_e32 0, v17
	s_cbranch_execz .LBB6_9296
; %bb.9291:                             ;   in Loop: Header=BB6_9081 Depth=3
	v_bfe_u32 v86, v17, 23, 8
	v_and_b32_e32 v38, 0x7fffff, v17
                                        ; implicit-def: $vgpr46
	v_cmp_gt_u32_e64 s16, 0x79, v86
	v_sub_nc_u32_e32 v87, 0x78, v86
	v_cmp_eq_u32_e32 vcc_lo, 0, v86
	v_or_b32_e32 v112, 0x800000, v38
	v_cndmask_b32_e64 v87, 0, v87, s16
	v_cndmask_b32_e32 v38, v112, v38, vcc_lo
	v_cndmask_b32_e64 v87, v87, 0x77, vcc_lo
	v_lshl_add_u32 v112, 0x100000, v87, -1
	v_lshlrev_b32_e64 v113, v87, 0x80000
	v_and_b32_e32 v112, v112, v38
	v_cmp_eq_u32_e64 s16, v112, v113
	v_lshrrev_b32_e32 v113, v87, v38
	v_add_nc_u32_e32 v38, 0xffffff89, v86
	v_lshrrev_b32_e32 v86, 23, v113
	v_cndmask_b32_e64 v38, v38, 0xffffff8a, vcc_lo
	v_xor_b32_e32 v112, 1, v86
	v_bfe_u32 v86, v113, 20, 1
	v_add_nc_u32_e32 v38, v87, v38
	v_add_nc_u32_e32 v86, -1, v86
	v_cndmask_b32_e64 v86, 0, v86, s16
	s_mov_b32 s16, exec_lo
	v_add_nc_u32_e32 v86, v86, v113
	v_and_b32_e32 v86, 0xfffff, v86
	v_add_nc_u32_e32 v113, v86, v113
	v_cmpx_ne_u32_e64 v38, v112
	s_xor_b32 s16, exec_lo, s16
; %bb.9292:                             ;   in Loop: Header=BB6_9081 Depth=3
	v_cmp_lt_u32_e32 vcc_lo, 0xffffff, v113
	v_sub_nc_u32_e32 v38, v38, v112
	v_cndmask_b32_e64 v86, 0, 1, vcc_lo
	v_add_co_ci_u32_e64 v46, null, 0, v38, vcc_lo
	v_lshrrev_b32_e32 v113, v86, v113
; %bb.9293:                             ;   in Loop: Header=BB6_9081 Depth=3
	s_andn2_saveexec_b32 s16, s16
; %bb.9294:                             ;   in Loop: Header=BB6_9081 Depth=3
	v_bfe_u32 v46, v113, 23, 1
; %bb.9295:                             ;   in Loop: Header=BB6_9081 Depth=3
	s_or_b32 exec_lo, exec_lo, s16
	v_lshrrev_b32_e32 v38, 20, v113
	v_cmp_gt_i32_e32 vcc_lo, 16, v46
	v_min_i32_e32 v86, 15, v46
	v_and_b32_sdwa v17, v17, v62 dst_sel:DWORD dst_unused:UNUSED_PAD src0_sel:BYTE_3 src1_sel:DWORD
	v_cndmask_b32_e32 v38, 7, v38, vcc_lo
	v_lshlrev_b32_e32 v86, 3, v86
	v_or_b32_e32 v87, v46, v38
	v_and_b32_e32 v38, 7, v38
	v_cmp_ne_u32_e32 vcc_lo, 0, v87
	v_or3_b32 v17, v86, v17, v38
	v_cndmask_b32_e32 v38, 0, v17, vcc_lo
.LBB6_9296:                             ;   in Loop: Header=BB6_9081 Depth=3
	s_or_b32 exec_lo, exec_lo, s73
.LBB6_9297:                             ;   in Loop: Header=BB6_9081 Depth=3
	s_or_b32 exec_lo, exec_lo, s23
	v_cmp_gt_i16_sdwa s23, v125, v61 src0_sel:BYTE_0 src1_sel:DWORD
	s_andn2_b32 vcc_lo, exec_lo, s19
	s_mov_b32 s16, -1
                                        ; implicit-def: $vgpr17
	s_cbranch_vccnz .LBB6_9311
; %bb.9298:                             ;   in Loop: Header=BB6_9081 Depth=3
	s_mov_b32 s16, 0
	s_and_saveexec_b32 s73, s23
	s_xor_b32 s23, exec_lo, s73
	s_cbranch_execz .LBB6_10279
; %bb.9299:                             ;   in Loop: Header=BB6_9081 Depth=3
	v_cmp_eq_u16_sdwa s74, v125, v62 src0_sel:BYTE_0 src1_sel:DWORD
	s_mov_b32 s16, -1
	s_and_saveexec_b32 s73, s74
; %bb.9300:                             ;   in Loop: Header=BB6_9081 Depth=3
	s_xor_b32 s16, exec_lo, -1
; %bb.9301:                             ;   in Loop: Header=BB6_9081 Depth=3
	s_or_b32 exec_lo, exec_lo, s73
	s_and_b32 s16, s16, exec_lo
	s_or_saveexec_b32 s23, s23
	v_mov_b32_e32 v17, 0x7f800001
	s_xor_b32 exec_lo, exec_lo, s23
	s_cbranch_execnz .LBB6_10280
.LBB6_9302:                             ;   in Loop: Header=BB6_9081 Depth=3
	s_or_b32 exec_lo, exec_lo, s23
	s_and_saveexec_b32 s23, s16
	s_cbranch_execz .LBB6_9304
.LBB6_9303:                             ;   in Loop: Header=BB6_9081 Depth=3
	v_and_b32_e32 v17, 7, v125
	v_lshrrev_b16 v87, 3, v125
	v_lshlrev_b32_e32 v113, 24, v125
	v_ffbh_u32_e32 v86, v17
	v_and_b32_e32 v87, 15, v87
	v_min_u32_e32 v86, 32, v86
	v_cmp_eq_u32_e32 vcc_lo, 0, v87
	v_subrev_nc_u32_e32 v112, 28, v86
	v_sub_nc_u32_e32 v86, 29, v86
	v_lshlrev_b32_e32 v112, v112, v125
	v_cndmask_b32_e32 v86, v87, v86, vcc_lo
	v_and_b32_e32 v87, 0x80000000, v113
	v_and_b32_e32 v112, 7, v112
	v_lshl_add_u32 v86, v86, 23, 0x3b800000
	v_cndmask_b32_e32 v17, v17, v112, vcc_lo
	v_lshlrev_b32_e32 v17, 20, v17
	v_or3_b32 v17, v87, v86, v17
.LBB6_9304:                             ;   in Loop: Header=BB6_9081 Depth=3
	s_or_b32 exec_lo, exec_lo, s23
	s_waitcnt vmcnt(25) lgkmcnt(25)
	v_cmp_gt_i16_sdwa s23, v49, v61 src0_sel:BYTE_0 src1_sel:DWORD
	s_mov_b32 s16, 0
	s_and_saveexec_b32 s73, s23
	s_xor_b32 s23, exec_lo, s73
	s_cbranch_execz .LBB6_10281
; %bb.9305:                             ;   in Loop: Header=BB6_9081 Depth=3
	v_cmp_eq_u16_sdwa s74, v49, v62 src0_sel:BYTE_0 src1_sel:DWORD
	s_mov_b32 s16, -1
	s_and_saveexec_b32 s73, s74
; %bb.9306:                             ;   in Loop: Header=BB6_9081 Depth=3
	s_xor_b32 s16, exec_lo, -1
; %bb.9307:                             ;   in Loop: Header=BB6_9081 Depth=3
	s_or_b32 exec_lo, exec_lo, s73
	s_and_b32 s16, s16, exec_lo
	s_or_saveexec_b32 s23, s23
	v_mov_b32_e32 v86, 0x7f800001
	s_xor_b32 exec_lo, exec_lo, s23
	s_cbranch_execnz .LBB6_10282
.LBB6_9308:                             ;   in Loop: Header=BB6_9081 Depth=3
	s_or_b32 exec_lo, exec_lo, s23
	s_and_saveexec_b32 s23, s16
	s_cbranch_execz .LBB6_9310
.LBB6_9309:                             ;   in Loop: Header=BB6_9081 Depth=3
	v_and_b32_e32 v86, 7, v49
	v_lshrrev_b16 v112, 3, v49
	v_lshlrev_b32_e32 v46, 24, v49
	v_ffbh_u32_e32 v87, v86
	v_and_b32_e32 v112, 15, v112
	v_min_u32_e32 v87, 32, v87
	v_cmp_eq_u32_e32 vcc_lo, 0, v112
	v_subrev_nc_u32_e32 v113, 28, v87
	v_sub_nc_u32_e32 v87, 29, v87
	v_lshlrev_b32_e32 v113, v113, v49
	v_cndmask_b32_e32 v87, v112, v87, vcc_lo
	v_and_b32_e32 v112, 0x80000000, v46
	v_and_b32_e32 v113, 7, v113
	v_lshl_add_u32 v87, v87, 23, 0x3b800000
	v_cndmask_b32_e32 v86, v86, v113, vcc_lo
	v_lshlrev_b32_e32 v86, 20, v86
	v_or3_b32 v86, v112, v87, v86
.LBB6_9310:                             ;   in Loop: Header=BB6_9081 Depth=3
	s_or_b32 exec_lo, exec_lo, s23
	v_max_f32_e32 v86, v86, v86
	v_max_f32_e32 v17, v17, v17
	s_mov_b32 s16, 0
	v_max_f32_e32 v17, v17, v86
.LBB6_9311:                             ;   in Loop: Header=BB6_9081 Depth=3
	s_and_b32 vcc_lo, exec_lo, s16
	s_cbranch_vccz .LBB6_9325
; %bb.9312:                             ;   in Loop: Header=BB6_9081 Depth=3
	v_cmp_gt_i16_sdwa s23, v125, v61 src0_sel:BYTE_0 src1_sel:DWORD
	s_mov_b32 s16, 0
	s_and_saveexec_b32 s73, s23
	s_xor_b32 s23, exec_lo, s73
	s_cbranch_execz .LBB6_10283
; %bb.9313:                             ;   in Loop: Header=BB6_9081 Depth=3
	v_cmp_eq_u16_sdwa s74, v125, v62 src0_sel:BYTE_0 src1_sel:DWORD
	s_mov_b32 s16, -1
	s_and_saveexec_b32 s73, s74
; %bb.9314:                             ;   in Loop: Header=BB6_9081 Depth=3
	s_xor_b32 s16, exec_lo, -1
; %bb.9315:                             ;   in Loop: Header=BB6_9081 Depth=3
	s_or_b32 exec_lo, exec_lo, s73
	s_and_b32 s16, s16, exec_lo
	s_or_saveexec_b32 s23, s23
	v_mov_b32_e32 v17, 0x7f800001
	s_xor_b32 exec_lo, exec_lo, s23
	s_cbranch_execnz .LBB6_10284
.LBB6_9316:                             ;   in Loop: Header=BB6_9081 Depth=3
	s_or_b32 exec_lo, exec_lo, s23
	s_and_saveexec_b32 s23, s16
	s_cbranch_execz .LBB6_9318
.LBB6_9317:                             ;   in Loop: Header=BB6_9081 Depth=3
	v_and_b32_e32 v17, 7, v125
	v_lshrrev_b16 v87, 3, v125
	v_lshlrev_b32_e32 v113, 24, v125
	v_ffbh_u32_e32 v86, v17
	v_and_b32_e32 v87, 15, v87
	v_min_u32_e32 v86, 32, v86
	v_cmp_eq_u32_e32 vcc_lo, 0, v87
	v_subrev_nc_u32_e32 v112, 28, v86
	v_sub_nc_u32_e32 v86, 29, v86
	v_lshlrev_b32_e32 v112, v112, v125
	v_cndmask_b32_e32 v86, v87, v86, vcc_lo
	v_and_b32_e32 v87, 0x80000000, v113
	v_and_b32_e32 v112, 7, v112
	v_lshl_add_u32 v86, v86, 23, 0x3b800000
	v_cndmask_b32_e32 v17, v17, v112, vcc_lo
	v_lshlrev_b32_e32 v17, 20, v17
	v_or3_b32 v17, v87, v86, v17
.LBB6_9318:                             ;   in Loop: Header=BB6_9081 Depth=3
	s_or_b32 exec_lo, exec_lo, s23
	s_waitcnt vmcnt(25) lgkmcnt(25)
	v_cmp_gt_i16_sdwa s23, v49, v61 src0_sel:BYTE_0 src1_sel:DWORD
	s_mov_b32 s16, 0
	s_and_saveexec_b32 s73, s23
	s_xor_b32 s23, exec_lo, s73
	s_cbranch_execz .LBB6_10285
; %bb.9319:                             ;   in Loop: Header=BB6_9081 Depth=3
	v_cmp_eq_u16_sdwa s74, v49, v62 src0_sel:BYTE_0 src1_sel:DWORD
	s_mov_b32 s16, -1
	s_and_saveexec_b32 s73, s74
; %bb.9320:                             ;   in Loop: Header=BB6_9081 Depth=3
	s_xor_b32 s16, exec_lo, -1
; %bb.9321:                             ;   in Loop: Header=BB6_9081 Depth=3
	s_or_b32 exec_lo, exec_lo, s73
	s_and_b32 s16, s16, exec_lo
	s_or_saveexec_b32 s23, s23
	v_mov_b32_e32 v86, 0x7f800001
	s_xor_b32 exec_lo, exec_lo, s23
	s_cbranch_execnz .LBB6_10286
.LBB6_9322:                             ;   in Loop: Header=BB6_9081 Depth=3
	s_or_b32 exec_lo, exec_lo, s23
	s_and_saveexec_b32 s23, s16
	s_cbranch_execz .LBB6_9324
.LBB6_9323:                             ;   in Loop: Header=BB6_9081 Depth=3
	v_and_b32_e32 v86, 7, v49
	v_lshrrev_b16 v112, 3, v49
	v_ffbh_u32_e32 v87, v86
	v_and_b32_e32 v112, 15, v112
	v_min_u32_e32 v87, 32, v87
	v_cmp_eq_u32_e32 vcc_lo, 0, v112
	v_subrev_nc_u32_e32 v113, 28, v87
	v_sub_nc_u32_e32 v87, 29, v87
	v_lshlrev_b32_e32 v113, v113, v49
	v_lshlrev_b32_e32 v49, 24, v49
	v_cndmask_b32_e32 v87, v112, v87, vcc_lo
	v_and_b32_e32 v113, 7, v113
	v_and_b32_e32 v49, 0x80000000, v49
	v_lshl_add_u32 v87, v87, 23, 0x3b800000
	v_cndmask_b32_e32 v86, v86, v113, vcc_lo
	v_lshlrev_b32_e32 v86, 20, v86
	v_or3_b32 v86, v49, v87, v86
.LBB6_9324:                             ;   in Loop: Header=BB6_9081 Depth=3
	s_or_b32 exec_lo, exec_lo, s23
	v_max_f32_e32 v49, v86, v86
	v_max_f32_e32 v17, v17, v17
	v_min_f32_e32 v17, v17, v49
.LBB6_9325:                             ;   in Loop: Header=BB6_9081 Depth=3
	s_waitcnt vmcnt(25) lgkmcnt(25)
	v_and_b32_e32 v49, 0x7f800000, v17
	v_cmp_ne_u32_e32 vcc_lo, 0x7f800000, v49
	v_mov_b32_e32 v49, 0x80
	s_and_saveexec_b32 s23, vcc_lo
	s_cbranch_execz .LBB6_9333
; %bb.9326:                             ;   in Loop: Header=BB6_9081 Depth=3
	v_mov_b32_e32 v49, 0
	s_mov_b32 s73, exec_lo
	v_cmpx_ne_u32_e32 0, v17
	s_cbranch_execz .LBB6_9332
; %bb.9327:                             ;   in Loop: Header=BB6_9081 Depth=3
	v_bfe_u32 v86, v17, 23, 8
	v_and_b32_e32 v49, 0x7fffff, v17
                                        ; implicit-def: $vgpr46
	v_cmp_gt_u32_e64 s16, 0x79, v86
	v_sub_nc_u32_e32 v87, 0x78, v86
	v_cmp_eq_u32_e32 vcc_lo, 0, v86
	v_or_b32_e32 v112, 0x800000, v49
	v_cndmask_b32_e64 v87, 0, v87, s16
	v_cndmask_b32_e32 v49, v112, v49, vcc_lo
	v_cndmask_b32_e64 v87, v87, 0x77, vcc_lo
	v_lshl_add_u32 v112, 0x100000, v87, -1
	v_lshlrev_b32_e64 v113, v87, 0x80000
	v_and_b32_e32 v112, v112, v49
	v_cmp_eq_u32_e64 s16, v112, v113
	v_lshrrev_b32_e32 v113, v87, v49
	v_add_nc_u32_e32 v49, 0xffffff89, v86
	v_lshrrev_b32_e32 v86, 23, v113
	v_cndmask_b32_e64 v49, v49, 0xffffff8a, vcc_lo
	v_xor_b32_e32 v112, 1, v86
	v_bfe_u32 v86, v113, 20, 1
	v_add_nc_u32_e32 v49, v87, v49
	v_add_nc_u32_e32 v86, -1, v86
	v_cndmask_b32_e64 v86, 0, v86, s16
	s_mov_b32 s16, exec_lo
	v_add_nc_u32_e32 v86, v86, v113
	v_and_b32_e32 v86, 0xfffff, v86
	v_add_nc_u32_e32 v113, v86, v113
	v_cmpx_ne_u32_e64 v49, v112
	s_xor_b32 s16, exec_lo, s16
; %bb.9328:                             ;   in Loop: Header=BB6_9081 Depth=3
	v_cmp_lt_u32_e32 vcc_lo, 0xffffff, v113
	v_sub_nc_u32_e32 v49, v49, v112
	v_cndmask_b32_e64 v86, 0, 1, vcc_lo
	v_add_co_ci_u32_e64 v46, null, 0, v49, vcc_lo
	v_lshrrev_b32_e32 v113, v86, v113
; %bb.9329:                             ;   in Loop: Header=BB6_9081 Depth=3
	s_andn2_saveexec_b32 s16, s16
; %bb.9330:                             ;   in Loop: Header=BB6_9081 Depth=3
	v_bfe_u32 v46, v113, 23, 1
; %bb.9331:                             ;   in Loop: Header=BB6_9081 Depth=3
	s_or_b32 exec_lo, exec_lo, s16
	v_lshrrev_b32_e32 v49, 20, v113
	v_cmp_gt_i32_e32 vcc_lo, 16, v46
	v_min_i32_e32 v86, 15, v46
	v_and_b32_sdwa v17, v17, v62 dst_sel:DWORD dst_unused:UNUSED_PAD src0_sel:BYTE_3 src1_sel:DWORD
	v_cndmask_b32_e32 v49, 7, v49, vcc_lo
	v_lshlrev_b32_e32 v86, 3, v86
	v_or_b32_e32 v87, v46, v49
	v_and_b32_e32 v49, 7, v49
	v_cmp_ne_u32_e32 vcc_lo, 0, v87
	v_or3_b32 v17, v86, v17, v49
	v_cndmask_b32_e32 v49, 0, v17, vcc_lo
.LBB6_9332:                             ;   in Loop: Header=BB6_9081 Depth=3
	s_or_b32 exec_lo, exec_lo, s73
.LBB6_9333:                             ;   in Loop: Header=BB6_9081 Depth=3
	s_or_b32 exec_lo, exec_lo, s23
	v_cmp_gt_i16_sdwa s23, v124, v61 src0_sel:BYTE_0 src1_sel:DWORD
	s_andn2_b32 vcc_lo, exec_lo, s19
	s_mov_b32 s16, -1
                                        ; implicit-def: $vgpr17
	s_cbranch_vccnz .LBB6_9347
; %bb.9334:                             ;   in Loop: Header=BB6_9081 Depth=3
	s_mov_b32 s16, 0
	s_and_saveexec_b32 s73, s23
	s_xor_b32 s23, exec_lo, s73
	s_cbranch_execz .LBB6_10287
; %bb.9335:                             ;   in Loop: Header=BB6_9081 Depth=3
	v_cmp_eq_u16_sdwa s74, v124, v62 src0_sel:BYTE_0 src1_sel:DWORD
	s_mov_b32 s16, -1
	s_and_saveexec_b32 s73, s74
; %bb.9336:                             ;   in Loop: Header=BB6_9081 Depth=3
	s_xor_b32 s16, exec_lo, -1
; %bb.9337:                             ;   in Loop: Header=BB6_9081 Depth=3
	s_or_b32 exec_lo, exec_lo, s73
	s_and_b32 s16, s16, exec_lo
	s_or_saveexec_b32 s23, s23
	v_mov_b32_e32 v17, 0x7f800001
	s_xor_b32 exec_lo, exec_lo, s23
	s_cbranch_execnz .LBB6_10288
.LBB6_9338:                             ;   in Loop: Header=BB6_9081 Depth=3
	s_or_b32 exec_lo, exec_lo, s23
	s_and_saveexec_b32 s23, s16
	s_cbranch_execz .LBB6_9340
.LBB6_9339:                             ;   in Loop: Header=BB6_9081 Depth=3
	v_and_b32_e32 v17, 7, v124
	v_lshrrev_b16 v87, 3, v124
	v_lshlrev_b32_e32 v113, 24, v124
	v_ffbh_u32_e32 v86, v17
	v_and_b32_e32 v87, 15, v87
	v_min_u32_e32 v86, 32, v86
	v_cmp_eq_u32_e32 vcc_lo, 0, v87
	v_subrev_nc_u32_e32 v112, 28, v86
	v_sub_nc_u32_e32 v86, 29, v86
	v_lshlrev_b32_e32 v112, v112, v124
	v_cndmask_b32_e32 v86, v87, v86, vcc_lo
	v_and_b32_e32 v87, 0x80000000, v113
	v_and_b32_e32 v112, 7, v112
	v_lshl_add_u32 v86, v86, 23, 0x3b800000
	v_cndmask_b32_e32 v17, v17, v112, vcc_lo
	v_lshlrev_b32_e32 v17, 20, v17
	v_or3_b32 v17, v87, v86, v17
.LBB6_9340:                             ;   in Loop: Header=BB6_9081 Depth=3
	s_or_b32 exec_lo, exec_lo, s23
	s_waitcnt vmcnt(24) lgkmcnt(24)
	v_cmp_gt_i16_sdwa s23, v52, v61 src0_sel:BYTE_0 src1_sel:DWORD
	s_mov_b32 s16, 0
	s_and_saveexec_b32 s73, s23
	s_xor_b32 s23, exec_lo, s73
	s_cbranch_execz .LBB6_10289
; %bb.9341:                             ;   in Loop: Header=BB6_9081 Depth=3
	v_cmp_eq_u16_sdwa s74, v52, v62 src0_sel:BYTE_0 src1_sel:DWORD
	s_mov_b32 s16, -1
	s_and_saveexec_b32 s73, s74
; %bb.9342:                             ;   in Loop: Header=BB6_9081 Depth=3
	s_xor_b32 s16, exec_lo, -1
; %bb.9343:                             ;   in Loop: Header=BB6_9081 Depth=3
	s_or_b32 exec_lo, exec_lo, s73
	s_and_b32 s16, s16, exec_lo
	s_or_saveexec_b32 s23, s23
	v_mov_b32_e32 v86, 0x7f800001
	s_xor_b32 exec_lo, exec_lo, s23
	s_cbranch_execnz .LBB6_10290
.LBB6_9344:                             ;   in Loop: Header=BB6_9081 Depth=3
	s_or_b32 exec_lo, exec_lo, s23
	s_and_saveexec_b32 s23, s16
	s_cbranch_execz .LBB6_9346
.LBB6_9345:                             ;   in Loop: Header=BB6_9081 Depth=3
	v_and_b32_e32 v86, 7, v52
	v_lshrrev_b16 v112, 3, v52
	v_lshlrev_b32_e32 v46, 24, v52
	v_ffbh_u32_e32 v87, v86
	v_and_b32_e32 v112, 15, v112
	v_min_u32_e32 v87, 32, v87
	v_cmp_eq_u32_e32 vcc_lo, 0, v112
	v_subrev_nc_u32_e32 v113, 28, v87
	v_sub_nc_u32_e32 v87, 29, v87
	v_lshlrev_b32_e32 v113, v113, v52
	v_cndmask_b32_e32 v87, v112, v87, vcc_lo
	v_and_b32_e32 v112, 0x80000000, v46
	v_and_b32_e32 v113, 7, v113
	v_lshl_add_u32 v87, v87, 23, 0x3b800000
	v_cndmask_b32_e32 v86, v86, v113, vcc_lo
	v_lshlrev_b32_e32 v86, 20, v86
	v_or3_b32 v86, v112, v87, v86
.LBB6_9346:                             ;   in Loop: Header=BB6_9081 Depth=3
	s_or_b32 exec_lo, exec_lo, s23
	v_max_f32_e32 v86, v86, v86
	v_max_f32_e32 v17, v17, v17
	s_mov_b32 s16, 0
	v_max_f32_e32 v17, v17, v86
.LBB6_9347:                             ;   in Loop: Header=BB6_9081 Depth=3
	s_and_b32 vcc_lo, exec_lo, s16
	s_cbranch_vccz .LBB6_9361
; %bb.9348:                             ;   in Loop: Header=BB6_9081 Depth=3
	v_cmp_gt_i16_sdwa s23, v124, v61 src0_sel:BYTE_0 src1_sel:DWORD
	s_mov_b32 s16, 0
	s_and_saveexec_b32 s73, s23
	s_xor_b32 s23, exec_lo, s73
	s_cbranch_execz .LBB6_10291
; %bb.9349:                             ;   in Loop: Header=BB6_9081 Depth=3
	v_cmp_eq_u16_sdwa s74, v124, v62 src0_sel:BYTE_0 src1_sel:DWORD
	s_mov_b32 s16, -1
	s_and_saveexec_b32 s73, s74
; %bb.9350:                             ;   in Loop: Header=BB6_9081 Depth=3
	s_xor_b32 s16, exec_lo, -1
; %bb.9351:                             ;   in Loop: Header=BB6_9081 Depth=3
	s_or_b32 exec_lo, exec_lo, s73
	s_and_b32 s16, s16, exec_lo
	s_or_saveexec_b32 s23, s23
	v_mov_b32_e32 v17, 0x7f800001
	s_xor_b32 exec_lo, exec_lo, s23
	s_cbranch_execnz .LBB6_10292
.LBB6_9352:                             ;   in Loop: Header=BB6_9081 Depth=3
	s_or_b32 exec_lo, exec_lo, s23
	s_and_saveexec_b32 s23, s16
	s_cbranch_execz .LBB6_9354
.LBB6_9353:                             ;   in Loop: Header=BB6_9081 Depth=3
	v_and_b32_e32 v17, 7, v124
	v_lshrrev_b16 v87, 3, v124
	v_lshlrev_b32_e32 v113, 24, v124
	v_ffbh_u32_e32 v86, v17
	v_and_b32_e32 v87, 15, v87
	v_min_u32_e32 v86, 32, v86
	v_cmp_eq_u32_e32 vcc_lo, 0, v87
	v_subrev_nc_u32_e32 v112, 28, v86
	v_sub_nc_u32_e32 v86, 29, v86
	v_lshlrev_b32_e32 v112, v112, v124
	v_cndmask_b32_e32 v86, v87, v86, vcc_lo
	v_and_b32_e32 v87, 0x80000000, v113
	v_and_b32_e32 v112, 7, v112
	v_lshl_add_u32 v86, v86, 23, 0x3b800000
	v_cndmask_b32_e32 v17, v17, v112, vcc_lo
	v_lshlrev_b32_e32 v17, 20, v17
	v_or3_b32 v17, v87, v86, v17
.LBB6_9354:                             ;   in Loop: Header=BB6_9081 Depth=3
	s_or_b32 exec_lo, exec_lo, s23
	s_waitcnt vmcnt(24) lgkmcnt(24)
	v_cmp_gt_i16_sdwa s23, v52, v61 src0_sel:BYTE_0 src1_sel:DWORD
	s_mov_b32 s16, 0
	s_and_saveexec_b32 s73, s23
	s_xor_b32 s23, exec_lo, s73
	s_cbranch_execz .LBB6_10293
; %bb.9355:                             ;   in Loop: Header=BB6_9081 Depth=3
	v_cmp_eq_u16_sdwa s74, v52, v62 src0_sel:BYTE_0 src1_sel:DWORD
	s_mov_b32 s16, -1
	s_and_saveexec_b32 s73, s74
; %bb.9356:                             ;   in Loop: Header=BB6_9081 Depth=3
	s_xor_b32 s16, exec_lo, -1
; %bb.9357:                             ;   in Loop: Header=BB6_9081 Depth=3
	s_or_b32 exec_lo, exec_lo, s73
	s_and_b32 s16, s16, exec_lo
	s_or_saveexec_b32 s23, s23
	v_mov_b32_e32 v86, 0x7f800001
	s_xor_b32 exec_lo, exec_lo, s23
	s_cbranch_execnz .LBB6_10294
.LBB6_9358:                             ;   in Loop: Header=BB6_9081 Depth=3
	s_or_b32 exec_lo, exec_lo, s23
	s_and_saveexec_b32 s23, s16
	s_cbranch_execz .LBB6_9360
.LBB6_9359:                             ;   in Loop: Header=BB6_9081 Depth=3
	v_and_b32_e32 v86, 7, v52
	v_lshrrev_b16 v112, 3, v52
	v_ffbh_u32_e32 v87, v86
	v_and_b32_e32 v112, 15, v112
	v_min_u32_e32 v87, 32, v87
	v_cmp_eq_u32_e32 vcc_lo, 0, v112
	v_subrev_nc_u32_e32 v113, 28, v87
	v_sub_nc_u32_e32 v87, 29, v87
	v_lshlrev_b32_e32 v113, v113, v52
	v_lshlrev_b32_e32 v52, 24, v52
	v_cndmask_b32_e32 v87, v112, v87, vcc_lo
	v_and_b32_e32 v113, 7, v113
	v_and_b32_e32 v52, 0x80000000, v52
	v_lshl_add_u32 v87, v87, 23, 0x3b800000
	v_cndmask_b32_e32 v86, v86, v113, vcc_lo
	v_lshlrev_b32_e32 v86, 20, v86
	v_or3_b32 v86, v52, v87, v86
.LBB6_9360:                             ;   in Loop: Header=BB6_9081 Depth=3
	s_or_b32 exec_lo, exec_lo, s23
	v_max_f32_e32 v52, v86, v86
	v_max_f32_e32 v17, v17, v17
	v_min_f32_e32 v17, v17, v52
.LBB6_9361:                             ;   in Loop: Header=BB6_9081 Depth=3
	s_waitcnt vmcnt(24) lgkmcnt(24)
	v_and_b32_e32 v52, 0x7f800000, v17
	v_cmp_ne_u32_e32 vcc_lo, 0x7f800000, v52
	v_mov_b32_e32 v52, 0x80
	s_and_saveexec_b32 s23, vcc_lo
	s_cbranch_execz .LBB6_9369
; %bb.9362:                             ;   in Loop: Header=BB6_9081 Depth=3
	v_mov_b32_e32 v52, 0
	s_mov_b32 s73, exec_lo
	v_cmpx_ne_u32_e32 0, v17
	s_cbranch_execz .LBB6_9368
; %bb.9363:                             ;   in Loop: Header=BB6_9081 Depth=3
	v_bfe_u32 v86, v17, 23, 8
	v_and_b32_e32 v52, 0x7fffff, v17
                                        ; implicit-def: $vgpr46
	v_cmp_gt_u32_e64 s16, 0x79, v86
	v_sub_nc_u32_e32 v87, 0x78, v86
	v_cmp_eq_u32_e32 vcc_lo, 0, v86
	v_or_b32_e32 v112, 0x800000, v52
	v_cndmask_b32_e64 v87, 0, v87, s16
	v_cndmask_b32_e32 v52, v112, v52, vcc_lo
	v_cndmask_b32_e64 v87, v87, 0x77, vcc_lo
	v_lshl_add_u32 v112, 0x100000, v87, -1
	v_lshlrev_b32_e64 v113, v87, 0x80000
	v_and_b32_e32 v112, v112, v52
	v_cmp_eq_u32_e64 s16, v112, v113
	v_lshrrev_b32_e32 v113, v87, v52
	v_add_nc_u32_e32 v52, 0xffffff89, v86
	v_lshrrev_b32_e32 v86, 23, v113
	v_cndmask_b32_e64 v52, v52, 0xffffff8a, vcc_lo
	v_xor_b32_e32 v112, 1, v86
	v_bfe_u32 v86, v113, 20, 1
	v_add_nc_u32_e32 v52, v87, v52
	v_add_nc_u32_e32 v86, -1, v86
	v_cndmask_b32_e64 v86, 0, v86, s16
	s_mov_b32 s16, exec_lo
	v_add_nc_u32_e32 v86, v86, v113
	v_and_b32_e32 v86, 0xfffff, v86
	v_add_nc_u32_e32 v113, v86, v113
	v_cmpx_ne_u32_e64 v52, v112
	s_xor_b32 s16, exec_lo, s16
; %bb.9364:                             ;   in Loop: Header=BB6_9081 Depth=3
	v_cmp_lt_u32_e32 vcc_lo, 0xffffff, v113
	v_sub_nc_u32_e32 v52, v52, v112
	v_cndmask_b32_e64 v86, 0, 1, vcc_lo
	v_add_co_ci_u32_e64 v46, null, 0, v52, vcc_lo
	v_lshrrev_b32_e32 v113, v86, v113
; %bb.9365:                             ;   in Loop: Header=BB6_9081 Depth=3
	s_andn2_saveexec_b32 s16, s16
; %bb.9366:                             ;   in Loop: Header=BB6_9081 Depth=3
	v_bfe_u32 v46, v113, 23, 1
; %bb.9367:                             ;   in Loop: Header=BB6_9081 Depth=3
	s_or_b32 exec_lo, exec_lo, s16
	v_lshrrev_b32_e32 v52, 20, v113
	v_cmp_gt_i32_e32 vcc_lo, 16, v46
	v_min_i32_e32 v86, 15, v46
	v_and_b32_sdwa v17, v17, v62 dst_sel:DWORD dst_unused:UNUSED_PAD src0_sel:BYTE_3 src1_sel:DWORD
	v_cndmask_b32_e32 v52, 7, v52, vcc_lo
	v_lshlrev_b32_e32 v86, 3, v86
	v_or_b32_e32 v87, v46, v52
	v_and_b32_e32 v52, 7, v52
	v_cmp_ne_u32_e32 vcc_lo, 0, v87
	v_or3_b32 v17, v86, v17, v52
	v_cndmask_b32_e32 v52, 0, v17, vcc_lo
.LBB6_9368:                             ;   in Loop: Header=BB6_9081 Depth=3
	s_or_b32 exec_lo, exec_lo, s73
.LBB6_9369:                             ;   in Loop: Header=BB6_9081 Depth=3
	s_or_b32 exec_lo, exec_lo, s23
	v_cmp_gt_i16_sdwa s23, v99, v61 src0_sel:BYTE_0 src1_sel:DWORD
	s_andn2_b32 vcc_lo, exec_lo, s19
	s_mov_b32 s16, -1
                                        ; implicit-def: $vgpr17
	s_cbranch_vccnz .LBB6_9383
; %bb.9370:                             ;   in Loop: Header=BB6_9081 Depth=3
	s_mov_b32 s16, 0
	s_and_saveexec_b32 s73, s23
	s_xor_b32 s23, exec_lo, s73
	s_cbranch_execz .LBB6_10295
; %bb.9371:                             ;   in Loop: Header=BB6_9081 Depth=3
	v_cmp_eq_u16_sdwa s74, v99, v62 src0_sel:BYTE_0 src1_sel:DWORD
	s_mov_b32 s16, -1
	s_and_saveexec_b32 s73, s74
; %bb.9372:                             ;   in Loop: Header=BB6_9081 Depth=3
	s_xor_b32 s16, exec_lo, -1
; %bb.9373:                             ;   in Loop: Header=BB6_9081 Depth=3
	s_or_b32 exec_lo, exec_lo, s73
	s_and_b32 s16, s16, exec_lo
	s_or_saveexec_b32 s23, s23
	v_mov_b32_e32 v17, 0x7f800001
	s_xor_b32 exec_lo, exec_lo, s23
	s_cbranch_execnz .LBB6_10296
.LBB6_9374:                             ;   in Loop: Header=BB6_9081 Depth=3
	s_or_b32 exec_lo, exec_lo, s23
	s_and_saveexec_b32 s23, s16
	s_cbranch_execz .LBB6_9376
.LBB6_9375:                             ;   in Loop: Header=BB6_9081 Depth=3
	v_and_b32_e32 v17, 7, v99
	v_lshrrev_b16 v87, 3, v99
	v_lshlrev_b32_e32 v113, 24, v99
	v_ffbh_u32_e32 v86, v17
	v_and_b32_e32 v87, 15, v87
	v_min_u32_e32 v86, 32, v86
	v_cmp_eq_u32_e32 vcc_lo, 0, v87
	v_subrev_nc_u32_e32 v112, 28, v86
	v_sub_nc_u32_e32 v86, 29, v86
	v_lshlrev_b32_e32 v112, v112, v99
	v_cndmask_b32_e32 v86, v87, v86, vcc_lo
	v_and_b32_e32 v87, 0x80000000, v113
	v_and_b32_e32 v112, 7, v112
	v_lshl_add_u32 v86, v86, 23, 0x3b800000
	v_cndmask_b32_e32 v17, v17, v112, vcc_lo
	v_lshlrev_b32_e32 v17, 20, v17
	v_or3_b32 v17, v87, v86, v17
.LBB6_9376:                             ;   in Loop: Header=BB6_9081 Depth=3
	s_or_b32 exec_lo, exec_lo, s23
	s_waitcnt vmcnt(23) lgkmcnt(23)
	v_cmp_gt_i16_sdwa s23, v54, v61 src0_sel:BYTE_0 src1_sel:DWORD
	s_mov_b32 s16, 0
	s_and_saveexec_b32 s73, s23
	s_xor_b32 s23, exec_lo, s73
	s_cbranch_execz .LBB6_10297
; %bb.9377:                             ;   in Loop: Header=BB6_9081 Depth=3
	v_cmp_eq_u16_sdwa s74, v54, v62 src0_sel:BYTE_0 src1_sel:DWORD
	s_mov_b32 s16, -1
	s_and_saveexec_b32 s73, s74
; %bb.9378:                             ;   in Loop: Header=BB6_9081 Depth=3
	s_xor_b32 s16, exec_lo, -1
; %bb.9379:                             ;   in Loop: Header=BB6_9081 Depth=3
	s_or_b32 exec_lo, exec_lo, s73
	s_and_b32 s16, s16, exec_lo
	s_or_saveexec_b32 s23, s23
	v_mov_b32_e32 v86, 0x7f800001
	s_xor_b32 exec_lo, exec_lo, s23
	s_cbranch_execnz .LBB6_10298
.LBB6_9380:                             ;   in Loop: Header=BB6_9081 Depth=3
	s_or_b32 exec_lo, exec_lo, s23
	s_and_saveexec_b32 s23, s16
	s_cbranch_execz .LBB6_9382
.LBB6_9381:                             ;   in Loop: Header=BB6_9081 Depth=3
	v_and_b32_e32 v86, 7, v54
	v_lshrrev_b16 v112, 3, v54
	v_lshlrev_b32_e32 v46, 24, v54
	v_ffbh_u32_e32 v87, v86
	v_and_b32_e32 v112, 15, v112
	v_min_u32_e32 v87, 32, v87
	v_cmp_eq_u32_e32 vcc_lo, 0, v112
	v_subrev_nc_u32_e32 v113, 28, v87
	v_sub_nc_u32_e32 v87, 29, v87
	v_lshlrev_b32_e32 v113, v113, v54
	v_cndmask_b32_e32 v87, v112, v87, vcc_lo
	v_and_b32_e32 v112, 0x80000000, v46
	v_and_b32_e32 v113, 7, v113
	v_lshl_add_u32 v87, v87, 23, 0x3b800000
	v_cndmask_b32_e32 v86, v86, v113, vcc_lo
	v_lshlrev_b32_e32 v86, 20, v86
	v_or3_b32 v86, v112, v87, v86
.LBB6_9382:                             ;   in Loop: Header=BB6_9081 Depth=3
	s_or_b32 exec_lo, exec_lo, s23
	v_max_f32_e32 v86, v86, v86
	v_max_f32_e32 v17, v17, v17
	s_mov_b32 s16, 0
	v_max_f32_e32 v17, v17, v86
.LBB6_9383:                             ;   in Loop: Header=BB6_9081 Depth=3
	s_and_b32 vcc_lo, exec_lo, s16
	s_cbranch_vccz .LBB6_9397
; %bb.9384:                             ;   in Loop: Header=BB6_9081 Depth=3
	v_cmp_gt_i16_sdwa s23, v99, v61 src0_sel:BYTE_0 src1_sel:DWORD
	s_mov_b32 s16, 0
	s_and_saveexec_b32 s73, s23
	s_xor_b32 s23, exec_lo, s73
	s_cbranch_execz .LBB6_10299
; %bb.9385:                             ;   in Loop: Header=BB6_9081 Depth=3
	v_cmp_eq_u16_sdwa s74, v99, v62 src0_sel:BYTE_0 src1_sel:DWORD
	s_mov_b32 s16, -1
	s_and_saveexec_b32 s73, s74
; %bb.9386:                             ;   in Loop: Header=BB6_9081 Depth=3
	s_xor_b32 s16, exec_lo, -1
; %bb.9387:                             ;   in Loop: Header=BB6_9081 Depth=3
	s_or_b32 exec_lo, exec_lo, s73
	s_and_b32 s16, s16, exec_lo
	s_or_saveexec_b32 s23, s23
	v_mov_b32_e32 v17, 0x7f800001
	s_xor_b32 exec_lo, exec_lo, s23
	s_cbranch_execnz .LBB6_10300
.LBB6_9388:                             ;   in Loop: Header=BB6_9081 Depth=3
	s_or_b32 exec_lo, exec_lo, s23
	s_and_saveexec_b32 s23, s16
	s_cbranch_execz .LBB6_9390
.LBB6_9389:                             ;   in Loop: Header=BB6_9081 Depth=3
	v_and_b32_e32 v17, 7, v99
	v_lshrrev_b16 v87, 3, v99
	v_ffbh_u32_e32 v86, v17
	v_and_b32_e32 v87, 15, v87
	v_min_u32_e32 v86, 32, v86
	v_cmp_eq_u32_e32 vcc_lo, 0, v87
	v_subrev_nc_u32_e32 v112, 28, v86
	v_sub_nc_u32_e32 v86, 29, v86
	v_lshlrev_b32_e32 v112, v112, v99
	v_lshlrev_b32_e32 v99, 24, v99
	v_cndmask_b32_e32 v86, v87, v86, vcc_lo
	v_and_b32_e32 v112, 7, v112
	v_and_b32_e32 v87, 0x80000000, v99
	v_lshl_add_u32 v86, v86, 23, 0x3b800000
	v_cndmask_b32_e32 v17, v17, v112, vcc_lo
	v_lshlrev_b32_e32 v17, 20, v17
	v_or3_b32 v17, v87, v86, v17
.LBB6_9390:                             ;   in Loop: Header=BB6_9081 Depth=3
	s_or_b32 exec_lo, exec_lo, s23
	s_waitcnt vmcnt(23) lgkmcnt(23)
	v_cmp_gt_i16_sdwa s23, v54, v61 src0_sel:BYTE_0 src1_sel:DWORD
	s_mov_b32 s16, 0
	s_and_saveexec_b32 s73, s23
	s_xor_b32 s23, exec_lo, s73
	s_cbranch_execz .LBB6_10301
; %bb.9391:                             ;   in Loop: Header=BB6_9081 Depth=3
	v_cmp_eq_u16_sdwa s74, v54, v62 src0_sel:BYTE_0 src1_sel:DWORD
	s_mov_b32 s16, -1
	s_and_saveexec_b32 s73, s74
; %bb.9392:                             ;   in Loop: Header=BB6_9081 Depth=3
	s_xor_b32 s16, exec_lo, -1
; %bb.9393:                             ;   in Loop: Header=BB6_9081 Depth=3
	s_or_b32 exec_lo, exec_lo, s73
	s_and_b32 s16, s16, exec_lo
	s_or_saveexec_b32 s23, s23
	v_mov_b32_e32 v86, 0x7f800001
	s_xor_b32 exec_lo, exec_lo, s23
	s_cbranch_execnz .LBB6_10302
.LBB6_9394:                             ;   in Loop: Header=BB6_9081 Depth=3
	s_or_b32 exec_lo, exec_lo, s23
	s_and_saveexec_b32 s23, s16
	s_cbranch_execz .LBB6_9396
.LBB6_9395:                             ;   in Loop: Header=BB6_9081 Depth=3
	v_and_b32_e32 v86, 7, v54
	v_lshrrev_b16 v99, 3, v54
	v_ffbh_u32_e32 v87, v86
	v_and_b32_e32 v99, 15, v99
	v_min_u32_e32 v87, 32, v87
	v_cmp_eq_u32_e32 vcc_lo, 0, v99
	v_subrev_nc_u32_e32 v112, 28, v87
	v_sub_nc_u32_e32 v87, 29, v87
	v_lshlrev_b32_e32 v112, v112, v54
	v_lshlrev_b32_e32 v54, 24, v54
	v_cndmask_b32_e32 v87, v99, v87, vcc_lo
	v_and_b32_e32 v112, 7, v112
	v_and_b32_e32 v54, 0x80000000, v54
	v_lshl_add_u32 v87, v87, 23, 0x3b800000
	v_cndmask_b32_e32 v86, v86, v112, vcc_lo
	v_lshlrev_b32_e32 v86, 20, v86
	v_or3_b32 v86, v54, v87, v86
.LBB6_9396:                             ;   in Loop: Header=BB6_9081 Depth=3
	s_or_b32 exec_lo, exec_lo, s23
	v_max_f32_e32 v54, v86, v86
	v_max_f32_e32 v17, v17, v17
	v_min_f32_e32 v17, v17, v54
.LBB6_9397:                             ;   in Loop: Header=BB6_9081 Depth=3
	s_waitcnt vmcnt(23) lgkmcnt(23)
	v_and_b32_e32 v54, 0x7f800000, v17
	v_cmp_ne_u32_e32 vcc_lo, 0x7f800000, v54
	v_mov_b32_e32 v54, 0x80
	s_and_saveexec_b32 s23, vcc_lo
	s_cbranch_execz .LBB6_9405
; %bb.9398:                             ;   in Loop: Header=BB6_9081 Depth=3
	v_mov_b32_e32 v54, 0
	s_mov_b32 s73, exec_lo
	v_cmpx_ne_u32_e32 0, v17
	s_cbranch_execz .LBB6_9404
; %bb.9399:                             ;   in Loop: Header=BB6_9081 Depth=3
	v_bfe_u32 v86, v17, 23, 8
	v_and_b32_e32 v54, 0x7fffff, v17
                                        ; implicit-def: $vgpr113
	v_cmp_gt_u32_e64 s16, 0x79, v86
	v_sub_nc_u32_e32 v87, 0x78, v86
	v_cmp_eq_u32_e32 vcc_lo, 0, v86
	v_or_b32_e32 v99, 0x800000, v54
	v_cndmask_b32_e64 v87, 0, v87, s16
	v_cndmask_b32_e32 v54, v99, v54, vcc_lo
	v_cndmask_b32_e64 v87, v87, 0x77, vcc_lo
	v_lshl_add_u32 v99, 0x100000, v87, -1
	v_lshlrev_b32_e64 v112, v87, 0x80000
	v_and_b32_e32 v99, v99, v54
	v_cmp_eq_u32_e64 s16, v99, v112
	v_lshrrev_b32_e32 v112, v87, v54
	v_add_nc_u32_e32 v54, 0xffffff89, v86
	v_lshrrev_b32_e32 v86, 23, v112
	v_cndmask_b32_e64 v54, v54, 0xffffff8a, vcc_lo
	v_xor_b32_e32 v99, 1, v86
	v_bfe_u32 v86, v112, 20, 1
	v_add_nc_u32_e32 v54, v87, v54
	v_add_nc_u32_e32 v86, -1, v86
	v_cndmask_b32_e64 v86, 0, v86, s16
	s_mov_b32 s16, exec_lo
	v_add_nc_u32_e32 v86, v86, v112
	v_and_b32_e32 v86, 0xfffff, v86
	v_add_nc_u32_e32 v112, v86, v112
	v_cmpx_ne_u32_e64 v54, v99
	s_xor_b32 s16, exec_lo, s16
; %bb.9400:                             ;   in Loop: Header=BB6_9081 Depth=3
	v_cmp_lt_u32_e32 vcc_lo, 0xffffff, v112
	v_sub_nc_u32_e32 v54, v54, v99
	v_cndmask_b32_e64 v86, 0, 1, vcc_lo
	v_add_co_ci_u32_e64 v113, null, 0, v54, vcc_lo
	v_lshrrev_b32_e32 v112, v86, v112
; %bb.9401:                             ;   in Loop: Header=BB6_9081 Depth=3
	s_andn2_saveexec_b32 s16, s16
; %bb.9402:                             ;   in Loop: Header=BB6_9081 Depth=3
	v_bfe_u32 v113, v112, 23, 1
; %bb.9403:                             ;   in Loop: Header=BB6_9081 Depth=3
	s_or_b32 exec_lo, exec_lo, s16
	v_lshrrev_b32_e32 v54, 20, v112
	v_cmp_gt_i32_e32 vcc_lo, 16, v113
	v_min_i32_e32 v86, 15, v113
	v_and_b32_sdwa v17, v17, v62 dst_sel:DWORD dst_unused:UNUSED_PAD src0_sel:BYTE_3 src1_sel:DWORD
	v_cndmask_b32_e32 v54, 7, v54, vcc_lo
	v_lshlrev_b32_e32 v86, 3, v86
	v_or_b32_e32 v87, v113, v54
	v_and_b32_e32 v54, 7, v54
	v_cmp_ne_u32_e32 vcc_lo, 0, v87
	v_or3_b32 v17, v86, v17, v54
	v_cndmask_b32_e32 v54, 0, v17, vcc_lo
.LBB6_9404:                             ;   in Loop: Header=BB6_9081 Depth=3
	s_or_b32 exec_lo, exec_lo, s73
.LBB6_9405:                             ;   in Loop: Header=BB6_9081 Depth=3
	s_or_b32 exec_lo, exec_lo, s23
	v_cmp_gt_i16_sdwa s23, v98, v61 src0_sel:BYTE_0 src1_sel:DWORD
	s_andn2_b32 vcc_lo, exec_lo, s19
	s_mov_b32 s16, -1
                                        ; implicit-def: $vgpr17
	s_cbranch_vccnz .LBB6_9419
; %bb.9406:                             ;   in Loop: Header=BB6_9081 Depth=3
	s_mov_b32 s16, 0
	s_and_saveexec_b32 s73, s23
	s_xor_b32 s23, exec_lo, s73
	s_cbranch_execz .LBB6_10303
; %bb.9407:                             ;   in Loop: Header=BB6_9081 Depth=3
	v_cmp_eq_u16_sdwa s74, v98, v62 src0_sel:BYTE_0 src1_sel:DWORD
	s_mov_b32 s16, -1
	s_and_saveexec_b32 s73, s74
; %bb.9408:                             ;   in Loop: Header=BB6_9081 Depth=3
	s_xor_b32 s16, exec_lo, -1
; %bb.9409:                             ;   in Loop: Header=BB6_9081 Depth=3
	s_or_b32 exec_lo, exec_lo, s73
	s_and_b32 s16, s16, exec_lo
	s_or_saveexec_b32 s23, s23
	v_mov_b32_e32 v17, 0x7f800001
	s_xor_b32 exec_lo, exec_lo, s23
	s_cbranch_execnz .LBB6_10304
.LBB6_9410:                             ;   in Loop: Header=BB6_9081 Depth=3
	s_or_b32 exec_lo, exec_lo, s23
	s_and_saveexec_b32 s23, s16
	s_cbranch_execz .LBB6_9412
.LBB6_9411:                             ;   in Loop: Header=BB6_9081 Depth=3
	v_and_b32_e32 v17, 7, v98
	v_lshrrev_b16 v87, 3, v98
	v_lshlrev_b32_e32 v112, 24, v98
	v_ffbh_u32_e32 v86, v17
	v_and_b32_e32 v87, 15, v87
	v_min_u32_e32 v86, 32, v86
	v_cmp_eq_u32_e32 vcc_lo, 0, v87
	v_subrev_nc_u32_e32 v99, 28, v86
	v_sub_nc_u32_e32 v86, 29, v86
	v_lshlrev_b32_e32 v99, v99, v98
	v_cndmask_b32_e32 v86, v87, v86, vcc_lo
	v_and_b32_e32 v87, 0x80000000, v112
	v_and_b32_e32 v99, 7, v99
	v_lshl_add_u32 v86, v86, 23, 0x3b800000
	v_cndmask_b32_e32 v17, v17, v99, vcc_lo
	v_lshlrev_b32_e32 v17, 20, v17
	v_or3_b32 v17, v87, v86, v17
.LBB6_9412:                             ;   in Loop: Header=BB6_9081 Depth=3
	s_or_b32 exec_lo, exec_lo, s23
	s_waitcnt vmcnt(22) lgkmcnt(22)
	v_cmp_gt_i16_sdwa s23, v1, v61 src0_sel:BYTE_0 src1_sel:DWORD
	s_mov_b32 s16, 0
	s_and_saveexec_b32 s73, s23
	s_xor_b32 s23, exec_lo, s73
	s_cbranch_execz .LBB6_10305
; %bb.9413:                             ;   in Loop: Header=BB6_9081 Depth=3
	v_cmp_eq_u16_sdwa s74, v1, v62 src0_sel:BYTE_0 src1_sel:DWORD
	s_mov_b32 s16, -1
	s_and_saveexec_b32 s73, s74
; %bb.9414:                             ;   in Loop: Header=BB6_9081 Depth=3
	s_xor_b32 s16, exec_lo, -1
; %bb.9415:                             ;   in Loop: Header=BB6_9081 Depth=3
	s_or_b32 exec_lo, exec_lo, s73
	s_and_b32 s16, s16, exec_lo
	s_or_saveexec_b32 s23, s23
	v_mov_b32_e32 v86, 0x7f800001
	s_xor_b32 exec_lo, exec_lo, s23
	s_cbranch_execnz .LBB6_10306
.LBB6_9416:                             ;   in Loop: Header=BB6_9081 Depth=3
	s_or_b32 exec_lo, exec_lo, s23
	s_and_saveexec_b32 s23, s16
	s_cbranch_execz .LBB6_9418
.LBB6_9417:                             ;   in Loop: Header=BB6_9081 Depth=3
	v_and_b32_e32 v86, 7, v1
	v_lshrrev_b16 v99, 3, v1
	v_lshlrev_b32_e32 v113, 24, v1
	v_ffbh_u32_e32 v87, v86
	v_and_b32_e32 v99, 15, v99
	v_min_u32_e32 v87, 32, v87
	v_cmp_eq_u32_e32 vcc_lo, 0, v99
	v_subrev_nc_u32_e32 v112, 28, v87
	v_sub_nc_u32_e32 v87, 29, v87
	v_lshlrev_b32_e32 v112, v112, v1
	v_cndmask_b32_e32 v87, v99, v87, vcc_lo
	v_and_b32_e32 v99, 0x80000000, v113
	v_and_b32_e32 v112, 7, v112
	v_lshl_add_u32 v87, v87, 23, 0x3b800000
	v_cndmask_b32_e32 v86, v86, v112, vcc_lo
	v_lshlrev_b32_e32 v86, 20, v86
	v_or3_b32 v86, v99, v87, v86
.LBB6_9418:                             ;   in Loop: Header=BB6_9081 Depth=3
	s_or_b32 exec_lo, exec_lo, s23
	v_max_f32_e32 v86, v86, v86
	v_max_f32_e32 v17, v17, v17
	s_mov_b32 s16, 0
	v_max_f32_e32 v17, v17, v86
.LBB6_9419:                             ;   in Loop: Header=BB6_9081 Depth=3
	s_and_b32 vcc_lo, exec_lo, s16
	s_cbranch_vccz .LBB6_9433
; %bb.9420:                             ;   in Loop: Header=BB6_9081 Depth=3
	v_cmp_gt_i16_sdwa s23, v98, v61 src0_sel:BYTE_0 src1_sel:DWORD
	s_mov_b32 s16, 0
	s_and_saveexec_b32 s73, s23
	s_xor_b32 s23, exec_lo, s73
	s_cbranch_execz .LBB6_10307
; %bb.9421:                             ;   in Loop: Header=BB6_9081 Depth=3
	v_cmp_eq_u16_sdwa s74, v98, v62 src0_sel:BYTE_0 src1_sel:DWORD
	s_mov_b32 s16, -1
	s_and_saveexec_b32 s73, s74
; %bb.9422:                             ;   in Loop: Header=BB6_9081 Depth=3
	s_xor_b32 s16, exec_lo, -1
; %bb.9423:                             ;   in Loop: Header=BB6_9081 Depth=3
	s_or_b32 exec_lo, exec_lo, s73
	s_and_b32 s16, s16, exec_lo
	s_or_saveexec_b32 s23, s23
	v_mov_b32_e32 v17, 0x7f800001
	s_xor_b32 exec_lo, exec_lo, s23
	s_cbranch_execnz .LBB6_10308
.LBB6_9424:                             ;   in Loop: Header=BB6_9081 Depth=3
	s_or_b32 exec_lo, exec_lo, s23
	s_and_saveexec_b32 s23, s16
	s_cbranch_execz .LBB6_9426
.LBB6_9425:                             ;   in Loop: Header=BB6_9081 Depth=3
	v_and_b32_e32 v17, 7, v98
	v_lshrrev_b16 v87, 3, v98
	v_ffbh_u32_e32 v86, v17
	v_and_b32_e32 v87, 15, v87
	v_min_u32_e32 v86, 32, v86
	v_cmp_eq_u32_e32 vcc_lo, 0, v87
	v_subrev_nc_u32_e32 v99, 28, v86
	v_sub_nc_u32_e32 v86, 29, v86
	v_lshlrev_b32_e32 v99, v99, v98
	v_lshlrev_b32_e32 v98, 24, v98
	v_cndmask_b32_e32 v86, v87, v86, vcc_lo
	v_and_b32_e32 v99, 7, v99
	v_and_b32_e32 v87, 0x80000000, v98
	v_lshl_add_u32 v86, v86, 23, 0x3b800000
	v_cndmask_b32_e32 v17, v17, v99, vcc_lo
	v_lshlrev_b32_e32 v17, 20, v17
	v_or3_b32 v17, v87, v86, v17
.LBB6_9426:                             ;   in Loop: Header=BB6_9081 Depth=3
	s_or_b32 exec_lo, exec_lo, s23
	s_waitcnt vmcnt(22) lgkmcnt(22)
	v_cmp_gt_i16_sdwa s23, v1, v61 src0_sel:BYTE_0 src1_sel:DWORD
	s_mov_b32 s16, 0
	s_and_saveexec_b32 s73, s23
	s_xor_b32 s23, exec_lo, s73
	s_cbranch_execz .LBB6_10309
; %bb.9427:                             ;   in Loop: Header=BB6_9081 Depth=3
	v_cmp_eq_u16_sdwa s74, v1, v62 src0_sel:BYTE_0 src1_sel:DWORD
	s_mov_b32 s16, -1
	s_and_saveexec_b32 s73, s74
; %bb.9428:                             ;   in Loop: Header=BB6_9081 Depth=3
	s_xor_b32 s16, exec_lo, -1
; %bb.9429:                             ;   in Loop: Header=BB6_9081 Depth=3
	s_or_b32 exec_lo, exec_lo, s73
	s_and_b32 s16, s16, exec_lo
	s_or_saveexec_b32 s23, s23
	v_mov_b32_e32 v86, 0x7f800001
	s_xor_b32 exec_lo, exec_lo, s23
	s_cbranch_execnz .LBB6_10310
.LBB6_9430:                             ;   in Loop: Header=BB6_9081 Depth=3
	s_or_b32 exec_lo, exec_lo, s23
	s_and_saveexec_b32 s23, s16
	s_cbranch_execz .LBB6_9432
.LBB6_9431:                             ;   in Loop: Header=BB6_9081 Depth=3
	v_and_b32_e32 v86, 7, v1
	v_lshrrev_b16 v98, 3, v1
	v_ffbh_u32_e32 v87, v86
	v_and_b32_e32 v98, 15, v98
	v_min_u32_e32 v87, 32, v87
	v_cmp_eq_u32_e32 vcc_lo, 0, v98
	v_subrev_nc_u32_e32 v99, 28, v87
	v_sub_nc_u32_e32 v87, 29, v87
	v_lshlrev_b32_e32 v99, v99, v1
	v_lshlrev_b32_e32 v1, 24, v1
	v_cndmask_b32_e32 v87, v98, v87, vcc_lo
	v_and_b32_e32 v99, 7, v99
	v_and_b32_e32 v1, 0x80000000, v1
	v_lshl_add_u32 v87, v87, 23, 0x3b800000
	v_cndmask_b32_e32 v86, v86, v99, vcc_lo
	v_lshlrev_b32_e32 v86, 20, v86
	v_or3_b32 v86, v1, v87, v86
.LBB6_9432:                             ;   in Loop: Header=BB6_9081 Depth=3
	s_or_b32 exec_lo, exec_lo, s23
	v_max_f32_e32 v1, v86, v86
	v_max_f32_e32 v17, v17, v17
	v_min_f32_e32 v17, v17, v1
.LBB6_9433:                             ;   in Loop: Header=BB6_9081 Depth=3
	s_waitcnt vmcnt(22) lgkmcnt(22)
	v_and_b32_e32 v1, 0x7f800000, v17
	v_cmp_ne_u32_e32 vcc_lo, 0x7f800000, v1
	v_mov_b32_e32 v1, 0x80
	s_and_saveexec_b32 s23, vcc_lo
	s_cbranch_execz .LBB6_9441
; %bb.9434:                             ;   in Loop: Header=BB6_9081 Depth=3
	v_mov_b32_e32 v1, 0
	s_mov_b32 s73, exec_lo
	v_cmpx_ne_u32_e32 0, v17
	s_cbranch_execz .LBB6_9440
; %bb.9435:                             ;   in Loop: Header=BB6_9081 Depth=3
	v_bfe_u32 v86, v17, 23, 8
	v_and_b32_e32 v1, 0x7fffff, v17
                                        ; implicit-def: $vgpr112
	v_cmp_gt_u32_e64 s16, 0x79, v86
	v_sub_nc_u32_e32 v87, 0x78, v86
	v_cmp_eq_u32_e32 vcc_lo, 0, v86
	v_or_b32_e32 v98, 0x800000, v1
	v_cndmask_b32_e64 v87, 0, v87, s16
	v_cndmask_b32_e32 v1, v98, v1, vcc_lo
	v_cndmask_b32_e64 v87, v87, 0x77, vcc_lo
	v_lshl_add_u32 v98, 0x100000, v87, -1
	v_lshlrev_b32_e64 v99, v87, 0x80000
	v_and_b32_e32 v98, v98, v1
	v_cmp_eq_u32_e64 s16, v98, v99
	v_lshrrev_b32_e32 v99, v87, v1
	v_add_nc_u32_e32 v1, 0xffffff89, v86
	v_lshrrev_b32_e32 v86, 23, v99
	v_cndmask_b32_e64 v1, v1, 0xffffff8a, vcc_lo
	v_xor_b32_e32 v98, 1, v86
	v_bfe_u32 v86, v99, 20, 1
	v_add_nc_u32_e32 v1, v87, v1
	v_add_nc_u32_e32 v86, -1, v86
	v_cndmask_b32_e64 v86, 0, v86, s16
	s_mov_b32 s16, exec_lo
	v_add_nc_u32_e32 v86, v86, v99
	v_and_b32_e32 v86, 0xfffff, v86
	v_add_nc_u32_e32 v99, v86, v99
	v_cmpx_ne_u32_e64 v1, v98
	s_xor_b32 s16, exec_lo, s16
; %bb.9436:                             ;   in Loop: Header=BB6_9081 Depth=3
	v_cmp_lt_u32_e32 vcc_lo, 0xffffff, v99
	v_sub_nc_u32_e32 v1, v1, v98
	v_cndmask_b32_e64 v86, 0, 1, vcc_lo
	v_add_co_ci_u32_e64 v112, null, 0, v1, vcc_lo
	v_lshrrev_b32_e32 v99, v86, v99
; %bb.9437:                             ;   in Loop: Header=BB6_9081 Depth=3
	s_andn2_saveexec_b32 s16, s16
; %bb.9438:                             ;   in Loop: Header=BB6_9081 Depth=3
	v_bfe_u32 v112, v99, 23, 1
; %bb.9439:                             ;   in Loop: Header=BB6_9081 Depth=3
	s_or_b32 exec_lo, exec_lo, s16
	v_and_b32_sdwa v1, v17, v62 dst_sel:DWORD dst_unused:UNUSED_PAD src0_sel:BYTE_3 src1_sel:DWORD
	v_lshrrev_b32_e32 v17, 20, v99
	v_cmp_gt_i32_e32 vcc_lo, 16, v112
	v_min_i32_e32 v86, 15, v112
	v_cndmask_b32_e32 v17, 7, v17, vcc_lo
	v_lshlrev_b32_e32 v86, 3, v86
	v_or_b32_e32 v87, v112, v17
	v_and_b32_e32 v17, 7, v17
	v_cmp_ne_u32_e32 vcc_lo, 0, v87
	v_or3_b32 v1, v86, v1, v17
	v_cndmask_b32_e32 v1, 0, v1, vcc_lo
.LBB6_9440:                             ;   in Loop: Header=BB6_9081 Depth=3
	s_or_b32 exec_lo, exec_lo, s73
.LBB6_9441:                             ;   in Loop: Header=BB6_9081 Depth=3
	s_or_b32 exec_lo, exec_lo, s23
	v_cmp_gt_i16_sdwa s23, v109, v61 src0_sel:BYTE_0 src1_sel:DWORD
	s_andn2_b32 vcc_lo, exec_lo, s19
	s_mov_b32 s16, -1
                                        ; implicit-def: $vgpr17
	s_cbranch_vccnz .LBB6_9455
; %bb.9442:                             ;   in Loop: Header=BB6_9081 Depth=3
	s_mov_b32 s16, 0
	s_and_saveexec_b32 s73, s23
	s_xor_b32 s23, exec_lo, s73
	s_cbranch_execz .LBB6_10311
; %bb.9443:                             ;   in Loop: Header=BB6_9081 Depth=3
	v_cmp_eq_u16_sdwa s74, v109, v62 src0_sel:BYTE_0 src1_sel:DWORD
	s_mov_b32 s16, -1
	s_and_saveexec_b32 s73, s74
; %bb.9444:                             ;   in Loop: Header=BB6_9081 Depth=3
	s_xor_b32 s16, exec_lo, -1
; %bb.9445:                             ;   in Loop: Header=BB6_9081 Depth=3
	s_or_b32 exec_lo, exec_lo, s73
	s_and_b32 s16, s16, exec_lo
	s_or_saveexec_b32 s23, s23
	v_mov_b32_e32 v17, 0x7f800001
	s_xor_b32 exec_lo, exec_lo, s23
	s_cbranch_execnz .LBB6_10312
.LBB6_9446:                             ;   in Loop: Header=BB6_9081 Depth=3
	s_or_b32 exec_lo, exec_lo, s23
	s_and_saveexec_b32 s23, s16
	s_cbranch_execz .LBB6_9448
.LBB6_9447:                             ;   in Loop: Header=BB6_9081 Depth=3
	v_and_b32_e32 v17, 7, v109
	v_lshrrev_b16 v87, 3, v109
	v_lshlrev_b32_e32 v99, 24, v109
	v_ffbh_u32_e32 v86, v17
	v_and_b32_e32 v87, 15, v87
	v_min_u32_e32 v86, 32, v86
	v_cmp_eq_u32_e32 vcc_lo, 0, v87
	v_subrev_nc_u32_e32 v98, 28, v86
	v_sub_nc_u32_e32 v86, 29, v86
	v_lshlrev_b32_e32 v98, v98, v109
	v_cndmask_b32_e32 v86, v87, v86, vcc_lo
	v_and_b32_e32 v87, 0x80000000, v99
	v_and_b32_e32 v98, 7, v98
	v_lshl_add_u32 v86, v86, 23, 0x3b800000
	v_cndmask_b32_e32 v17, v17, v98, vcc_lo
	v_lshlrev_b32_e32 v17, 20, v17
	v_or3_b32 v17, v87, v86, v17
.LBB6_9448:                             ;   in Loop: Header=BB6_9081 Depth=3
	s_or_b32 exec_lo, exec_lo, s23
	s_waitcnt vmcnt(21) lgkmcnt(21)
	v_cmp_gt_i16_sdwa s23, v85, v61 src0_sel:BYTE_0 src1_sel:DWORD
	s_mov_b32 s16, 0
	s_and_saveexec_b32 s73, s23
	s_xor_b32 s23, exec_lo, s73
	s_cbranch_execz .LBB6_10313
; %bb.9449:                             ;   in Loop: Header=BB6_9081 Depth=3
	v_cmp_eq_u16_sdwa s74, v85, v62 src0_sel:BYTE_0 src1_sel:DWORD
	s_mov_b32 s16, -1
	s_and_saveexec_b32 s73, s74
; %bb.9450:                             ;   in Loop: Header=BB6_9081 Depth=3
	s_xor_b32 s16, exec_lo, -1
; %bb.9451:                             ;   in Loop: Header=BB6_9081 Depth=3
	s_or_b32 exec_lo, exec_lo, s73
	s_and_b32 s16, s16, exec_lo
	s_or_saveexec_b32 s23, s23
	v_mov_b32_e32 v86, 0x7f800001
	s_xor_b32 exec_lo, exec_lo, s23
	s_cbranch_execnz .LBB6_10314
.LBB6_9452:                             ;   in Loop: Header=BB6_9081 Depth=3
	s_or_b32 exec_lo, exec_lo, s23
	s_and_saveexec_b32 s23, s16
	s_cbranch_execz .LBB6_9454
.LBB6_9453:                             ;   in Loop: Header=BB6_9081 Depth=3
	v_and_b32_e32 v86, 7, v85
	v_lshrrev_b16 v98, 3, v85
	v_lshlrev_b32_e32 v112, 24, v85
	v_ffbh_u32_e32 v87, v86
	v_and_b32_e32 v98, 15, v98
	v_min_u32_e32 v87, 32, v87
	v_cmp_eq_u32_e32 vcc_lo, 0, v98
	v_subrev_nc_u32_e32 v99, 28, v87
	v_sub_nc_u32_e32 v87, 29, v87
	v_lshlrev_b32_e32 v99, v99, v85
	v_cndmask_b32_e32 v87, v98, v87, vcc_lo
	v_and_b32_e32 v98, 0x80000000, v112
	v_and_b32_e32 v99, 7, v99
	v_lshl_add_u32 v87, v87, 23, 0x3b800000
	v_cndmask_b32_e32 v86, v86, v99, vcc_lo
	v_lshlrev_b32_e32 v86, 20, v86
	v_or3_b32 v86, v98, v87, v86
.LBB6_9454:                             ;   in Loop: Header=BB6_9081 Depth=3
	s_or_b32 exec_lo, exec_lo, s23
	v_max_f32_e32 v86, v86, v86
	v_max_f32_e32 v17, v17, v17
	s_mov_b32 s16, 0
	v_max_f32_e32 v17, v17, v86
.LBB6_9455:                             ;   in Loop: Header=BB6_9081 Depth=3
	s_and_b32 vcc_lo, exec_lo, s16
	s_cbranch_vccz .LBB6_9469
; %bb.9456:                             ;   in Loop: Header=BB6_9081 Depth=3
	v_cmp_gt_i16_sdwa s23, v109, v61 src0_sel:BYTE_0 src1_sel:DWORD
	s_mov_b32 s16, 0
	s_and_saveexec_b32 s73, s23
	s_xor_b32 s23, exec_lo, s73
	s_cbranch_execz .LBB6_10315
; %bb.9457:                             ;   in Loop: Header=BB6_9081 Depth=3
	v_cmp_eq_u16_sdwa s74, v109, v62 src0_sel:BYTE_0 src1_sel:DWORD
	s_mov_b32 s16, -1
	s_and_saveexec_b32 s73, s74
; %bb.9458:                             ;   in Loop: Header=BB6_9081 Depth=3
	s_xor_b32 s16, exec_lo, -1
; %bb.9459:                             ;   in Loop: Header=BB6_9081 Depth=3
	s_or_b32 exec_lo, exec_lo, s73
	s_and_b32 s16, s16, exec_lo
	s_or_saveexec_b32 s23, s23
	v_mov_b32_e32 v17, 0x7f800001
	s_xor_b32 exec_lo, exec_lo, s23
	s_cbranch_execnz .LBB6_10316
.LBB6_9460:                             ;   in Loop: Header=BB6_9081 Depth=3
	s_or_b32 exec_lo, exec_lo, s23
	s_and_saveexec_b32 s23, s16
	s_cbranch_execz .LBB6_9462
.LBB6_9461:                             ;   in Loop: Header=BB6_9081 Depth=3
	v_and_b32_e32 v17, 7, v109
	v_lshrrev_b16 v87, 3, v109
	v_lshlrev_b32_e32 v99, 24, v109
	v_ffbh_u32_e32 v86, v17
	v_and_b32_e32 v87, 15, v87
	v_min_u32_e32 v86, 32, v86
	v_cmp_eq_u32_e32 vcc_lo, 0, v87
	v_subrev_nc_u32_e32 v98, 28, v86
	v_sub_nc_u32_e32 v86, 29, v86
	v_lshlrev_b32_e32 v98, v98, v109
	v_cndmask_b32_e32 v86, v87, v86, vcc_lo
	v_and_b32_e32 v87, 0x80000000, v99
	v_and_b32_e32 v98, 7, v98
	v_lshl_add_u32 v86, v86, 23, 0x3b800000
	v_cndmask_b32_e32 v17, v17, v98, vcc_lo
	v_lshlrev_b32_e32 v17, 20, v17
	v_or3_b32 v17, v87, v86, v17
.LBB6_9462:                             ;   in Loop: Header=BB6_9081 Depth=3
	s_or_b32 exec_lo, exec_lo, s23
	s_waitcnt vmcnt(21) lgkmcnt(21)
	v_cmp_gt_i16_sdwa s23, v85, v61 src0_sel:BYTE_0 src1_sel:DWORD
	s_mov_b32 s16, 0
	s_and_saveexec_b32 s73, s23
	s_xor_b32 s23, exec_lo, s73
	s_cbranch_execz .LBB6_10317
; %bb.9463:                             ;   in Loop: Header=BB6_9081 Depth=3
	v_cmp_eq_u16_sdwa s74, v85, v62 src0_sel:BYTE_0 src1_sel:DWORD
	s_mov_b32 s16, -1
	s_and_saveexec_b32 s73, s74
; %bb.9464:                             ;   in Loop: Header=BB6_9081 Depth=3
	s_xor_b32 s16, exec_lo, -1
; %bb.9465:                             ;   in Loop: Header=BB6_9081 Depth=3
	s_or_b32 exec_lo, exec_lo, s73
	s_and_b32 s16, s16, exec_lo
	s_or_saveexec_b32 s23, s23
	v_mov_b32_e32 v86, 0x7f800001
	s_xor_b32 exec_lo, exec_lo, s23
	s_cbranch_execnz .LBB6_10318
.LBB6_9466:                             ;   in Loop: Header=BB6_9081 Depth=3
	s_or_b32 exec_lo, exec_lo, s23
	s_and_saveexec_b32 s23, s16
	s_cbranch_execz .LBB6_9468
.LBB6_9467:                             ;   in Loop: Header=BB6_9081 Depth=3
	v_and_b32_e32 v86, 7, v85
	v_lshrrev_b16 v98, 3, v85
	v_ffbh_u32_e32 v87, v86
	v_and_b32_e32 v98, 15, v98
	v_min_u32_e32 v87, 32, v87
	v_cmp_eq_u32_e32 vcc_lo, 0, v98
	v_subrev_nc_u32_e32 v99, 28, v87
	v_sub_nc_u32_e32 v87, 29, v87
	v_lshlrev_b32_e32 v99, v99, v85
	v_lshlrev_b32_e32 v85, 24, v85
	v_cndmask_b32_e32 v87, v98, v87, vcc_lo
	v_and_b32_e32 v99, 7, v99
	v_and_b32_e32 v85, 0x80000000, v85
	v_lshl_add_u32 v87, v87, 23, 0x3b800000
	v_cndmask_b32_e32 v86, v86, v99, vcc_lo
	v_lshlrev_b32_e32 v86, 20, v86
	v_or3_b32 v86, v85, v87, v86
.LBB6_9468:                             ;   in Loop: Header=BB6_9081 Depth=3
	s_or_b32 exec_lo, exec_lo, s23
	v_max_f32_e32 v85, v86, v86
	v_max_f32_e32 v17, v17, v17
	v_min_f32_e32 v17, v17, v85
.LBB6_9469:                             ;   in Loop: Header=BB6_9081 Depth=3
	s_waitcnt vmcnt(21) lgkmcnt(21)
	v_and_b32_e32 v85, 0x7f800000, v17
	v_cmp_ne_u32_e32 vcc_lo, 0x7f800000, v85
	v_mov_b32_e32 v85, 0x80
	s_and_saveexec_b32 s23, vcc_lo
	s_cbranch_execz .LBB6_9477
; %bb.9470:                             ;   in Loop: Header=BB6_9081 Depth=3
	v_mov_b32_e32 v85, 0
	s_mov_b32 s73, exec_lo
	v_cmpx_ne_u32_e32 0, v17
	s_cbranch_execz .LBB6_9476
; %bb.9471:                             ;   in Loop: Header=BB6_9081 Depth=3
	v_bfe_u32 v86, v17, 23, 8
	v_and_b32_e32 v85, 0x7fffff, v17
                                        ; implicit-def: $vgpr112
	v_cmp_gt_u32_e64 s16, 0x79, v86
	v_sub_nc_u32_e32 v87, 0x78, v86
	v_cmp_eq_u32_e32 vcc_lo, 0, v86
	v_or_b32_e32 v98, 0x800000, v85
	v_cndmask_b32_e64 v87, 0, v87, s16
	v_cndmask_b32_e32 v85, v98, v85, vcc_lo
	v_cndmask_b32_e64 v87, v87, 0x77, vcc_lo
	v_lshl_add_u32 v98, 0x100000, v87, -1
	v_lshlrev_b32_e64 v99, v87, 0x80000
	v_and_b32_e32 v98, v98, v85
	v_cmp_eq_u32_e64 s16, v98, v99
	v_lshrrev_b32_e32 v99, v87, v85
	v_add_nc_u32_e32 v85, 0xffffff89, v86
	v_lshrrev_b32_e32 v86, 23, v99
	v_cndmask_b32_e64 v85, v85, 0xffffff8a, vcc_lo
	v_xor_b32_e32 v98, 1, v86
	v_bfe_u32 v86, v99, 20, 1
	v_add_nc_u32_e32 v85, v87, v85
	v_add_nc_u32_e32 v86, -1, v86
	v_cndmask_b32_e64 v86, 0, v86, s16
	s_mov_b32 s16, exec_lo
	v_add_nc_u32_e32 v86, v86, v99
	v_and_b32_e32 v86, 0xfffff, v86
	v_add_nc_u32_e32 v99, v86, v99
	v_cmpx_ne_u32_e64 v85, v98
	s_xor_b32 s16, exec_lo, s16
; %bb.9472:                             ;   in Loop: Header=BB6_9081 Depth=3
	v_cmp_lt_u32_e32 vcc_lo, 0xffffff, v99
	v_sub_nc_u32_e32 v85, v85, v98
	v_cndmask_b32_e64 v86, 0, 1, vcc_lo
	v_add_co_ci_u32_e64 v112, null, 0, v85, vcc_lo
	v_lshrrev_b32_e32 v99, v86, v99
; %bb.9473:                             ;   in Loop: Header=BB6_9081 Depth=3
	s_andn2_saveexec_b32 s16, s16
; %bb.9474:                             ;   in Loop: Header=BB6_9081 Depth=3
	v_bfe_u32 v112, v99, 23, 1
; %bb.9475:                             ;   in Loop: Header=BB6_9081 Depth=3
	s_or_b32 exec_lo, exec_lo, s16
	v_lshrrev_b32_e32 v85, 20, v99
	v_cmp_gt_i32_e32 vcc_lo, 16, v112
	v_min_i32_e32 v86, 15, v112
	v_and_b32_sdwa v17, v17, v62 dst_sel:DWORD dst_unused:UNUSED_PAD src0_sel:BYTE_3 src1_sel:DWORD
	v_cndmask_b32_e32 v85, 7, v85, vcc_lo
	v_lshlrev_b32_e32 v86, 3, v86
	v_or_b32_e32 v87, v112, v85
	v_and_b32_e32 v85, 7, v85
	v_cmp_ne_u32_e32 vcc_lo, 0, v87
	v_or3_b32 v17, v86, v17, v85
	v_cndmask_b32_e32 v85, 0, v17, vcc_lo
.LBB6_9476:                             ;   in Loop: Header=BB6_9081 Depth=3
	s_or_b32 exec_lo, exec_lo, s73
.LBB6_9477:                             ;   in Loop: Header=BB6_9081 Depth=3
	s_or_b32 exec_lo, exec_lo, s23
	v_cmp_gt_i16_sdwa s23, v123, v61 src0_sel:BYTE_0 src1_sel:DWORD
	s_andn2_b32 vcc_lo, exec_lo, s19
	s_mov_b32 s16, -1
                                        ; implicit-def: $vgpr17
	s_cbranch_vccnz .LBB6_9491
; %bb.9478:                             ;   in Loop: Header=BB6_9081 Depth=3
	s_mov_b32 s16, 0
	s_and_saveexec_b32 s73, s23
	s_xor_b32 s23, exec_lo, s73
	s_cbranch_execz .LBB6_10319
; %bb.9479:                             ;   in Loop: Header=BB6_9081 Depth=3
	v_cmp_eq_u16_sdwa s74, v123, v62 src0_sel:BYTE_0 src1_sel:DWORD
	s_mov_b32 s16, -1
	s_and_saveexec_b32 s73, s74
; %bb.9480:                             ;   in Loop: Header=BB6_9081 Depth=3
	s_xor_b32 s16, exec_lo, -1
; %bb.9481:                             ;   in Loop: Header=BB6_9081 Depth=3
	s_or_b32 exec_lo, exec_lo, s73
	s_and_b32 s16, s16, exec_lo
	s_or_saveexec_b32 s23, s23
	v_mov_b32_e32 v17, 0x7f800001
	s_xor_b32 exec_lo, exec_lo, s23
	s_cbranch_execnz .LBB6_10320
.LBB6_9482:                             ;   in Loop: Header=BB6_9081 Depth=3
	s_or_b32 exec_lo, exec_lo, s23
	s_and_saveexec_b32 s23, s16
	s_cbranch_execz .LBB6_9484
.LBB6_9483:                             ;   in Loop: Header=BB6_9081 Depth=3
	v_and_b32_e32 v17, 7, v123
	v_lshrrev_b16 v87, 3, v123
	v_lshlrev_b32_e32 v99, 24, v123
	v_ffbh_u32_e32 v86, v17
	v_and_b32_e32 v87, 15, v87
	v_min_u32_e32 v86, 32, v86
	v_cmp_eq_u32_e32 vcc_lo, 0, v87
	v_subrev_nc_u32_e32 v98, 28, v86
	v_sub_nc_u32_e32 v86, 29, v86
	v_lshlrev_b32_e32 v98, v98, v123
	v_cndmask_b32_e32 v86, v87, v86, vcc_lo
	v_and_b32_e32 v87, 0x80000000, v99
	v_and_b32_e32 v98, 7, v98
	v_lshl_add_u32 v86, v86, 23, 0x3b800000
	v_cndmask_b32_e32 v17, v17, v98, vcc_lo
	v_lshlrev_b32_e32 v17, 20, v17
	v_or3_b32 v17, v87, v86, v17
.LBB6_9484:                             ;   in Loop: Header=BB6_9081 Depth=3
	s_or_b32 exec_lo, exec_lo, s23
	s_waitcnt vmcnt(20) lgkmcnt(20)
	v_cmp_gt_i16_sdwa s23, v116, v61 src0_sel:BYTE_0 src1_sel:DWORD
	s_mov_b32 s16, 0
	s_and_saveexec_b32 s73, s23
	s_xor_b32 s23, exec_lo, s73
	s_cbranch_execz .LBB6_10321
; %bb.9485:                             ;   in Loop: Header=BB6_9081 Depth=3
	v_cmp_eq_u16_sdwa s74, v116, v62 src0_sel:BYTE_0 src1_sel:DWORD
	s_mov_b32 s16, -1
	s_and_saveexec_b32 s73, s74
; %bb.9486:                             ;   in Loop: Header=BB6_9081 Depth=3
	s_xor_b32 s16, exec_lo, -1
; %bb.9487:                             ;   in Loop: Header=BB6_9081 Depth=3
	s_or_b32 exec_lo, exec_lo, s73
	s_and_b32 s16, s16, exec_lo
	s_or_saveexec_b32 s23, s23
	v_mov_b32_e32 v86, 0x7f800001
	s_xor_b32 exec_lo, exec_lo, s23
	s_cbranch_execnz .LBB6_10322
.LBB6_9488:                             ;   in Loop: Header=BB6_9081 Depth=3
	s_or_b32 exec_lo, exec_lo, s23
	s_and_saveexec_b32 s23, s16
	s_cbranch_execz .LBB6_9490
.LBB6_9489:                             ;   in Loop: Header=BB6_9081 Depth=3
	v_and_b32_e32 v86, 7, v116
	v_lshrrev_b16 v98, 3, v116
	v_lshlrev_b32_e32 v112, 24, v116
	v_ffbh_u32_e32 v87, v86
	v_and_b32_e32 v98, 15, v98
	v_min_u32_e32 v87, 32, v87
	v_cmp_eq_u32_e32 vcc_lo, 0, v98
	v_subrev_nc_u32_e32 v99, 28, v87
	v_sub_nc_u32_e32 v87, 29, v87
	v_lshlrev_b32_e32 v99, v99, v116
	v_cndmask_b32_e32 v87, v98, v87, vcc_lo
	v_and_b32_e32 v98, 0x80000000, v112
	v_and_b32_e32 v99, 7, v99
	v_lshl_add_u32 v87, v87, 23, 0x3b800000
	v_cndmask_b32_e32 v86, v86, v99, vcc_lo
	v_lshlrev_b32_e32 v86, 20, v86
	v_or3_b32 v86, v98, v87, v86
.LBB6_9490:                             ;   in Loop: Header=BB6_9081 Depth=3
	s_or_b32 exec_lo, exec_lo, s23
	v_max_f32_e32 v86, v86, v86
	v_max_f32_e32 v17, v17, v17
	s_mov_b32 s16, 0
	v_max_f32_e32 v17, v17, v86
.LBB6_9491:                             ;   in Loop: Header=BB6_9081 Depth=3
	s_and_b32 vcc_lo, exec_lo, s16
	s_cbranch_vccz .LBB6_9505
; %bb.9492:                             ;   in Loop: Header=BB6_9081 Depth=3
	v_cmp_gt_i16_sdwa s23, v123, v61 src0_sel:BYTE_0 src1_sel:DWORD
	s_mov_b32 s16, 0
	s_and_saveexec_b32 s73, s23
	s_xor_b32 s23, exec_lo, s73
	s_cbranch_execz .LBB6_10323
; %bb.9493:                             ;   in Loop: Header=BB6_9081 Depth=3
	v_cmp_eq_u16_sdwa s74, v123, v62 src0_sel:BYTE_0 src1_sel:DWORD
	s_mov_b32 s16, -1
	s_and_saveexec_b32 s73, s74
; %bb.9494:                             ;   in Loop: Header=BB6_9081 Depth=3
	s_xor_b32 s16, exec_lo, -1
; %bb.9495:                             ;   in Loop: Header=BB6_9081 Depth=3
	s_or_b32 exec_lo, exec_lo, s73
	s_and_b32 s16, s16, exec_lo
	s_or_saveexec_b32 s23, s23
	v_mov_b32_e32 v17, 0x7f800001
	s_xor_b32 exec_lo, exec_lo, s23
	s_cbranch_execnz .LBB6_10324
.LBB6_9496:                             ;   in Loop: Header=BB6_9081 Depth=3
	s_or_b32 exec_lo, exec_lo, s23
	s_and_saveexec_b32 s23, s16
	s_cbranch_execz .LBB6_9498
.LBB6_9497:                             ;   in Loop: Header=BB6_9081 Depth=3
	v_and_b32_e32 v17, 7, v123
	v_lshrrev_b16 v87, 3, v123
	v_lshlrev_b32_e32 v99, 24, v123
	v_ffbh_u32_e32 v86, v17
	v_and_b32_e32 v87, 15, v87
	v_min_u32_e32 v86, 32, v86
	v_cmp_eq_u32_e32 vcc_lo, 0, v87
	v_subrev_nc_u32_e32 v98, 28, v86
	v_sub_nc_u32_e32 v86, 29, v86
	v_lshlrev_b32_e32 v98, v98, v123
	v_cndmask_b32_e32 v86, v87, v86, vcc_lo
	v_and_b32_e32 v87, 0x80000000, v99
	v_and_b32_e32 v98, 7, v98
	v_lshl_add_u32 v86, v86, 23, 0x3b800000
	v_cndmask_b32_e32 v17, v17, v98, vcc_lo
	v_lshlrev_b32_e32 v17, 20, v17
	v_or3_b32 v17, v87, v86, v17
.LBB6_9498:                             ;   in Loop: Header=BB6_9081 Depth=3
	s_or_b32 exec_lo, exec_lo, s23
	s_waitcnt vmcnt(20) lgkmcnt(20)
	v_cmp_gt_i16_sdwa s23, v116, v61 src0_sel:BYTE_0 src1_sel:DWORD
	s_mov_b32 s16, 0
	s_and_saveexec_b32 s73, s23
	s_xor_b32 s23, exec_lo, s73
	s_cbranch_execz .LBB6_10325
; %bb.9499:                             ;   in Loop: Header=BB6_9081 Depth=3
	v_cmp_eq_u16_sdwa s74, v116, v62 src0_sel:BYTE_0 src1_sel:DWORD
	s_mov_b32 s16, -1
	s_and_saveexec_b32 s73, s74
; %bb.9500:                             ;   in Loop: Header=BB6_9081 Depth=3
	s_xor_b32 s16, exec_lo, -1
; %bb.9501:                             ;   in Loop: Header=BB6_9081 Depth=3
	s_or_b32 exec_lo, exec_lo, s73
	s_and_b32 s16, s16, exec_lo
	s_or_saveexec_b32 s23, s23
	v_mov_b32_e32 v86, 0x7f800001
	s_xor_b32 exec_lo, exec_lo, s23
	s_cbranch_execnz .LBB6_10326
.LBB6_9502:                             ;   in Loop: Header=BB6_9081 Depth=3
	s_or_b32 exec_lo, exec_lo, s23
	s_and_saveexec_b32 s23, s16
	s_cbranch_execz .LBB6_9504
.LBB6_9503:                             ;   in Loop: Header=BB6_9081 Depth=3
	v_and_b32_e32 v86, 7, v116
	v_lshrrev_b16 v98, 3, v116
	v_lshlrev_b32_e32 v112, 24, v116
	v_ffbh_u32_e32 v87, v86
	v_and_b32_e32 v98, 15, v98
	v_min_u32_e32 v87, 32, v87
	v_cmp_eq_u32_e32 vcc_lo, 0, v98
	v_subrev_nc_u32_e32 v99, 28, v87
	v_sub_nc_u32_e32 v87, 29, v87
	v_lshlrev_b32_e32 v99, v99, v116
	v_cndmask_b32_e32 v87, v98, v87, vcc_lo
	v_and_b32_e32 v98, 0x80000000, v112
	v_and_b32_e32 v99, 7, v99
	v_lshl_add_u32 v87, v87, 23, 0x3b800000
	v_cndmask_b32_e32 v86, v86, v99, vcc_lo
	v_lshlrev_b32_e32 v86, 20, v86
	v_or3_b32 v86, v98, v87, v86
.LBB6_9504:                             ;   in Loop: Header=BB6_9081 Depth=3
	s_or_b32 exec_lo, exec_lo, s23
	v_max_f32_e32 v86, v86, v86
	v_max_f32_e32 v17, v17, v17
	v_min_f32_e32 v17, v17, v86
.LBB6_9505:                             ;   in Loop: Header=BB6_9081 Depth=3
	v_and_b32_e32 v86, 0x7f800000, v17
	s_waitcnt vmcnt(20) lgkmcnt(20)
	v_mov_b32_e32 v116, 0x80
	s_mov_b32 s23, exec_lo
	v_cmpx_ne_u32_e32 0x7f800000, v86
	s_cbranch_execz .LBB6_9513
; %bb.9506:                             ;   in Loop: Header=BB6_9081 Depth=3
	v_mov_b32_e32 v116, 0
	s_mov_b32 s73, exec_lo
	v_cmpx_ne_u32_e32 0, v17
	s_cbranch_execz .LBB6_9512
; %bb.9507:                             ;   in Loop: Header=BB6_9081 Depth=3
	v_bfe_u32 v87, v17, 23, 8
	v_and_b32_e32 v86, 0x7fffff, v17
                                        ; implicit-def: $vgpr113
	v_cmp_gt_u32_e64 s16, 0x79, v87
	v_sub_nc_u32_e32 v98, 0x78, v87
	v_cmp_eq_u32_e32 vcc_lo, 0, v87
	v_or_b32_e32 v99, 0x800000, v86
	v_add_nc_u32_e32 v87, 0xffffff89, v87
	v_cndmask_b32_e64 v98, 0, v98, s16
	v_cndmask_b32_e32 v86, v99, v86, vcc_lo
	v_cndmask_b32_e64 v87, v87, 0xffffff8a, vcc_lo
	v_cndmask_b32_e64 v98, v98, 0x77, vcc_lo
	v_lshl_add_u32 v99, 0x100000, v98, -1
	v_lshlrev_b32_e64 v112, v98, 0x80000
	v_and_b32_e32 v99, v99, v86
	v_lshrrev_b32_e32 v86, v98, v86
	v_add_nc_u32_e32 v98, v98, v87
	v_cmp_eq_u32_e64 s16, v99, v112
	v_lshrrev_b32_e32 v87, 23, v86
	v_xor_b32_e32 v99, 1, v87
	v_bfe_u32 v87, v86, 20, 1
	v_add_nc_u32_e32 v87, -1, v87
	v_cndmask_b32_e64 v87, 0, v87, s16
	s_mov_b32 s16, exec_lo
	v_add_nc_u32_e32 v87, v87, v86
	v_and_b32_e32 v87, 0xfffff, v87
	v_add_nc_u32_e32 v112, v87, v86
	v_cmpx_ne_u32_e64 v98, v99
	s_xor_b32 s16, exec_lo, s16
; %bb.9508:                             ;   in Loop: Header=BB6_9081 Depth=3
	v_cmp_lt_u32_e32 vcc_lo, 0xffffff, v112
	v_sub_nc_u32_e32 v86, v98, v99
	v_cndmask_b32_e64 v87, 0, 1, vcc_lo
	v_add_co_ci_u32_e64 v113, null, 0, v86, vcc_lo
	v_lshrrev_b32_e32 v112, v87, v112
; %bb.9509:                             ;   in Loop: Header=BB6_9081 Depth=3
	s_andn2_saveexec_b32 s16, s16
; %bb.9510:                             ;   in Loop: Header=BB6_9081 Depth=3
	v_bfe_u32 v113, v112, 23, 1
; %bb.9511:                             ;   in Loop: Header=BB6_9081 Depth=3
	s_or_b32 exec_lo, exec_lo, s16
	v_lshrrev_b32_e32 v86, 20, v112
	v_cmp_gt_i32_e32 vcc_lo, 16, v113
	v_min_i32_e32 v87, 15, v113
	v_and_b32_sdwa v17, v17, v62 dst_sel:DWORD dst_unused:UNUSED_PAD src0_sel:BYTE_3 src1_sel:DWORD
	v_cndmask_b32_e32 v86, 7, v86, vcc_lo
	v_lshlrev_b32_e32 v87, 3, v87
	v_or_b32_e32 v98, v113, v86
	v_and_b32_e32 v86, 7, v86
	v_cmp_ne_u32_e32 vcc_lo, 0, v98
	v_or3_b32 v17, v87, v17, v86
	v_cndmask_b32_e32 v116, 0, v17, vcc_lo
.LBB6_9512:                             ;   in Loop: Header=BB6_9081 Depth=3
	s_or_b32 exec_lo, exec_lo, s73
.LBB6_9513:                             ;   in Loop: Header=BB6_9081 Depth=3
	s_or_b32 exec_lo, exec_lo, s23
	v_cmp_gt_i16_sdwa s23, v122, v61 src0_sel:BYTE_0 src1_sel:DWORD
	s_andn2_b32 vcc_lo, exec_lo, s19
	s_mov_b32 s16, -1
                                        ; implicit-def: $vgpr17
	s_cbranch_vccnz .LBB6_9527
; %bb.9514:                             ;   in Loop: Header=BB6_9081 Depth=3
	s_mov_b32 s16, 0
	s_and_saveexec_b32 s73, s23
	s_xor_b32 s23, exec_lo, s73
	s_cbranch_execz .LBB6_10327
; %bb.9515:                             ;   in Loop: Header=BB6_9081 Depth=3
	v_cmp_eq_u16_sdwa s74, v122, v62 src0_sel:BYTE_0 src1_sel:DWORD
	s_mov_b32 s16, -1
	s_and_saveexec_b32 s73, s74
; %bb.9516:                             ;   in Loop: Header=BB6_9081 Depth=3
	s_xor_b32 s16, exec_lo, -1
; %bb.9517:                             ;   in Loop: Header=BB6_9081 Depth=3
	s_or_b32 exec_lo, exec_lo, s73
	s_and_b32 s16, s16, exec_lo
	s_or_saveexec_b32 s23, s23
	v_mov_b32_e32 v17, 0x7f800001
	s_xor_b32 exec_lo, exec_lo, s23
	s_cbranch_execnz .LBB6_10328
.LBB6_9518:                             ;   in Loop: Header=BB6_9081 Depth=3
	s_or_b32 exec_lo, exec_lo, s23
	s_and_saveexec_b32 s23, s16
	s_cbranch_execz .LBB6_9520
.LBB6_9519:                             ;   in Loop: Header=BB6_9081 Depth=3
	v_and_b32_e32 v17, 7, v122
	v_lshrrev_b16 v87, 3, v122
	v_lshlrev_b32_e32 v99, 24, v122
	v_ffbh_u32_e32 v86, v17
	v_and_b32_e32 v87, 15, v87
	v_min_u32_e32 v86, 32, v86
	v_cmp_eq_u32_e32 vcc_lo, 0, v87
	v_subrev_nc_u32_e32 v98, 28, v86
	v_sub_nc_u32_e32 v86, 29, v86
	v_lshlrev_b32_e32 v98, v98, v122
	v_cndmask_b32_e32 v86, v87, v86, vcc_lo
	v_and_b32_e32 v87, 0x80000000, v99
	v_and_b32_e32 v98, 7, v98
	v_lshl_add_u32 v86, v86, 23, 0x3b800000
	v_cndmask_b32_e32 v17, v17, v98, vcc_lo
	v_lshlrev_b32_e32 v17, 20, v17
	v_or3_b32 v17, v87, v86, v17
.LBB6_9520:                             ;   in Loop: Header=BB6_9081 Depth=3
	s_or_b32 exec_lo, exec_lo, s23
	s_waitcnt vmcnt(19) lgkmcnt(19)
	v_cmp_gt_i16_sdwa s23, v119, v61 src0_sel:BYTE_0 src1_sel:DWORD
	s_mov_b32 s16, 0
	s_and_saveexec_b32 s73, s23
	s_xor_b32 s23, exec_lo, s73
	s_cbranch_execz .LBB6_10329
; %bb.9521:                             ;   in Loop: Header=BB6_9081 Depth=3
	v_cmp_eq_u16_sdwa s74, v119, v62 src0_sel:BYTE_0 src1_sel:DWORD
	s_mov_b32 s16, -1
	s_and_saveexec_b32 s73, s74
; %bb.9522:                             ;   in Loop: Header=BB6_9081 Depth=3
	s_xor_b32 s16, exec_lo, -1
; %bb.9523:                             ;   in Loop: Header=BB6_9081 Depth=3
	s_or_b32 exec_lo, exec_lo, s73
	s_and_b32 s16, s16, exec_lo
	s_or_saveexec_b32 s23, s23
	v_mov_b32_e32 v86, 0x7f800001
	s_xor_b32 exec_lo, exec_lo, s23
	s_cbranch_execnz .LBB6_10330
.LBB6_9524:                             ;   in Loop: Header=BB6_9081 Depth=3
	s_or_b32 exec_lo, exec_lo, s23
	s_and_saveexec_b32 s23, s16
	s_cbranch_execz .LBB6_9526
.LBB6_9525:                             ;   in Loop: Header=BB6_9081 Depth=3
	v_and_b32_e32 v86, 7, v119
	v_lshrrev_b16 v98, 3, v119
	v_lshlrev_b32_e32 v112, 24, v119
	v_ffbh_u32_e32 v87, v86
	v_and_b32_e32 v98, 15, v98
	v_min_u32_e32 v87, 32, v87
	v_cmp_eq_u32_e32 vcc_lo, 0, v98
	v_subrev_nc_u32_e32 v99, 28, v87
	v_sub_nc_u32_e32 v87, 29, v87
	v_lshlrev_b32_e32 v99, v99, v119
	v_cndmask_b32_e32 v87, v98, v87, vcc_lo
	v_and_b32_e32 v98, 0x80000000, v112
	v_and_b32_e32 v99, 7, v99
	v_lshl_add_u32 v87, v87, 23, 0x3b800000
	v_cndmask_b32_e32 v86, v86, v99, vcc_lo
	v_lshlrev_b32_e32 v86, 20, v86
	v_or3_b32 v86, v98, v87, v86
.LBB6_9526:                             ;   in Loop: Header=BB6_9081 Depth=3
	s_or_b32 exec_lo, exec_lo, s23
	v_max_f32_e32 v86, v86, v86
	v_max_f32_e32 v17, v17, v17
	s_mov_b32 s16, 0
	v_max_f32_e32 v17, v17, v86
.LBB6_9527:                             ;   in Loop: Header=BB6_9081 Depth=3
	s_and_b32 vcc_lo, exec_lo, s16
	s_cbranch_vccz .LBB6_9541
; %bb.9528:                             ;   in Loop: Header=BB6_9081 Depth=3
	v_cmp_gt_i16_sdwa s23, v122, v61 src0_sel:BYTE_0 src1_sel:DWORD
	s_mov_b32 s16, 0
	s_and_saveexec_b32 s73, s23
	s_xor_b32 s23, exec_lo, s73
	s_cbranch_execz .LBB6_10331
; %bb.9529:                             ;   in Loop: Header=BB6_9081 Depth=3
	v_cmp_eq_u16_sdwa s74, v122, v62 src0_sel:BYTE_0 src1_sel:DWORD
	s_mov_b32 s16, -1
	s_and_saveexec_b32 s73, s74
; %bb.9530:                             ;   in Loop: Header=BB6_9081 Depth=3
	s_xor_b32 s16, exec_lo, -1
; %bb.9531:                             ;   in Loop: Header=BB6_9081 Depth=3
	s_or_b32 exec_lo, exec_lo, s73
	s_and_b32 s16, s16, exec_lo
	s_or_saveexec_b32 s23, s23
	v_mov_b32_e32 v17, 0x7f800001
	s_xor_b32 exec_lo, exec_lo, s23
	s_cbranch_execnz .LBB6_10332
.LBB6_9532:                             ;   in Loop: Header=BB6_9081 Depth=3
	s_or_b32 exec_lo, exec_lo, s23
	s_and_saveexec_b32 s23, s16
	s_cbranch_execz .LBB6_9534
.LBB6_9533:                             ;   in Loop: Header=BB6_9081 Depth=3
	v_and_b32_e32 v17, 7, v122
	v_lshrrev_b16 v87, 3, v122
	v_lshlrev_b32_e32 v99, 24, v122
	v_ffbh_u32_e32 v86, v17
	v_and_b32_e32 v87, 15, v87
	v_min_u32_e32 v86, 32, v86
	v_cmp_eq_u32_e32 vcc_lo, 0, v87
	v_subrev_nc_u32_e32 v98, 28, v86
	v_sub_nc_u32_e32 v86, 29, v86
	v_lshlrev_b32_e32 v98, v98, v122
	v_cndmask_b32_e32 v86, v87, v86, vcc_lo
	v_and_b32_e32 v87, 0x80000000, v99
	v_and_b32_e32 v98, 7, v98
	v_lshl_add_u32 v86, v86, 23, 0x3b800000
	v_cndmask_b32_e32 v17, v17, v98, vcc_lo
	v_lshlrev_b32_e32 v17, 20, v17
	v_or3_b32 v17, v87, v86, v17
.LBB6_9534:                             ;   in Loop: Header=BB6_9081 Depth=3
	s_or_b32 exec_lo, exec_lo, s23
	s_waitcnt vmcnt(19) lgkmcnt(19)
	v_cmp_gt_i16_sdwa s23, v119, v61 src0_sel:BYTE_0 src1_sel:DWORD
	s_mov_b32 s16, 0
	s_and_saveexec_b32 s73, s23
	s_xor_b32 s23, exec_lo, s73
	s_cbranch_execz .LBB6_10333
; %bb.9535:                             ;   in Loop: Header=BB6_9081 Depth=3
	v_cmp_eq_u16_sdwa s74, v119, v62 src0_sel:BYTE_0 src1_sel:DWORD
	s_mov_b32 s16, -1
	s_and_saveexec_b32 s73, s74
; %bb.9536:                             ;   in Loop: Header=BB6_9081 Depth=3
	s_xor_b32 s16, exec_lo, -1
; %bb.9537:                             ;   in Loop: Header=BB6_9081 Depth=3
	s_or_b32 exec_lo, exec_lo, s73
	s_and_b32 s16, s16, exec_lo
	s_or_saveexec_b32 s23, s23
	v_mov_b32_e32 v86, 0x7f800001
	s_xor_b32 exec_lo, exec_lo, s23
	s_cbranch_execnz .LBB6_10334
.LBB6_9538:                             ;   in Loop: Header=BB6_9081 Depth=3
	s_or_b32 exec_lo, exec_lo, s23
	s_and_saveexec_b32 s23, s16
	s_cbranch_execz .LBB6_9540
.LBB6_9539:                             ;   in Loop: Header=BB6_9081 Depth=3
	v_and_b32_e32 v86, 7, v119
	v_lshrrev_b16 v98, 3, v119
	v_lshlrev_b32_e32 v112, 24, v119
	v_ffbh_u32_e32 v87, v86
	v_and_b32_e32 v98, 15, v98
	v_min_u32_e32 v87, 32, v87
	v_cmp_eq_u32_e32 vcc_lo, 0, v98
	v_subrev_nc_u32_e32 v99, 28, v87
	v_sub_nc_u32_e32 v87, 29, v87
	v_lshlrev_b32_e32 v99, v99, v119
	v_cndmask_b32_e32 v87, v98, v87, vcc_lo
	v_and_b32_e32 v98, 0x80000000, v112
	v_and_b32_e32 v99, 7, v99
	v_lshl_add_u32 v87, v87, 23, 0x3b800000
	v_cndmask_b32_e32 v86, v86, v99, vcc_lo
	v_lshlrev_b32_e32 v86, 20, v86
	v_or3_b32 v86, v98, v87, v86
.LBB6_9540:                             ;   in Loop: Header=BB6_9081 Depth=3
	s_or_b32 exec_lo, exec_lo, s23
	v_max_f32_e32 v86, v86, v86
	v_max_f32_e32 v17, v17, v17
	v_min_f32_e32 v17, v17, v86
.LBB6_9541:                             ;   in Loop: Header=BB6_9081 Depth=3
	v_and_b32_e32 v86, 0x7f800000, v17
	s_waitcnt vmcnt(19) lgkmcnt(19)
	v_mov_b32_e32 v119, 0x80
	s_mov_b32 s23, exec_lo
	v_cmpx_ne_u32_e32 0x7f800000, v86
	s_cbranch_execz .LBB6_9549
; %bb.9542:                             ;   in Loop: Header=BB6_9081 Depth=3
	v_mov_b32_e32 v119, 0
	s_mov_b32 s73, exec_lo
	v_cmpx_ne_u32_e32 0, v17
	s_cbranch_execz .LBB6_9548
; %bb.9543:                             ;   in Loop: Header=BB6_9081 Depth=3
	v_bfe_u32 v87, v17, 23, 8
	v_and_b32_e32 v86, 0x7fffff, v17
                                        ; implicit-def: $vgpr113
	v_cmp_gt_u32_e64 s16, 0x79, v87
	v_sub_nc_u32_e32 v98, 0x78, v87
	v_cmp_eq_u32_e32 vcc_lo, 0, v87
	v_or_b32_e32 v99, 0x800000, v86
	v_add_nc_u32_e32 v87, 0xffffff89, v87
	v_cndmask_b32_e64 v98, 0, v98, s16
	v_cndmask_b32_e32 v86, v99, v86, vcc_lo
	v_cndmask_b32_e64 v87, v87, 0xffffff8a, vcc_lo
	v_cndmask_b32_e64 v98, v98, 0x77, vcc_lo
	v_lshl_add_u32 v99, 0x100000, v98, -1
	v_lshlrev_b32_e64 v112, v98, 0x80000
	v_and_b32_e32 v99, v99, v86
	v_lshrrev_b32_e32 v86, v98, v86
	v_add_nc_u32_e32 v98, v98, v87
	v_cmp_eq_u32_e64 s16, v99, v112
	v_lshrrev_b32_e32 v87, 23, v86
	v_xor_b32_e32 v99, 1, v87
	v_bfe_u32 v87, v86, 20, 1
	v_add_nc_u32_e32 v87, -1, v87
	v_cndmask_b32_e64 v87, 0, v87, s16
	s_mov_b32 s16, exec_lo
	v_add_nc_u32_e32 v87, v87, v86
	v_and_b32_e32 v87, 0xfffff, v87
	v_add_nc_u32_e32 v112, v87, v86
	v_cmpx_ne_u32_e64 v98, v99
	s_xor_b32 s16, exec_lo, s16
; %bb.9544:                             ;   in Loop: Header=BB6_9081 Depth=3
	v_cmp_lt_u32_e32 vcc_lo, 0xffffff, v112
	v_sub_nc_u32_e32 v86, v98, v99
	v_cndmask_b32_e64 v87, 0, 1, vcc_lo
	v_add_co_ci_u32_e64 v113, null, 0, v86, vcc_lo
	v_lshrrev_b32_e32 v112, v87, v112
; %bb.9545:                             ;   in Loop: Header=BB6_9081 Depth=3
	s_andn2_saveexec_b32 s16, s16
; %bb.9546:                             ;   in Loop: Header=BB6_9081 Depth=3
	v_bfe_u32 v113, v112, 23, 1
; %bb.9547:                             ;   in Loop: Header=BB6_9081 Depth=3
	s_or_b32 exec_lo, exec_lo, s16
	v_lshrrev_b32_e32 v86, 20, v112
	v_cmp_gt_i32_e32 vcc_lo, 16, v113
	v_min_i32_e32 v87, 15, v113
	v_and_b32_sdwa v17, v17, v62 dst_sel:DWORD dst_unused:UNUSED_PAD src0_sel:BYTE_3 src1_sel:DWORD
	v_cndmask_b32_e32 v86, 7, v86, vcc_lo
	v_lshlrev_b32_e32 v87, 3, v87
	v_or_b32_e32 v98, v113, v86
	v_and_b32_e32 v86, 7, v86
	v_cmp_ne_u32_e32 vcc_lo, 0, v98
	v_or3_b32 v17, v87, v17, v86
	v_cndmask_b32_e32 v119, 0, v17, vcc_lo
.LBB6_9548:                             ;   in Loop: Header=BB6_9081 Depth=3
	s_or_b32 exec_lo, exec_lo, s73
.LBB6_9549:                             ;   in Loop: Header=BB6_9081 Depth=3
	s_or_b32 exec_lo, exec_lo, s23
	v_cmp_gt_i16_sdwa s23, v57, v61 src0_sel:BYTE_0 src1_sel:DWORD
	s_andn2_b32 vcc_lo, exec_lo, s19
	s_mov_b32 s16, -1
                                        ; implicit-def: $vgpr17
	s_cbranch_vccnz .LBB6_9563
; %bb.9550:                             ;   in Loop: Header=BB6_9081 Depth=3
	s_mov_b32 s16, 0
	s_and_saveexec_b32 s73, s23
	s_xor_b32 s23, exec_lo, s73
	s_cbranch_execz .LBB6_10335
; %bb.9551:                             ;   in Loop: Header=BB6_9081 Depth=3
	v_cmp_eq_u16_sdwa s74, v57, v62 src0_sel:BYTE_0 src1_sel:DWORD
	s_mov_b32 s16, -1
	s_and_saveexec_b32 s73, s74
; %bb.9552:                             ;   in Loop: Header=BB6_9081 Depth=3
	s_xor_b32 s16, exec_lo, -1
; %bb.9553:                             ;   in Loop: Header=BB6_9081 Depth=3
	s_or_b32 exec_lo, exec_lo, s73
	s_and_b32 s16, s16, exec_lo
	s_or_saveexec_b32 s23, s23
	v_mov_b32_e32 v17, 0x7f800001
	s_xor_b32 exec_lo, exec_lo, s23
	s_cbranch_execnz .LBB6_10336
.LBB6_9554:                             ;   in Loop: Header=BB6_9081 Depth=3
	s_or_b32 exec_lo, exec_lo, s23
	s_and_saveexec_b32 s23, s16
	s_cbranch_execz .LBB6_9556
.LBB6_9555:                             ;   in Loop: Header=BB6_9081 Depth=3
	v_and_b32_e32 v17, 7, v57
	v_lshrrev_b16 v87, 3, v57
	v_lshlrev_b32_e32 v99, 24, v57
	v_ffbh_u32_e32 v86, v17
	v_and_b32_e32 v87, 15, v87
	v_min_u32_e32 v86, 32, v86
	v_cmp_eq_u32_e32 vcc_lo, 0, v87
	v_subrev_nc_u32_e32 v98, 28, v86
	v_sub_nc_u32_e32 v86, 29, v86
	v_lshlrev_b32_e32 v98, v98, v57
	v_cndmask_b32_e32 v86, v87, v86, vcc_lo
	v_and_b32_e32 v87, 0x80000000, v99
	v_and_b32_e32 v98, 7, v98
	v_lshl_add_u32 v86, v86, 23, 0x3b800000
	v_cndmask_b32_e32 v17, v17, v98, vcc_lo
	v_lshlrev_b32_e32 v17, 20, v17
	v_or3_b32 v17, v87, v86, v17
.LBB6_9556:                             ;   in Loop: Header=BB6_9081 Depth=3
	s_or_b32 exec_lo, exec_lo, s23
	s_waitcnt vmcnt(18) lgkmcnt(18)
	v_cmp_gt_i16_sdwa s23, v42, v61 src0_sel:BYTE_0 src1_sel:DWORD
	s_mov_b32 s16, 0
	s_and_saveexec_b32 s73, s23
	s_xor_b32 s23, exec_lo, s73
	s_cbranch_execz .LBB6_10337
; %bb.9557:                             ;   in Loop: Header=BB6_9081 Depth=3
	v_cmp_eq_u16_sdwa s74, v42, v62 src0_sel:BYTE_0 src1_sel:DWORD
	s_mov_b32 s16, -1
	s_and_saveexec_b32 s73, s74
; %bb.9558:                             ;   in Loop: Header=BB6_9081 Depth=3
	s_xor_b32 s16, exec_lo, -1
; %bb.9559:                             ;   in Loop: Header=BB6_9081 Depth=3
	s_or_b32 exec_lo, exec_lo, s73
	s_and_b32 s16, s16, exec_lo
	s_or_saveexec_b32 s23, s23
	v_mov_b32_e32 v86, 0x7f800001
	s_xor_b32 exec_lo, exec_lo, s23
	s_cbranch_execnz .LBB6_10338
.LBB6_9560:                             ;   in Loop: Header=BB6_9081 Depth=3
	s_or_b32 exec_lo, exec_lo, s23
	s_and_saveexec_b32 s23, s16
	s_cbranch_execz .LBB6_9562
.LBB6_9561:                             ;   in Loop: Header=BB6_9081 Depth=3
	v_and_b32_e32 v86, 7, v42
	v_lshrrev_b16 v98, 3, v42
	v_lshlrev_b32_e32 v112, 24, v42
	v_ffbh_u32_e32 v87, v86
	v_and_b32_e32 v98, 15, v98
	v_min_u32_e32 v87, 32, v87
	v_cmp_eq_u32_e32 vcc_lo, 0, v98
	v_subrev_nc_u32_e32 v99, 28, v87
	v_sub_nc_u32_e32 v87, 29, v87
	v_lshlrev_b32_e32 v99, v99, v42
	v_cndmask_b32_e32 v87, v98, v87, vcc_lo
	v_and_b32_e32 v98, 0x80000000, v112
	v_and_b32_e32 v99, 7, v99
	v_lshl_add_u32 v87, v87, 23, 0x3b800000
	v_cndmask_b32_e32 v86, v86, v99, vcc_lo
	v_lshlrev_b32_e32 v86, 20, v86
	v_or3_b32 v86, v98, v87, v86
.LBB6_9562:                             ;   in Loop: Header=BB6_9081 Depth=3
	s_or_b32 exec_lo, exec_lo, s23
	v_max_f32_e32 v86, v86, v86
	v_max_f32_e32 v17, v17, v17
	s_mov_b32 s16, 0
	v_max_f32_e32 v17, v17, v86
.LBB6_9563:                             ;   in Loop: Header=BB6_9081 Depth=3
	s_and_b32 vcc_lo, exec_lo, s16
	s_cbranch_vccz .LBB6_9577
; %bb.9564:                             ;   in Loop: Header=BB6_9081 Depth=3
	v_cmp_gt_i16_sdwa s23, v57, v61 src0_sel:BYTE_0 src1_sel:DWORD
	s_mov_b32 s16, 0
	s_and_saveexec_b32 s73, s23
	s_xor_b32 s23, exec_lo, s73
	s_cbranch_execz .LBB6_10339
; %bb.9565:                             ;   in Loop: Header=BB6_9081 Depth=3
	v_cmp_eq_u16_sdwa s74, v57, v62 src0_sel:BYTE_0 src1_sel:DWORD
	s_mov_b32 s16, -1
	s_and_saveexec_b32 s73, s74
; %bb.9566:                             ;   in Loop: Header=BB6_9081 Depth=3
	s_xor_b32 s16, exec_lo, -1
; %bb.9567:                             ;   in Loop: Header=BB6_9081 Depth=3
	s_or_b32 exec_lo, exec_lo, s73
	s_and_b32 s16, s16, exec_lo
	s_or_saveexec_b32 s23, s23
	v_mov_b32_e32 v17, 0x7f800001
	s_xor_b32 exec_lo, exec_lo, s23
	s_cbranch_execnz .LBB6_10340
.LBB6_9568:                             ;   in Loop: Header=BB6_9081 Depth=3
	s_or_b32 exec_lo, exec_lo, s23
	s_and_saveexec_b32 s23, s16
	s_cbranch_execz .LBB6_9570
.LBB6_9569:                             ;   in Loop: Header=BB6_9081 Depth=3
	v_and_b32_e32 v17, 7, v57
	v_lshrrev_b16 v87, 3, v57
	v_lshlrev_b32_e32 v99, 24, v57
	v_ffbh_u32_e32 v86, v17
	v_and_b32_e32 v87, 15, v87
	v_min_u32_e32 v86, 32, v86
	v_cmp_eq_u32_e32 vcc_lo, 0, v87
	v_subrev_nc_u32_e32 v98, 28, v86
	v_sub_nc_u32_e32 v86, 29, v86
	v_lshlrev_b32_e32 v98, v98, v57
	v_cndmask_b32_e32 v86, v87, v86, vcc_lo
	v_and_b32_e32 v87, 0x80000000, v99
	v_and_b32_e32 v98, 7, v98
	v_lshl_add_u32 v86, v86, 23, 0x3b800000
	v_cndmask_b32_e32 v17, v17, v98, vcc_lo
	v_lshlrev_b32_e32 v17, 20, v17
	v_or3_b32 v17, v87, v86, v17
.LBB6_9570:                             ;   in Loop: Header=BB6_9081 Depth=3
	s_or_b32 exec_lo, exec_lo, s23
	s_waitcnt vmcnt(18) lgkmcnt(18)
	v_cmp_gt_i16_sdwa s23, v42, v61 src0_sel:BYTE_0 src1_sel:DWORD
	s_mov_b32 s16, 0
	s_and_saveexec_b32 s73, s23
	s_xor_b32 s23, exec_lo, s73
	s_cbranch_execz .LBB6_10341
; %bb.9571:                             ;   in Loop: Header=BB6_9081 Depth=3
	v_cmp_eq_u16_sdwa s74, v42, v62 src0_sel:BYTE_0 src1_sel:DWORD
	s_mov_b32 s16, -1
	s_and_saveexec_b32 s73, s74
; %bb.9572:                             ;   in Loop: Header=BB6_9081 Depth=3
	s_xor_b32 s16, exec_lo, -1
; %bb.9573:                             ;   in Loop: Header=BB6_9081 Depth=3
	s_or_b32 exec_lo, exec_lo, s73
	s_and_b32 s16, s16, exec_lo
	s_or_saveexec_b32 s23, s23
	v_mov_b32_e32 v86, 0x7f800001
	s_xor_b32 exec_lo, exec_lo, s23
	s_cbranch_execnz .LBB6_10342
.LBB6_9574:                             ;   in Loop: Header=BB6_9081 Depth=3
	s_or_b32 exec_lo, exec_lo, s23
	s_and_saveexec_b32 s23, s16
	s_cbranch_execz .LBB6_9576
.LBB6_9575:                             ;   in Loop: Header=BB6_9081 Depth=3
	v_and_b32_e32 v86, 7, v42
	v_lshrrev_b16 v98, 3, v42
	v_lshlrev_b32_e32 v112, 24, v42
	v_ffbh_u32_e32 v87, v86
	v_and_b32_e32 v98, 15, v98
	v_min_u32_e32 v87, 32, v87
	v_cmp_eq_u32_e32 vcc_lo, 0, v98
	v_subrev_nc_u32_e32 v99, 28, v87
	v_sub_nc_u32_e32 v87, 29, v87
	v_lshlrev_b32_e32 v99, v99, v42
	v_cndmask_b32_e32 v87, v98, v87, vcc_lo
	v_and_b32_e32 v98, 0x80000000, v112
	v_and_b32_e32 v99, 7, v99
	v_lshl_add_u32 v87, v87, 23, 0x3b800000
	v_cndmask_b32_e32 v86, v86, v99, vcc_lo
	v_lshlrev_b32_e32 v86, 20, v86
	v_or3_b32 v86, v98, v87, v86
.LBB6_9576:                             ;   in Loop: Header=BB6_9081 Depth=3
	s_or_b32 exec_lo, exec_lo, s23
	v_max_f32_e32 v86, v86, v86
	v_max_f32_e32 v17, v17, v17
	v_min_f32_e32 v17, v17, v86
.LBB6_9577:                             ;   in Loop: Header=BB6_9081 Depth=3
	v_and_b32_e32 v86, 0x7f800000, v17
	s_waitcnt vmcnt(18) lgkmcnt(18)
	v_mov_b32_e32 v42, 0x80
	s_mov_b32 s23, exec_lo
	v_cmpx_ne_u32_e32 0x7f800000, v86
	s_cbranch_execz .LBB6_9585
; %bb.9578:                             ;   in Loop: Header=BB6_9081 Depth=3
	v_mov_b32_e32 v42, 0
	s_mov_b32 s73, exec_lo
	v_cmpx_ne_u32_e32 0, v17
	s_cbranch_execz .LBB6_9584
; %bb.9579:                             ;   in Loop: Header=BB6_9081 Depth=3
	v_bfe_u32 v87, v17, 23, 8
	v_and_b32_e32 v86, 0x7fffff, v17
                                        ; implicit-def: $vgpr113
	v_cmp_gt_u32_e64 s16, 0x79, v87
	v_sub_nc_u32_e32 v98, 0x78, v87
	v_cmp_eq_u32_e32 vcc_lo, 0, v87
	v_or_b32_e32 v99, 0x800000, v86
	v_add_nc_u32_e32 v87, 0xffffff89, v87
	v_cndmask_b32_e64 v98, 0, v98, s16
	v_cndmask_b32_e32 v86, v99, v86, vcc_lo
	v_cndmask_b32_e64 v87, v87, 0xffffff8a, vcc_lo
	v_cndmask_b32_e64 v98, v98, 0x77, vcc_lo
	v_lshl_add_u32 v99, 0x100000, v98, -1
	v_lshlrev_b32_e64 v112, v98, 0x80000
	v_and_b32_e32 v99, v99, v86
	v_lshrrev_b32_e32 v86, v98, v86
	v_add_nc_u32_e32 v98, v98, v87
	v_cmp_eq_u32_e64 s16, v99, v112
	v_lshrrev_b32_e32 v87, 23, v86
	v_xor_b32_e32 v99, 1, v87
	v_bfe_u32 v87, v86, 20, 1
	v_add_nc_u32_e32 v87, -1, v87
	v_cndmask_b32_e64 v87, 0, v87, s16
	s_mov_b32 s16, exec_lo
	v_add_nc_u32_e32 v87, v87, v86
	v_and_b32_e32 v87, 0xfffff, v87
	v_add_nc_u32_e32 v112, v87, v86
	v_cmpx_ne_u32_e64 v98, v99
	s_xor_b32 s16, exec_lo, s16
; %bb.9580:                             ;   in Loop: Header=BB6_9081 Depth=3
	v_cmp_lt_u32_e32 vcc_lo, 0xffffff, v112
	v_sub_nc_u32_e32 v86, v98, v99
	v_cndmask_b32_e64 v87, 0, 1, vcc_lo
	v_add_co_ci_u32_e64 v113, null, 0, v86, vcc_lo
	v_lshrrev_b32_e32 v112, v87, v112
; %bb.9581:                             ;   in Loop: Header=BB6_9081 Depth=3
	s_andn2_saveexec_b32 s16, s16
; %bb.9582:                             ;   in Loop: Header=BB6_9081 Depth=3
	v_bfe_u32 v113, v112, 23, 1
; %bb.9583:                             ;   in Loop: Header=BB6_9081 Depth=3
	s_or_b32 exec_lo, exec_lo, s16
	v_lshrrev_b32_e32 v86, 20, v112
	v_cmp_gt_i32_e32 vcc_lo, 16, v113
	v_min_i32_e32 v87, 15, v113
	v_and_b32_sdwa v17, v17, v62 dst_sel:DWORD dst_unused:UNUSED_PAD src0_sel:BYTE_3 src1_sel:DWORD
	v_cndmask_b32_e32 v86, 7, v86, vcc_lo
	v_lshlrev_b32_e32 v87, 3, v87
	v_or_b32_e32 v98, v113, v86
	v_and_b32_e32 v86, 7, v86
	v_cmp_ne_u32_e32 vcc_lo, 0, v98
	v_or3_b32 v17, v87, v17, v86
	v_cndmask_b32_e32 v42, 0, v17, vcc_lo
.LBB6_9584:                             ;   in Loop: Header=BB6_9081 Depth=3
	s_or_b32 exec_lo, exec_lo, s73
.LBB6_9585:                             ;   in Loop: Header=BB6_9081 Depth=3
	s_or_b32 exec_lo, exec_lo, s23
	v_cmp_gt_i16_sdwa s23, v108, v61 src0_sel:BYTE_0 src1_sel:DWORD
	s_andn2_b32 vcc_lo, exec_lo, s19
	s_mov_b32 s16, -1
                                        ; implicit-def: $vgpr17
	s_cbranch_vccnz .LBB6_9599
; %bb.9586:                             ;   in Loop: Header=BB6_9081 Depth=3
	s_mov_b32 s16, 0
	s_and_saveexec_b32 s73, s23
	s_xor_b32 s23, exec_lo, s73
	s_cbranch_execz .LBB6_10343
; %bb.9587:                             ;   in Loop: Header=BB6_9081 Depth=3
	v_cmp_eq_u16_sdwa s74, v108, v62 src0_sel:BYTE_0 src1_sel:DWORD
	s_mov_b32 s16, -1
	s_and_saveexec_b32 s73, s74
; %bb.9588:                             ;   in Loop: Header=BB6_9081 Depth=3
	s_xor_b32 s16, exec_lo, -1
; %bb.9589:                             ;   in Loop: Header=BB6_9081 Depth=3
	s_or_b32 exec_lo, exec_lo, s73
	s_and_b32 s16, s16, exec_lo
	s_or_saveexec_b32 s23, s23
	v_mov_b32_e32 v17, 0x7f800001
	s_xor_b32 exec_lo, exec_lo, s23
	s_cbranch_execnz .LBB6_10344
.LBB6_9590:                             ;   in Loop: Header=BB6_9081 Depth=3
	s_or_b32 exec_lo, exec_lo, s23
	s_and_saveexec_b32 s23, s16
	s_cbranch_execz .LBB6_9592
.LBB6_9591:                             ;   in Loop: Header=BB6_9081 Depth=3
	v_and_b32_e32 v17, 7, v108
	v_lshrrev_b16 v87, 3, v108
	v_lshlrev_b32_e32 v99, 24, v108
	v_ffbh_u32_e32 v86, v17
	v_and_b32_e32 v87, 15, v87
	v_min_u32_e32 v86, 32, v86
	v_cmp_eq_u32_e32 vcc_lo, 0, v87
	v_subrev_nc_u32_e32 v98, 28, v86
	v_sub_nc_u32_e32 v86, 29, v86
	v_lshlrev_b32_e32 v98, v98, v108
	v_cndmask_b32_e32 v86, v87, v86, vcc_lo
	v_and_b32_e32 v87, 0x80000000, v99
	v_and_b32_e32 v98, 7, v98
	v_lshl_add_u32 v86, v86, 23, 0x3b800000
	v_cndmask_b32_e32 v17, v17, v98, vcc_lo
	v_lshlrev_b32_e32 v17, 20, v17
	v_or3_b32 v17, v87, v86, v17
.LBB6_9592:                             ;   in Loop: Header=BB6_9081 Depth=3
	s_or_b32 exec_lo, exec_lo, s23
	s_waitcnt vmcnt(17) lgkmcnt(17)
	v_cmp_gt_i16_sdwa s23, v107, v61 src0_sel:BYTE_0 src1_sel:DWORD
	s_mov_b32 s16, 0
	s_and_saveexec_b32 s73, s23
	s_xor_b32 s23, exec_lo, s73
	s_cbranch_execz .LBB6_10345
; %bb.9593:                             ;   in Loop: Header=BB6_9081 Depth=3
	v_cmp_eq_u16_sdwa s74, v107, v62 src0_sel:BYTE_0 src1_sel:DWORD
	s_mov_b32 s16, -1
	s_and_saveexec_b32 s73, s74
; %bb.9594:                             ;   in Loop: Header=BB6_9081 Depth=3
	s_xor_b32 s16, exec_lo, -1
; %bb.9595:                             ;   in Loop: Header=BB6_9081 Depth=3
	s_or_b32 exec_lo, exec_lo, s73
	s_and_b32 s16, s16, exec_lo
	s_or_saveexec_b32 s23, s23
	v_mov_b32_e32 v86, 0x7f800001
	s_xor_b32 exec_lo, exec_lo, s23
	s_cbranch_execnz .LBB6_10346
.LBB6_9596:                             ;   in Loop: Header=BB6_9081 Depth=3
	s_or_b32 exec_lo, exec_lo, s23
	s_and_saveexec_b32 s23, s16
	s_cbranch_execz .LBB6_9598
.LBB6_9597:                             ;   in Loop: Header=BB6_9081 Depth=3
	v_and_b32_e32 v86, 7, v107
	v_lshrrev_b16 v98, 3, v107
	v_lshlrev_b32_e32 v112, 24, v107
	v_ffbh_u32_e32 v87, v86
	v_and_b32_e32 v98, 15, v98
	v_min_u32_e32 v87, 32, v87
	v_cmp_eq_u32_e32 vcc_lo, 0, v98
	v_subrev_nc_u32_e32 v99, 28, v87
	v_sub_nc_u32_e32 v87, 29, v87
	v_lshlrev_b32_e32 v99, v99, v107
	v_cndmask_b32_e32 v87, v98, v87, vcc_lo
	v_and_b32_e32 v98, 0x80000000, v112
	v_and_b32_e32 v99, 7, v99
	v_lshl_add_u32 v87, v87, 23, 0x3b800000
	v_cndmask_b32_e32 v86, v86, v99, vcc_lo
	v_lshlrev_b32_e32 v86, 20, v86
	v_or3_b32 v86, v98, v87, v86
.LBB6_9598:                             ;   in Loop: Header=BB6_9081 Depth=3
	s_or_b32 exec_lo, exec_lo, s23
	v_max_f32_e32 v86, v86, v86
	v_max_f32_e32 v17, v17, v17
	s_mov_b32 s16, 0
	v_max_f32_e32 v17, v17, v86
.LBB6_9599:                             ;   in Loop: Header=BB6_9081 Depth=3
	s_and_b32 vcc_lo, exec_lo, s16
	s_cbranch_vccz .LBB6_9613
; %bb.9600:                             ;   in Loop: Header=BB6_9081 Depth=3
	v_cmp_gt_i16_sdwa s23, v108, v61 src0_sel:BYTE_0 src1_sel:DWORD
	s_mov_b32 s16, 0
	s_and_saveexec_b32 s73, s23
	s_xor_b32 s23, exec_lo, s73
	s_cbranch_execz .LBB6_10347
; %bb.9601:                             ;   in Loop: Header=BB6_9081 Depth=3
	v_cmp_eq_u16_sdwa s74, v108, v62 src0_sel:BYTE_0 src1_sel:DWORD
	s_mov_b32 s16, -1
	s_and_saveexec_b32 s73, s74
; %bb.9602:                             ;   in Loop: Header=BB6_9081 Depth=3
	s_xor_b32 s16, exec_lo, -1
; %bb.9603:                             ;   in Loop: Header=BB6_9081 Depth=3
	s_or_b32 exec_lo, exec_lo, s73
	s_and_b32 s16, s16, exec_lo
	s_or_saveexec_b32 s23, s23
	v_mov_b32_e32 v17, 0x7f800001
	s_xor_b32 exec_lo, exec_lo, s23
	s_cbranch_execnz .LBB6_10348
.LBB6_9604:                             ;   in Loop: Header=BB6_9081 Depth=3
	s_or_b32 exec_lo, exec_lo, s23
	s_and_saveexec_b32 s23, s16
	s_cbranch_execz .LBB6_9606
.LBB6_9605:                             ;   in Loop: Header=BB6_9081 Depth=3
	v_and_b32_e32 v17, 7, v108
	v_lshrrev_b16 v87, 3, v108
	v_lshlrev_b32_e32 v99, 24, v108
	v_ffbh_u32_e32 v86, v17
	v_and_b32_e32 v87, 15, v87
	v_min_u32_e32 v86, 32, v86
	v_cmp_eq_u32_e32 vcc_lo, 0, v87
	v_subrev_nc_u32_e32 v98, 28, v86
	v_sub_nc_u32_e32 v86, 29, v86
	v_lshlrev_b32_e32 v98, v98, v108
	v_cndmask_b32_e32 v86, v87, v86, vcc_lo
	v_and_b32_e32 v87, 0x80000000, v99
	v_and_b32_e32 v98, 7, v98
	v_lshl_add_u32 v86, v86, 23, 0x3b800000
	v_cndmask_b32_e32 v17, v17, v98, vcc_lo
	v_lshlrev_b32_e32 v17, 20, v17
	v_or3_b32 v17, v87, v86, v17
.LBB6_9606:                             ;   in Loop: Header=BB6_9081 Depth=3
	s_or_b32 exec_lo, exec_lo, s23
	s_waitcnt vmcnt(17) lgkmcnt(17)
	v_cmp_gt_i16_sdwa s23, v107, v61 src0_sel:BYTE_0 src1_sel:DWORD
	s_mov_b32 s16, 0
	s_and_saveexec_b32 s73, s23
	s_xor_b32 s23, exec_lo, s73
	s_cbranch_execz .LBB6_10349
; %bb.9607:                             ;   in Loop: Header=BB6_9081 Depth=3
	v_cmp_eq_u16_sdwa s74, v107, v62 src0_sel:BYTE_0 src1_sel:DWORD
	s_mov_b32 s16, -1
	s_and_saveexec_b32 s73, s74
; %bb.9608:                             ;   in Loop: Header=BB6_9081 Depth=3
	s_xor_b32 s16, exec_lo, -1
; %bb.9609:                             ;   in Loop: Header=BB6_9081 Depth=3
	s_or_b32 exec_lo, exec_lo, s73
	s_and_b32 s16, s16, exec_lo
	s_or_saveexec_b32 s23, s23
	v_mov_b32_e32 v86, 0x7f800001
	s_xor_b32 exec_lo, exec_lo, s23
	s_cbranch_execnz .LBB6_10350
.LBB6_9610:                             ;   in Loop: Header=BB6_9081 Depth=3
	s_or_b32 exec_lo, exec_lo, s23
	s_and_saveexec_b32 s23, s16
	s_cbranch_execz .LBB6_9612
.LBB6_9611:                             ;   in Loop: Header=BB6_9081 Depth=3
	v_and_b32_e32 v86, 7, v107
	v_lshrrev_b16 v98, 3, v107
	v_lshlrev_b32_e32 v112, 24, v107
	v_ffbh_u32_e32 v87, v86
	v_and_b32_e32 v98, 15, v98
	v_min_u32_e32 v87, 32, v87
	v_cmp_eq_u32_e32 vcc_lo, 0, v98
	v_subrev_nc_u32_e32 v99, 28, v87
	v_sub_nc_u32_e32 v87, 29, v87
	v_lshlrev_b32_e32 v99, v99, v107
	v_cndmask_b32_e32 v87, v98, v87, vcc_lo
	v_and_b32_e32 v98, 0x80000000, v112
	v_and_b32_e32 v99, 7, v99
	v_lshl_add_u32 v87, v87, 23, 0x3b800000
	v_cndmask_b32_e32 v86, v86, v99, vcc_lo
	v_lshlrev_b32_e32 v86, 20, v86
	v_or3_b32 v86, v98, v87, v86
.LBB6_9612:                             ;   in Loop: Header=BB6_9081 Depth=3
	s_or_b32 exec_lo, exec_lo, s23
	v_max_f32_e32 v86, v86, v86
	v_max_f32_e32 v17, v17, v17
	v_min_f32_e32 v17, v17, v86
.LBB6_9613:                             ;   in Loop: Header=BB6_9081 Depth=3
	v_and_b32_e32 v86, 0x7f800000, v17
	s_waitcnt vmcnt(17) lgkmcnt(17)
	v_mov_b32_e32 v107, 0x80
	s_mov_b32 s23, exec_lo
	v_cmpx_ne_u32_e32 0x7f800000, v86
	s_cbranch_execz .LBB6_9621
; %bb.9614:                             ;   in Loop: Header=BB6_9081 Depth=3
	v_mov_b32_e32 v107, 0
	s_mov_b32 s73, exec_lo
	v_cmpx_ne_u32_e32 0, v17
	s_cbranch_execz .LBB6_9620
; %bb.9615:                             ;   in Loop: Header=BB6_9081 Depth=3
	v_bfe_u32 v87, v17, 23, 8
	v_and_b32_e32 v86, 0x7fffff, v17
                                        ; implicit-def: $vgpr113
	v_cmp_gt_u32_e64 s16, 0x79, v87
	v_sub_nc_u32_e32 v98, 0x78, v87
	v_cmp_eq_u32_e32 vcc_lo, 0, v87
	v_or_b32_e32 v99, 0x800000, v86
	v_add_nc_u32_e32 v87, 0xffffff89, v87
	v_cndmask_b32_e64 v98, 0, v98, s16
	v_cndmask_b32_e32 v86, v99, v86, vcc_lo
	v_cndmask_b32_e64 v87, v87, 0xffffff8a, vcc_lo
	v_cndmask_b32_e64 v98, v98, 0x77, vcc_lo
	v_lshl_add_u32 v99, 0x100000, v98, -1
	v_lshlrev_b32_e64 v112, v98, 0x80000
	v_and_b32_e32 v99, v99, v86
	v_lshrrev_b32_e32 v86, v98, v86
	v_add_nc_u32_e32 v98, v98, v87
	v_cmp_eq_u32_e64 s16, v99, v112
	v_lshrrev_b32_e32 v87, 23, v86
	v_xor_b32_e32 v99, 1, v87
	v_bfe_u32 v87, v86, 20, 1
	v_add_nc_u32_e32 v87, -1, v87
	v_cndmask_b32_e64 v87, 0, v87, s16
	s_mov_b32 s16, exec_lo
	v_add_nc_u32_e32 v87, v87, v86
	v_and_b32_e32 v87, 0xfffff, v87
	v_add_nc_u32_e32 v112, v87, v86
	v_cmpx_ne_u32_e64 v98, v99
	s_xor_b32 s16, exec_lo, s16
; %bb.9616:                             ;   in Loop: Header=BB6_9081 Depth=3
	v_cmp_lt_u32_e32 vcc_lo, 0xffffff, v112
	v_sub_nc_u32_e32 v86, v98, v99
	v_cndmask_b32_e64 v87, 0, 1, vcc_lo
	v_add_co_ci_u32_e64 v113, null, 0, v86, vcc_lo
	v_lshrrev_b32_e32 v112, v87, v112
; %bb.9617:                             ;   in Loop: Header=BB6_9081 Depth=3
	s_andn2_saveexec_b32 s16, s16
; %bb.9618:                             ;   in Loop: Header=BB6_9081 Depth=3
	v_bfe_u32 v113, v112, 23, 1
; %bb.9619:                             ;   in Loop: Header=BB6_9081 Depth=3
	s_or_b32 exec_lo, exec_lo, s16
	v_lshrrev_b32_e32 v86, 20, v112
	v_cmp_gt_i32_e32 vcc_lo, 16, v113
	v_min_i32_e32 v87, 15, v113
	v_and_b32_sdwa v17, v17, v62 dst_sel:DWORD dst_unused:UNUSED_PAD src0_sel:BYTE_3 src1_sel:DWORD
	v_cndmask_b32_e32 v86, 7, v86, vcc_lo
	v_lshlrev_b32_e32 v87, 3, v87
	v_or_b32_e32 v98, v113, v86
	v_and_b32_e32 v86, 7, v86
	v_cmp_ne_u32_e32 vcc_lo, 0, v98
	v_or3_b32 v17, v87, v17, v86
	v_cndmask_b32_e32 v107, 0, v17, vcc_lo
.LBB6_9620:                             ;   in Loop: Header=BB6_9081 Depth=3
	s_or_b32 exec_lo, exec_lo, s73
.LBB6_9621:                             ;   in Loop: Header=BB6_9081 Depth=3
	s_or_b32 exec_lo, exec_lo, s23
	v_cmp_gt_i16_sdwa s23, v121, v61 src0_sel:BYTE_0 src1_sel:DWORD
	s_andn2_b32 vcc_lo, exec_lo, s19
	s_mov_b32 s16, -1
                                        ; implicit-def: $vgpr17
	s_cbranch_vccnz .LBB6_9635
; %bb.9622:                             ;   in Loop: Header=BB6_9081 Depth=3
	s_mov_b32 s16, 0
	s_and_saveexec_b32 s73, s23
	s_xor_b32 s23, exec_lo, s73
	s_cbranch_execz .LBB6_10351
; %bb.9623:                             ;   in Loop: Header=BB6_9081 Depth=3
	v_cmp_eq_u16_sdwa s74, v121, v62 src0_sel:BYTE_0 src1_sel:DWORD
	s_mov_b32 s16, -1
	s_and_saveexec_b32 s73, s74
; %bb.9624:                             ;   in Loop: Header=BB6_9081 Depth=3
	s_xor_b32 s16, exec_lo, -1
; %bb.9625:                             ;   in Loop: Header=BB6_9081 Depth=3
	s_or_b32 exec_lo, exec_lo, s73
	s_and_b32 s16, s16, exec_lo
	s_or_saveexec_b32 s23, s23
	v_mov_b32_e32 v17, 0x7f800001
	s_xor_b32 exec_lo, exec_lo, s23
	s_cbranch_execnz .LBB6_10352
.LBB6_9626:                             ;   in Loop: Header=BB6_9081 Depth=3
	s_or_b32 exec_lo, exec_lo, s23
	s_and_saveexec_b32 s23, s16
	s_cbranch_execz .LBB6_9628
.LBB6_9627:                             ;   in Loop: Header=BB6_9081 Depth=3
	v_and_b32_e32 v17, 7, v121
	v_lshrrev_b16 v87, 3, v121
	v_lshlrev_b32_e32 v99, 24, v121
	v_ffbh_u32_e32 v86, v17
	v_and_b32_e32 v87, 15, v87
	v_min_u32_e32 v86, 32, v86
	v_cmp_eq_u32_e32 vcc_lo, 0, v87
	v_subrev_nc_u32_e32 v98, 28, v86
	v_sub_nc_u32_e32 v86, 29, v86
	v_lshlrev_b32_e32 v98, v98, v121
	v_cndmask_b32_e32 v86, v87, v86, vcc_lo
	v_and_b32_e32 v87, 0x80000000, v99
	v_and_b32_e32 v98, 7, v98
	v_lshl_add_u32 v86, v86, 23, 0x3b800000
	v_cndmask_b32_e32 v17, v17, v98, vcc_lo
	v_lshlrev_b32_e32 v17, 20, v17
	v_or3_b32 v17, v87, v86, v17
.LBB6_9628:                             ;   in Loop: Header=BB6_9081 Depth=3
	s_or_b32 exec_lo, exec_lo, s23
	s_waitcnt vmcnt(16) lgkmcnt(16)
	v_cmp_gt_i16_sdwa s23, v120, v61 src0_sel:BYTE_0 src1_sel:DWORD
	s_mov_b32 s16, 0
	s_and_saveexec_b32 s73, s23
	s_xor_b32 s23, exec_lo, s73
	s_cbranch_execz .LBB6_10353
; %bb.9629:                             ;   in Loop: Header=BB6_9081 Depth=3
	v_cmp_eq_u16_sdwa s74, v120, v62 src0_sel:BYTE_0 src1_sel:DWORD
	s_mov_b32 s16, -1
	s_and_saveexec_b32 s73, s74
; %bb.9630:                             ;   in Loop: Header=BB6_9081 Depth=3
	s_xor_b32 s16, exec_lo, -1
; %bb.9631:                             ;   in Loop: Header=BB6_9081 Depth=3
	s_or_b32 exec_lo, exec_lo, s73
	s_and_b32 s16, s16, exec_lo
	s_or_saveexec_b32 s23, s23
	v_mov_b32_e32 v86, 0x7f800001
	s_xor_b32 exec_lo, exec_lo, s23
	s_cbranch_execnz .LBB6_10354
.LBB6_9632:                             ;   in Loop: Header=BB6_9081 Depth=3
	s_or_b32 exec_lo, exec_lo, s23
	s_and_saveexec_b32 s23, s16
	s_cbranch_execz .LBB6_9634
.LBB6_9633:                             ;   in Loop: Header=BB6_9081 Depth=3
	v_and_b32_e32 v86, 7, v120
	v_lshrrev_b16 v98, 3, v120
	v_lshlrev_b32_e32 v112, 24, v120
	v_ffbh_u32_e32 v87, v86
	v_and_b32_e32 v98, 15, v98
	v_min_u32_e32 v87, 32, v87
	v_cmp_eq_u32_e32 vcc_lo, 0, v98
	v_subrev_nc_u32_e32 v99, 28, v87
	v_sub_nc_u32_e32 v87, 29, v87
	v_lshlrev_b32_e32 v99, v99, v120
	v_cndmask_b32_e32 v87, v98, v87, vcc_lo
	v_and_b32_e32 v98, 0x80000000, v112
	v_and_b32_e32 v99, 7, v99
	v_lshl_add_u32 v87, v87, 23, 0x3b800000
	v_cndmask_b32_e32 v86, v86, v99, vcc_lo
	v_lshlrev_b32_e32 v86, 20, v86
	v_or3_b32 v86, v98, v87, v86
.LBB6_9634:                             ;   in Loop: Header=BB6_9081 Depth=3
	s_or_b32 exec_lo, exec_lo, s23
	v_max_f32_e32 v86, v86, v86
	v_max_f32_e32 v17, v17, v17
	s_mov_b32 s16, 0
	v_max_f32_e32 v17, v17, v86
.LBB6_9635:                             ;   in Loop: Header=BB6_9081 Depth=3
	s_and_b32 vcc_lo, exec_lo, s16
	s_cbranch_vccz .LBB6_9649
; %bb.9636:                             ;   in Loop: Header=BB6_9081 Depth=3
	v_cmp_gt_i16_sdwa s23, v121, v61 src0_sel:BYTE_0 src1_sel:DWORD
	s_mov_b32 s16, 0
	s_and_saveexec_b32 s73, s23
	s_xor_b32 s23, exec_lo, s73
	s_cbranch_execz .LBB6_10355
; %bb.9637:                             ;   in Loop: Header=BB6_9081 Depth=3
	v_cmp_eq_u16_sdwa s74, v121, v62 src0_sel:BYTE_0 src1_sel:DWORD
	s_mov_b32 s16, -1
	s_and_saveexec_b32 s73, s74
; %bb.9638:                             ;   in Loop: Header=BB6_9081 Depth=3
	s_xor_b32 s16, exec_lo, -1
; %bb.9639:                             ;   in Loop: Header=BB6_9081 Depth=3
	s_or_b32 exec_lo, exec_lo, s73
	s_and_b32 s16, s16, exec_lo
	s_or_saveexec_b32 s23, s23
	v_mov_b32_e32 v17, 0x7f800001
	s_xor_b32 exec_lo, exec_lo, s23
	s_cbranch_execnz .LBB6_10356
.LBB6_9640:                             ;   in Loop: Header=BB6_9081 Depth=3
	s_or_b32 exec_lo, exec_lo, s23
	s_and_saveexec_b32 s23, s16
	s_cbranch_execz .LBB6_9642
.LBB6_9641:                             ;   in Loop: Header=BB6_9081 Depth=3
	v_and_b32_e32 v17, 7, v121
	v_lshrrev_b16 v87, 3, v121
	v_lshlrev_b32_e32 v99, 24, v121
	v_ffbh_u32_e32 v86, v17
	v_and_b32_e32 v87, 15, v87
	v_min_u32_e32 v86, 32, v86
	v_cmp_eq_u32_e32 vcc_lo, 0, v87
	v_subrev_nc_u32_e32 v98, 28, v86
	v_sub_nc_u32_e32 v86, 29, v86
	v_lshlrev_b32_e32 v98, v98, v121
	v_cndmask_b32_e32 v86, v87, v86, vcc_lo
	v_and_b32_e32 v87, 0x80000000, v99
	v_and_b32_e32 v98, 7, v98
	v_lshl_add_u32 v86, v86, 23, 0x3b800000
	v_cndmask_b32_e32 v17, v17, v98, vcc_lo
	v_lshlrev_b32_e32 v17, 20, v17
	v_or3_b32 v17, v87, v86, v17
.LBB6_9642:                             ;   in Loop: Header=BB6_9081 Depth=3
	s_or_b32 exec_lo, exec_lo, s23
	s_waitcnt vmcnt(16) lgkmcnt(16)
	v_cmp_gt_i16_sdwa s23, v120, v61 src0_sel:BYTE_0 src1_sel:DWORD
	s_mov_b32 s16, 0
	s_and_saveexec_b32 s73, s23
	s_xor_b32 s23, exec_lo, s73
	s_cbranch_execz .LBB6_10357
; %bb.9643:                             ;   in Loop: Header=BB6_9081 Depth=3
	v_cmp_eq_u16_sdwa s74, v120, v62 src0_sel:BYTE_0 src1_sel:DWORD
	s_mov_b32 s16, -1
	s_and_saveexec_b32 s73, s74
; %bb.9644:                             ;   in Loop: Header=BB6_9081 Depth=3
	s_xor_b32 s16, exec_lo, -1
; %bb.9645:                             ;   in Loop: Header=BB6_9081 Depth=3
	s_or_b32 exec_lo, exec_lo, s73
	s_and_b32 s16, s16, exec_lo
	s_or_saveexec_b32 s23, s23
	v_mov_b32_e32 v86, 0x7f800001
	s_xor_b32 exec_lo, exec_lo, s23
	s_cbranch_execnz .LBB6_10358
.LBB6_9646:                             ;   in Loop: Header=BB6_9081 Depth=3
	s_or_b32 exec_lo, exec_lo, s23
	s_and_saveexec_b32 s23, s16
	s_cbranch_execz .LBB6_9648
.LBB6_9647:                             ;   in Loop: Header=BB6_9081 Depth=3
	v_and_b32_e32 v86, 7, v120
	v_lshrrev_b16 v98, 3, v120
	v_lshlrev_b32_e32 v112, 24, v120
	v_ffbh_u32_e32 v87, v86
	v_and_b32_e32 v98, 15, v98
	v_min_u32_e32 v87, 32, v87
	v_cmp_eq_u32_e32 vcc_lo, 0, v98
	v_subrev_nc_u32_e32 v99, 28, v87
	v_sub_nc_u32_e32 v87, 29, v87
	v_lshlrev_b32_e32 v99, v99, v120
	v_cndmask_b32_e32 v87, v98, v87, vcc_lo
	v_and_b32_e32 v98, 0x80000000, v112
	v_and_b32_e32 v99, 7, v99
	v_lshl_add_u32 v87, v87, 23, 0x3b800000
	v_cndmask_b32_e32 v86, v86, v99, vcc_lo
	v_lshlrev_b32_e32 v86, 20, v86
	v_or3_b32 v86, v98, v87, v86
.LBB6_9648:                             ;   in Loop: Header=BB6_9081 Depth=3
	s_or_b32 exec_lo, exec_lo, s23
	v_max_f32_e32 v86, v86, v86
	v_max_f32_e32 v17, v17, v17
	v_min_f32_e32 v17, v17, v86
.LBB6_9649:                             ;   in Loop: Header=BB6_9081 Depth=3
	v_and_b32_e32 v86, 0x7f800000, v17
	s_waitcnt vmcnt(16) lgkmcnt(16)
	v_mov_b32_e32 v120, 0x80
	s_mov_b32 s23, exec_lo
	v_cmpx_ne_u32_e32 0x7f800000, v86
	s_cbranch_execz .LBB6_9657
; %bb.9650:                             ;   in Loop: Header=BB6_9081 Depth=3
	v_mov_b32_e32 v120, 0
	s_mov_b32 s73, exec_lo
	v_cmpx_ne_u32_e32 0, v17
	s_cbranch_execz .LBB6_9656
; %bb.9651:                             ;   in Loop: Header=BB6_9081 Depth=3
	v_bfe_u32 v87, v17, 23, 8
	v_and_b32_e32 v86, 0x7fffff, v17
                                        ; implicit-def: $vgpr113
	v_cmp_gt_u32_e64 s16, 0x79, v87
	v_sub_nc_u32_e32 v98, 0x78, v87
	v_cmp_eq_u32_e32 vcc_lo, 0, v87
	v_or_b32_e32 v99, 0x800000, v86
	v_add_nc_u32_e32 v87, 0xffffff89, v87
	v_cndmask_b32_e64 v98, 0, v98, s16
	v_cndmask_b32_e32 v86, v99, v86, vcc_lo
	v_cndmask_b32_e64 v87, v87, 0xffffff8a, vcc_lo
	v_cndmask_b32_e64 v98, v98, 0x77, vcc_lo
	v_lshl_add_u32 v99, 0x100000, v98, -1
	v_lshlrev_b32_e64 v112, v98, 0x80000
	v_and_b32_e32 v99, v99, v86
	v_lshrrev_b32_e32 v86, v98, v86
	v_add_nc_u32_e32 v98, v98, v87
	v_cmp_eq_u32_e64 s16, v99, v112
	v_lshrrev_b32_e32 v87, 23, v86
	v_xor_b32_e32 v99, 1, v87
	v_bfe_u32 v87, v86, 20, 1
	v_add_nc_u32_e32 v87, -1, v87
	v_cndmask_b32_e64 v87, 0, v87, s16
	s_mov_b32 s16, exec_lo
	v_add_nc_u32_e32 v87, v87, v86
	v_and_b32_e32 v87, 0xfffff, v87
	v_add_nc_u32_e32 v112, v87, v86
	v_cmpx_ne_u32_e64 v98, v99
	s_xor_b32 s16, exec_lo, s16
; %bb.9652:                             ;   in Loop: Header=BB6_9081 Depth=3
	v_cmp_lt_u32_e32 vcc_lo, 0xffffff, v112
	v_sub_nc_u32_e32 v86, v98, v99
	v_cndmask_b32_e64 v87, 0, 1, vcc_lo
	v_add_co_ci_u32_e64 v113, null, 0, v86, vcc_lo
	v_lshrrev_b32_e32 v112, v87, v112
; %bb.9653:                             ;   in Loop: Header=BB6_9081 Depth=3
	s_andn2_saveexec_b32 s16, s16
; %bb.9654:                             ;   in Loop: Header=BB6_9081 Depth=3
	v_bfe_u32 v113, v112, 23, 1
; %bb.9655:                             ;   in Loop: Header=BB6_9081 Depth=3
	s_or_b32 exec_lo, exec_lo, s16
	v_lshrrev_b32_e32 v86, 20, v112
	v_cmp_gt_i32_e32 vcc_lo, 16, v113
	v_min_i32_e32 v87, 15, v113
	v_and_b32_sdwa v17, v17, v62 dst_sel:DWORD dst_unused:UNUSED_PAD src0_sel:BYTE_3 src1_sel:DWORD
	v_cndmask_b32_e32 v86, 7, v86, vcc_lo
	v_lshlrev_b32_e32 v87, 3, v87
	v_or_b32_e32 v98, v113, v86
	v_and_b32_e32 v86, 7, v86
	v_cmp_ne_u32_e32 vcc_lo, 0, v98
	v_or3_b32 v17, v87, v17, v86
	v_cndmask_b32_e32 v120, 0, v17, vcc_lo
.LBB6_9656:                             ;   in Loop: Header=BB6_9081 Depth=3
	s_or_b32 exec_lo, exec_lo, s73
.LBB6_9657:                             ;   in Loop: Header=BB6_9081 Depth=3
	s_or_b32 exec_lo, exec_lo, s23
	v_cmp_gt_i16_sdwa s23, v111, v61 src0_sel:BYTE_0 src1_sel:DWORD
	s_andn2_b32 vcc_lo, exec_lo, s19
	s_mov_b32 s16, -1
                                        ; implicit-def: $vgpr17
	s_cbranch_vccnz .LBB6_9671
; %bb.9658:                             ;   in Loop: Header=BB6_9081 Depth=3
	s_mov_b32 s16, 0
	s_and_saveexec_b32 s73, s23
	s_xor_b32 s23, exec_lo, s73
	s_cbranch_execz .LBB6_10359
; %bb.9659:                             ;   in Loop: Header=BB6_9081 Depth=3
	v_cmp_eq_u16_sdwa s74, v111, v62 src0_sel:BYTE_0 src1_sel:DWORD
	s_mov_b32 s16, -1
	s_and_saveexec_b32 s73, s74
; %bb.9660:                             ;   in Loop: Header=BB6_9081 Depth=3
	s_xor_b32 s16, exec_lo, -1
; %bb.9661:                             ;   in Loop: Header=BB6_9081 Depth=3
	s_or_b32 exec_lo, exec_lo, s73
	s_and_b32 s16, s16, exec_lo
	s_or_saveexec_b32 s23, s23
	v_mov_b32_e32 v17, 0x7f800001
	s_xor_b32 exec_lo, exec_lo, s23
	s_cbranch_execnz .LBB6_10360
.LBB6_9662:                             ;   in Loop: Header=BB6_9081 Depth=3
	s_or_b32 exec_lo, exec_lo, s23
	s_and_saveexec_b32 s23, s16
	s_cbranch_execz .LBB6_9664
.LBB6_9663:                             ;   in Loop: Header=BB6_9081 Depth=3
	v_and_b32_e32 v17, 7, v111
	v_lshrrev_b16 v87, 3, v111
	v_lshlrev_b32_e32 v99, 24, v111
	v_ffbh_u32_e32 v86, v17
	v_and_b32_e32 v87, 15, v87
	v_min_u32_e32 v86, 32, v86
	v_cmp_eq_u32_e32 vcc_lo, 0, v87
	v_subrev_nc_u32_e32 v98, 28, v86
	v_sub_nc_u32_e32 v86, 29, v86
	v_lshlrev_b32_e32 v98, v98, v111
	v_cndmask_b32_e32 v86, v87, v86, vcc_lo
	v_and_b32_e32 v87, 0x80000000, v99
	v_and_b32_e32 v98, 7, v98
	v_lshl_add_u32 v86, v86, 23, 0x3b800000
	v_cndmask_b32_e32 v17, v17, v98, vcc_lo
	v_lshlrev_b32_e32 v17, 20, v17
	v_or3_b32 v17, v87, v86, v17
.LBB6_9664:                             ;   in Loop: Header=BB6_9081 Depth=3
	s_or_b32 exec_lo, exec_lo, s23
	s_waitcnt vmcnt(15) lgkmcnt(15)
	v_cmp_gt_i16_sdwa s23, v110, v61 src0_sel:BYTE_0 src1_sel:DWORD
	s_mov_b32 s16, 0
	s_and_saveexec_b32 s73, s23
	s_xor_b32 s23, exec_lo, s73
	s_cbranch_execz .LBB6_10361
; %bb.9665:                             ;   in Loop: Header=BB6_9081 Depth=3
	v_cmp_eq_u16_sdwa s74, v110, v62 src0_sel:BYTE_0 src1_sel:DWORD
	s_mov_b32 s16, -1
	s_and_saveexec_b32 s73, s74
; %bb.9666:                             ;   in Loop: Header=BB6_9081 Depth=3
	s_xor_b32 s16, exec_lo, -1
; %bb.9667:                             ;   in Loop: Header=BB6_9081 Depth=3
	s_or_b32 exec_lo, exec_lo, s73
	s_and_b32 s16, s16, exec_lo
	s_or_saveexec_b32 s23, s23
	v_mov_b32_e32 v86, 0x7f800001
	s_xor_b32 exec_lo, exec_lo, s23
	s_cbranch_execnz .LBB6_10362
.LBB6_9668:                             ;   in Loop: Header=BB6_9081 Depth=3
	s_or_b32 exec_lo, exec_lo, s23
	s_and_saveexec_b32 s23, s16
	s_cbranch_execz .LBB6_9670
.LBB6_9669:                             ;   in Loop: Header=BB6_9081 Depth=3
	v_and_b32_e32 v86, 7, v110
	v_lshrrev_b16 v98, 3, v110
	v_lshlrev_b32_e32 v112, 24, v110
	v_ffbh_u32_e32 v87, v86
	v_and_b32_e32 v98, 15, v98
	v_min_u32_e32 v87, 32, v87
	v_cmp_eq_u32_e32 vcc_lo, 0, v98
	v_subrev_nc_u32_e32 v99, 28, v87
	v_sub_nc_u32_e32 v87, 29, v87
	v_lshlrev_b32_e32 v99, v99, v110
	v_cndmask_b32_e32 v87, v98, v87, vcc_lo
	v_and_b32_e32 v98, 0x80000000, v112
	v_and_b32_e32 v99, 7, v99
	v_lshl_add_u32 v87, v87, 23, 0x3b800000
	v_cndmask_b32_e32 v86, v86, v99, vcc_lo
	v_lshlrev_b32_e32 v86, 20, v86
	v_or3_b32 v86, v98, v87, v86
.LBB6_9670:                             ;   in Loop: Header=BB6_9081 Depth=3
	s_or_b32 exec_lo, exec_lo, s23
	v_max_f32_e32 v86, v86, v86
	v_max_f32_e32 v17, v17, v17
	s_mov_b32 s16, 0
	v_max_f32_e32 v17, v17, v86
.LBB6_9671:                             ;   in Loop: Header=BB6_9081 Depth=3
	s_and_b32 vcc_lo, exec_lo, s16
	s_cbranch_vccz .LBB6_9685
; %bb.9672:                             ;   in Loop: Header=BB6_9081 Depth=3
	v_cmp_gt_i16_sdwa s23, v111, v61 src0_sel:BYTE_0 src1_sel:DWORD
	s_mov_b32 s16, 0
	s_and_saveexec_b32 s73, s23
	s_xor_b32 s23, exec_lo, s73
	s_cbranch_execz .LBB6_10363
; %bb.9673:                             ;   in Loop: Header=BB6_9081 Depth=3
	v_cmp_eq_u16_sdwa s74, v111, v62 src0_sel:BYTE_0 src1_sel:DWORD
	s_mov_b32 s16, -1
	s_and_saveexec_b32 s73, s74
; %bb.9674:                             ;   in Loop: Header=BB6_9081 Depth=3
	s_xor_b32 s16, exec_lo, -1
; %bb.9675:                             ;   in Loop: Header=BB6_9081 Depth=3
	s_or_b32 exec_lo, exec_lo, s73
	s_and_b32 s16, s16, exec_lo
	s_or_saveexec_b32 s23, s23
	v_mov_b32_e32 v17, 0x7f800001
	s_xor_b32 exec_lo, exec_lo, s23
	s_cbranch_execnz .LBB6_10364
.LBB6_9676:                             ;   in Loop: Header=BB6_9081 Depth=3
	s_or_b32 exec_lo, exec_lo, s23
	s_and_saveexec_b32 s23, s16
	s_cbranch_execz .LBB6_9678
.LBB6_9677:                             ;   in Loop: Header=BB6_9081 Depth=3
	v_and_b32_e32 v17, 7, v111
	v_lshrrev_b16 v87, 3, v111
	v_lshlrev_b32_e32 v99, 24, v111
	v_ffbh_u32_e32 v86, v17
	v_and_b32_e32 v87, 15, v87
	v_min_u32_e32 v86, 32, v86
	v_cmp_eq_u32_e32 vcc_lo, 0, v87
	v_subrev_nc_u32_e32 v98, 28, v86
	v_sub_nc_u32_e32 v86, 29, v86
	v_lshlrev_b32_e32 v98, v98, v111
	v_cndmask_b32_e32 v86, v87, v86, vcc_lo
	v_and_b32_e32 v87, 0x80000000, v99
	v_and_b32_e32 v98, 7, v98
	v_lshl_add_u32 v86, v86, 23, 0x3b800000
	v_cndmask_b32_e32 v17, v17, v98, vcc_lo
	v_lshlrev_b32_e32 v17, 20, v17
	v_or3_b32 v17, v87, v86, v17
.LBB6_9678:                             ;   in Loop: Header=BB6_9081 Depth=3
	s_or_b32 exec_lo, exec_lo, s23
	s_waitcnt vmcnt(15) lgkmcnt(15)
	v_cmp_gt_i16_sdwa s23, v110, v61 src0_sel:BYTE_0 src1_sel:DWORD
	s_mov_b32 s16, 0
	s_and_saveexec_b32 s73, s23
	s_xor_b32 s23, exec_lo, s73
	s_cbranch_execz .LBB6_10365
; %bb.9679:                             ;   in Loop: Header=BB6_9081 Depth=3
	v_cmp_eq_u16_sdwa s74, v110, v62 src0_sel:BYTE_0 src1_sel:DWORD
	s_mov_b32 s16, -1
	s_and_saveexec_b32 s73, s74
; %bb.9680:                             ;   in Loop: Header=BB6_9081 Depth=3
	s_xor_b32 s16, exec_lo, -1
; %bb.9681:                             ;   in Loop: Header=BB6_9081 Depth=3
	s_or_b32 exec_lo, exec_lo, s73
	s_and_b32 s16, s16, exec_lo
	s_or_saveexec_b32 s23, s23
	v_mov_b32_e32 v86, 0x7f800001
	s_xor_b32 exec_lo, exec_lo, s23
	s_cbranch_execnz .LBB6_10366
.LBB6_9682:                             ;   in Loop: Header=BB6_9081 Depth=3
	s_or_b32 exec_lo, exec_lo, s23
	s_and_saveexec_b32 s23, s16
	s_cbranch_execz .LBB6_9684
.LBB6_9683:                             ;   in Loop: Header=BB6_9081 Depth=3
	v_and_b32_e32 v86, 7, v110
	v_lshrrev_b16 v98, 3, v110
	v_lshlrev_b32_e32 v112, 24, v110
	v_ffbh_u32_e32 v87, v86
	v_and_b32_e32 v98, 15, v98
	v_min_u32_e32 v87, 32, v87
	v_cmp_eq_u32_e32 vcc_lo, 0, v98
	v_subrev_nc_u32_e32 v99, 28, v87
	v_sub_nc_u32_e32 v87, 29, v87
	v_lshlrev_b32_e32 v99, v99, v110
	v_cndmask_b32_e32 v87, v98, v87, vcc_lo
	v_and_b32_e32 v98, 0x80000000, v112
	v_and_b32_e32 v99, 7, v99
	v_lshl_add_u32 v87, v87, 23, 0x3b800000
	v_cndmask_b32_e32 v86, v86, v99, vcc_lo
	v_lshlrev_b32_e32 v86, 20, v86
	v_or3_b32 v86, v98, v87, v86
.LBB6_9684:                             ;   in Loop: Header=BB6_9081 Depth=3
	s_or_b32 exec_lo, exec_lo, s23
	v_max_f32_e32 v86, v86, v86
	v_max_f32_e32 v17, v17, v17
	v_min_f32_e32 v17, v17, v86
.LBB6_9685:                             ;   in Loop: Header=BB6_9081 Depth=3
	v_and_b32_e32 v86, 0x7f800000, v17
	v_mov_b32_e32 v108, 0x80
	s_mov_b32 s23, exec_lo
	v_cmpx_ne_u32_e32 0x7f800000, v86
	s_cbranch_execz .LBB6_9693
; %bb.9686:                             ;   in Loop: Header=BB6_9081 Depth=3
	v_mov_b32_e32 v108, 0
	s_mov_b32 s73, exec_lo
	v_cmpx_ne_u32_e32 0, v17
	s_cbranch_execz .LBB6_9692
; %bb.9687:                             ;   in Loop: Header=BB6_9081 Depth=3
	v_bfe_u32 v87, v17, 23, 8
	v_and_b32_e32 v86, 0x7fffff, v17
                                        ; implicit-def: $vgpr113
	v_cmp_gt_u32_e64 s16, 0x79, v87
	v_sub_nc_u32_e32 v98, 0x78, v87
	v_cmp_eq_u32_e32 vcc_lo, 0, v87
	v_or_b32_e32 v99, 0x800000, v86
	v_add_nc_u32_e32 v87, 0xffffff89, v87
	v_cndmask_b32_e64 v98, 0, v98, s16
	v_cndmask_b32_e32 v86, v99, v86, vcc_lo
	v_cndmask_b32_e64 v87, v87, 0xffffff8a, vcc_lo
	v_cndmask_b32_e64 v98, v98, 0x77, vcc_lo
	v_lshl_add_u32 v99, 0x100000, v98, -1
	v_lshlrev_b32_e64 v112, v98, 0x80000
	v_and_b32_e32 v99, v99, v86
	v_lshrrev_b32_e32 v86, v98, v86
	v_add_nc_u32_e32 v98, v98, v87
	v_cmp_eq_u32_e64 s16, v99, v112
	v_lshrrev_b32_e32 v87, 23, v86
	v_xor_b32_e32 v99, 1, v87
	v_bfe_u32 v87, v86, 20, 1
	v_add_nc_u32_e32 v87, -1, v87
	v_cndmask_b32_e64 v87, 0, v87, s16
	s_mov_b32 s16, exec_lo
	v_add_nc_u32_e32 v87, v87, v86
	v_and_b32_e32 v87, 0xfffff, v87
	v_add_nc_u32_e32 v112, v87, v86
	v_cmpx_ne_u32_e64 v98, v99
	s_xor_b32 s16, exec_lo, s16
; %bb.9688:                             ;   in Loop: Header=BB6_9081 Depth=3
	v_cmp_lt_u32_e32 vcc_lo, 0xffffff, v112
	v_sub_nc_u32_e32 v86, v98, v99
	v_cndmask_b32_e64 v87, 0, 1, vcc_lo
	v_add_co_ci_u32_e64 v113, null, 0, v86, vcc_lo
	v_lshrrev_b32_e32 v112, v87, v112
; %bb.9689:                             ;   in Loop: Header=BB6_9081 Depth=3
	s_andn2_saveexec_b32 s16, s16
; %bb.9690:                             ;   in Loop: Header=BB6_9081 Depth=3
	v_bfe_u32 v113, v112, 23, 1
; %bb.9691:                             ;   in Loop: Header=BB6_9081 Depth=3
	s_or_b32 exec_lo, exec_lo, s16
	v_lshrrev_b32_e32 v86, 20, v112
	v_cmp_gt_i32_e32 vcc_lo, 16, v113
	v_min_i32_e32 v87, 15, v113
	v_and_b32_sdwa v17, v17, v62 dst_sel:DWORD dst_unused:UNUSED_PAD src0_sel:BYTE_3 src1_sel:DWORD
	v_cndmask_b32_e32 v86, 7, v86, vcc_lo
	v_lshlrev_b32_e32 v87, 3, v87
	v_or_b32_e32 v98, v113, v86
	v_and_b32_e32 v86, 7, v86
	v_cmp_ne_u32_e32 vcc_lo, 0, v98
	v_or3_b32 v17, v87, v17, v86
	v_cndmask_b32_e32 v108, 0, v17, vcc_lo
.LBB6_9692:                             ;   in Loop: Header=BB6_9081 Depth=3
	s_or_b32 exec_lo, exec_lo, s73
.LBB6_9693:                             ;   in Loop: Header=BB6_9081 Depth=3
	s_or_b32 exec_lo, exec_lo, s23
	v_cmp_gt_i16_sdwa s23, v56, v61 src0_sel:BYTE_0 src1_sel:DWORD
	s_andn2_b32 vcc_lo, exec_lo, s19
	s_mov_b32 s16, -1
                                        ; implicit-def: $vgpr17
	s_cbranch_vccnz .LBB6_9707
; %bb.9694:                             ;   in Loop: Header=BB6_9081 Depth=3
	s_mov_b32 s16, 0
	s_and_saveexec_b32 s73, s23
	s_xor_b32 s23, exec_lo, s73
	s_cbranch_execz .LBB6_10367
; %bb.9695:                             ;   in Loop: Header=BB6_9081 Depth=3
	v_cmp_eq_u16_sdwa s74, v56, v62 src0_sel:BYTE_0 src1_sel:DWORD
	s_mov_b32 s16, -1
	s_and_saveexec_b32 s73, s74
; %bb.9696:                             ;   in Loop: Header=BB6_9081 Depth=3
	s_xor_b32 s16, exec_lo, -1
; %bb.9697:                             ;   in Loop: Header=BB6_9081 Depth=3
	s_or_b32 exec_lo, exec_lo, s73
	s_and_b32 s16, s16, exec_lo
	s_or_saveexec_b32 s23, s23
	v_mov_b32_e32 v17, 0x7f800001
	s_xor_b32 exec_lo, exec_lo, s23
	s_cbranch_execnz .LBB6_10368
.LBB6_9698:                             ;   in Loop: Header=BB6_9081 Depth=3
	s_or_b32 exec_lo, exec_lo, s23
	s_and_saveexec_b32 s23, s16
	s_cbranch_execz .LBB6_9700
.LBB6_9699:                             ;   in Loop: Header=BB6_9081 Depth=3
	v_and_b32_e32 v17, 7, v56
	v_lshrrev_b16 v87, 3, v56
	v_lshlrev_b32_e32 v99, 24, v56
	v_ffbh_u32_e32 v86, v17
	v_and_b32_e32 v87, 15, v87
	v_min_u32_e32 v86, 32, v86
	v_cmp_eq_u32_e32 vcc_lo, 0, v87
	v_subrev_nc_u32_e32 v98, 28, v86
	v_sub_nc_u32_e32 v86, 29, v86
	v_lshlrev_b32_e32 v98, v98, v56
	v_cndmask_b32_e32 v86, v87, v86, vcc_lo
	v_and_b32_e32 v87, 0x80000000, v99
	v_and_b32_e32 v98, 7, v98
	v_lshl_add_u32 v86, v86, 23, 0x3b800000
	v_cndmask_b32_e32 v17, v17, v98, vcc_lo
	v_lshlrev_b32_e32 v17, 20, v17
	v_or3_b32 v17, v87, v86, v17
.LBB6_9700:                             ;   in Loop: Header=BB6_9081 Depth=3
	s_or_b32 exec_lo, exec_lo, s23
	s_waitcnt vmcnt(14) lgkmcnt(14)
	v_cmp_gt_i16_sdwa s23, v43, v61 src0_sel:BYTE_0 src1_sel:DWORD
	s_mov_b32 s16, 0
	s_and_saveexec_b32 s73, s23
	s_xor_b32 s23, exec_lo, s73
	s_cbranch_execz .LBB6_10369
; %bb.9701:                             ;   in Loop: Header=BB6_9081 Depth=3
	v_cmp_eq_u16_sdwa s74, v43, v62 src0_sel:BYTE_0 src1_sel:DWORD
	s_mov_b32 s16, -1
	s_and_saveexec_b32 s73, s74
; %bb.9702:                             ;   in Loop: Header=BB6_9081 Depth=3
	s_xor_b32 s16, exec_lo, -1
; %bb.9703:                             ;   in Loop: Header=BB6_9081 Depth=3
	s_or_b32 exec_lo, exec_lo, s73
	s_and_b32 s16, s16, exec_lo
	s_or_saveexec_b32 s23, s23
	v_mov_b32_e32 v86, 0x7f800001
	s_xor_b32 exec_lo, exec_lo, s23
	s_cbranch_execnz .LBB6_10370
.LBB6_9704:                             ;   in Loop: Header=BB6_9081 Depth=3
	s_or_b32 exec_lo, exec_lo, s23
	s_and_saveexec_b32 s23, s16
	s_cbranch_execz .LBB6_9706
.LBB6_9705:                             ;   in Loop: Header=BB6_9081 Depth=3
	v_and_b32_e32 v86, 7, v43
	v_lshrrev_b16 v98, 3, v43
	v_lshlrev_b32_e32 v112, 24, v43
	v_ffbh_u32_e32 v87, v86
	v_and_b32_e32 v98, 15, v98
	v_min_u32_e32 v87, 32, v87
	v_cmp_eq_u32_e32 vcc_lo, 0, v98
	v_subrev_nc_u32_e32 v99, 28, v87
	v_sub_nc_u32_e32 v87, 29, v87
	v_lshlrev_b32_e32 v99, v99, v43
	v_cndmask_b32_e32 v87, v98, v87, vcc_lo
	v_and_b32_e32 v98, 0x80000000, v112
	v_and_b32_e32 v99, 7, v99
	v_lshl_add_u32 v87, v87, 23, 0x3b800000
	v_cndmask_b32_e32 v86, v86, v99, vcc_lo
	v_lshlrev_b32_e32 v86, 20, v86
	v_or3_b32 v86, v98, v87, v86
.LBB6_9706:                             ;   in Loop: Header=BB6_9081 Depth=3
	s_or_b32 exec_lo, exec_lo, s23
	v_max_f32_e32 v86, v86, v86
	v_max_f32_e32 v17, v17, v17
	s_mov_b32 s16, 0
	v_max_f32_e32 v17, v17, v86
.LBB6_9707:                             ;   in Loop: Header=BB6_9081 Depth=3
	s_and_b32 vcc_lo, exec_lo, s16
	s_cbranch_vccz .LBB6_9721
; %bb.9708:                             ;   in Loop: Header=BB6_9081 Depth=3
	v_cmp_gt_i16_sdwa s23, v56, v61 src0_sel:BYTE_0 src1_sel:DWORD
	s_mov_b32 s16, 0
	s_and_saveexec_b32 s73, s23
	s_xor_b32 s23, exec_lo, s73
	s_cbranch_execz .LBB6_10371
; %bb.9709:                             ;   in Loop: Header=BB6_9081 Depth=3
	v_cmp_eq_u16_sdwa s74, v56, v62 src0_sel:BYTE_0 src1_sel:DWORD
	s_mov_b32 s16, -1
	s_and_saveexec_b32 s73, s74
; %bb.9710:                             ;   in Loop: Header=BB6_9081 Depth=3
	s_xor_b32 s16, exec_lo, -1
; %bb.9711:                             ;   in Loop: Header=BB6_9081 Depth=3
	s_or_b32 exec_lo, exec_lo, s73
	s_and_b32 s16, s16, exec_lo
	s_or_saveexec_b32 s23, s23
	v_mov_b32_e32 v17, 0x7f800001
	s_xor_b32 exec_lo, exec_lo, s23
	s_cbranch_execnz .LBB6_10372
.LBB6_9712:                             ;   in Loop: Header=BB6_9081 Depth=3
	s_or_b32 exec_lo, exec_lo, s23
	s_and_saveexec_b32 s23, s16
	s_cbranch_execz .LBB6_9714
.LBB6_9713:                             ;   in Loop: Header=BB6_9081 Depth=3
	v_and_b32_e32 v17, 7, v56
	v_lshrrev_b16 v87, 3, v56
	v_lshlrev_b32_e32 v99, 24, v56
	v_ffbh_u32_e32 v86, v17
	v_and_b32_e32 v87, 15, v87
	v_min_u32_e32 v86, 32, v86
	v_cmp_eq_u32_e32 vcc_lo, 0, v87
	v_subrev_nc_u32_e32 v98, 28, v86
	v_sub_nc_u32_e32 v86, 29, v86
	v_lshlrev_b32_e32 v98, v98, v56
	v_cndmask_b32_e32 v86, v87, v86, vcc_lo
	v_and_b32_e32 v87, 0x80000000, v99
	v_and_b32_e32 v98, 7, v98
	v_lshl_add_u32 v86, v86, 23, 0x3b800000
	v_cndmask_b32_e32 v17, v17, v98, vcc_lo
	v_lshlrev_b32_e32 v17, 20, v17
	v_or3_b32 v17, v87, v86, v17
.LBB6_9714:                             ;   in Loop: Header=BB6_9081 Depth=3
	s_or_b32 exec_lo, exec_lo, s23
	s_waitcnt vmcnt(14) lgkmcnt(14)
	v_cmp_gt_i16_sdwa s23, v43, v61 src0_sel:BYTE_0 src1_sel:DWORD
	s_mov_b32 s16, 0
	s_and_saveexec_b32 s73, s23
	s_xor_b32 s23, exec_lo, s73
	s_cbranch_execz .LBB6_10373
; %bb.9715:                             ;   in Loop: Header=BB6_9081 Depth=3
	v_cmp_eq_u16_sdwa s74, v43, v62 src0_sel:BYTE_0 src1_sel:DWORD
	s_mov_b32 s16, -1
	s_and_saveexec_b32 s73, s74
; %bb.9716:                             ;   in Loop: Header=BB6_9081 Depth=3
	s_xor_b32 s16, exec_lo, -1
; %bb.9717:                             ;   in Loop: Header=BB6_9081 Depth=3
	s_or_b32 exec_lo, exec_lo, s73
	s_and_b32 s16, s16, exec_lo
	s_or_saveexec_b32 s23, s23
	v_mov_b32_e32 v86, 0x7f800001
	s_xor_b32 exec_lo, exec_lo, s23
	s_cbranch_execnz .LBB6_10374
.LBB6_9718:                             ;   in Loop: Header=BB6_9081 Depth=3
	s_or_b32 exec_lo, exec_lo, s23
	s_and_saveexec_b32 s23, s16
	s_cbranch_execz .LBB6_9720
.LBB6_9719:                             ;   in Loop: Header=BB6_9081 Depth=3
	v_and_b32_e32 v86, 7, v43
	v_lshrrev_b16 v98, 3, v43
	v_lshlrev_b32_e32 v112, 24, v43
	v_ffbh_u32_e32 v87, v86
	v_and_b32_e32 v98, 15, v98
	v_min_u32_e32 v87, 32, v87
	v_cmp_eq_u32_e32 vcc_lo, 0, v98
	v_subrev_nc_u32_e32 v99, 28, v87
	v_sub_nc_u32_e32 v87, 29, v87
	v_lshlrev_b32_e32 v99, v99, v43
	v_cndmask_b32_e32 v87, v98, v87, vcc_lo
	v_and_b32_e32 v98, 0x80000000, v112
	v_and_b32_e32 v99, 7, v99
	v_lshl_add_u32 v87, v87, 23, 0x3b800000
	v_cndmask_b32_e32 v86, v86, v99, vcc_lo
	v_lshlrev_b32_e32 v86, 20, v86
	v_or3_b32 v86, v98, v87, v86
.LBB6_9720:                             ;   in Loop: Header=BB6_9081 Depth=3
	s_or_b32 exec_lo, exec_lo, s23
	v_max_f32_e32 v86, v86, v86
	v_max_f32_e32 v17, v17, v17
	v_min_f32_e32 v17, v17, v86
.LBB6_9721:                             ;   in Loop: Header=BB6_9081 Depth=3
	v_and_b32_e32 v86, 0x7f800000, v17
	s_waitcnt vmcnt(14) lgkmcnt(14)
	v_mov_b32_e32 v43, 0x80
	s_mov_b32 s23, exec_lo
	v_cmpx_ne_u32_e32 0x7f800000, v86
	s_cbranch_execz .LBB6_9729
; %bb.9722:                             ;   in Loop: Header=BB6_9081 Depth=3
	v_mov_b32_e32 v43, 0
	s_mov_b32 s73, exec_lo
	v_cmpx_ne_u32_e32 0, v17
	s_cbranch_execz .LBB6_9728
; %bb.9723:                             ;   in Loop: Header=BB6_9081 Depth=3
	v_bfe_u32 v87, v17, 23, 8
	v_and_b32_e32 v86, 0x7fffff, v17
                                        ; implicit-def: $vgpr113
	v_cmp_gt_u32_e64 s16, 0x79, v87
	v_sub_nc_u32_e32 v98, 0x78, v87
	v_cmp_eq_u32_e32 vcc_lo, 0, v87
	v_or_b32_e32 v99, 0x800000, v86
	v_add_nc_u32_e32 v87, 0xffffff89, v87
	v_cndmask_b32_e64 v98, 0, v98, s16
	v_cndmask_b32_e32 v86, v99, v86, vcc_lo
	v_cndmask_b32_e64 v87, v87, 0xffffff8a, vcc_lo
	v_cndmask_b32_e64 v98, v98, 0x77, vcc_lo
	v_lshl_add_u32 v99, 0x100000, v98, -1
	v_lshlrev_b32_e64 v112, v98, 0x80000
	v_and_b32_e32 v99, v99, v86
	v_lshrrev_b32_e32 v86, v98, v86
	v_add_nc_u32_e32 v98, v98, v87
	v_cmp_eq_u32_e64 s16, v99, v112
	v_lshrrev_b32_e32 v87, 23, v86
	v_xor_b32_e32 v99, 1, v87
	v_bfe_u32 v87, v86, 20, 1
	v_add_nc_u32_e32 v87, -1, v87
	v_cndmask_b32_e64 v87, 0, v87, s16
	s_mov_b32 s16, exec_lo
	v_add_nc_u32_e32 v87, v87, v86
	v_and_b32_e32 v87, 0xfffff, v87
	v_add_nc_u32_e32 v112, v87, v86
	v_cmpx_ne_u32_e64 v98, v99
	s_xor_b32 s16, exec_lo, s16
; %bb.9724:                             ;   in Loop: Header=BB6_9081 Depth=3
	v_cmp_lt_u32_e32 vcc_lo, 0xffffff, v112
	v_sub_nc_u32_e32 v86, v98, v99
	v_cndmask_b32_e64 v87, 0, 1, vcc_lo
	v_add_co_ci_u32_e64 v113, null, 0, v86, vcc_lo
	v_lshrrev_b32_e32 v112, v87, v112
; %bb.9725:                             ;   in Loop: Header=BB6_9081 Depth=3
	s_andn2_saveexec_b32 s16, s16
; %bb.9726:                             ;   in Loop: Header=BB6_9081 Depth=3
	v_bfe_u32 v113, v112, 23, 1
; %bb.9727:                             ;   in Loop: Header=BB6_9081 Depth=3
	s_or_b32 exec_lo, exec_lo, s16
	v_lshrrev_b32_e32 v86, 20, v112
	v_cmp_gt_i32_e32 vcc_lo, 16, v113
	v_min_i32_e32 v87, 15, v113
	v_and_b32_sdwa v17, v17, v62 dst_sel:DWORD dst_unused:UNUSED_PAD src0_sel:BYTE_3 src1_sel:DWORD
	v_cndmask_b32_e32 v86, 7, v86, vcc_lo
	v_lshlrev_b32_e32 v87, 3, v87
	v_or_b32_e32 v98, v113, v86
	v_and_b32_e32 v86, 7, v86
	v_cmp_ne_u32_e32 vcc_lo, 0, v98
	v_or3_b32 v17, v87, v17, v86
	v_cndmask_b32_e32 v43, 0, v17, vcc_lo
.LBB6_9728:                             ;   in Loop: Header=BB6_9081 Depth=3
	s_or_b32 exec_lo, exec_lo, s73
.LBB6_9729:                             ;   in Loop: Header=BB6_9081 Depth=3
	s_or_b32 exec_lo, exec_lo, s23
	v_cmp_gt_i16_sdwa s23, v41, v61 src0_sel:BYTE_0 src1_sel:DWORD
	s_andn2_b32 vcc_lo, exec_lo, s19
	s_mov_b32 s16, -1
                                        ; implicit-def: $vgpr17
	s_cbranch_vccnz .LBB6_9743
; %bb.9730:                             ;   in Loop: Header=BB6_9081 Depth=3
	s_mov_b32 s16, 0
	s_and_saveexec_b32 s73, s23
	s_xor_b32 s23, exec_lo, s73
	s_cbranch_execz .LBB6_10375
; %bb.9731:                             ;   in Loop: Header=BB6_9081 Depth=3
	v_cmp_eq_u16_sdwa s74, v41, v62 src0_sel:BYTE_0 src1_sel:DWORD
	s_mov_b32 s16, -1
	s_and_saveexec_b32 s73, s74
; %bb.9732:                             ;   in Loop: Header=BB6_9081 Depth=3
	s_xor_b32 s16, exec_lo, -1
; %bb.9733:                             ;   in Loop: Header=BB6_9081 Depth=3
	s_or_b32 exec_lo, exec_lo, s73
	s_and_b32 s16, s16, exec_lo
	s_or_saveexec_b32 s23, s23
	v_mov_b32_e32 v17, 0x7f800001
	s_xor_b32 exec_lo, exec_lo, s23
	s_cbranch_execnz .LBB6_10376
.LBB6_9734:                             ;   in Loop: Header=BB6_9081 Depth=3
	s_or_b32 exec_lo, exec_lo, s23
	s_and_saveexec_b32 s23, s16
	s_cbranch_execz .LBB6_9736
.LBB6_9735:                             ;   in Loop: Header=BB6_9081 Depth=3
	v_and_b32_e32 v17, 7, v41
	v_lshrrev_b16 v87, 3, v41
	v_lshlrev_b32_e32 v99, 24, v41
	v_ffbh_u32_e32 v86, v17
	v_and_b32_e32 v87, 15, v87
	v_min_u32_e32 v86, 32, v86
	v_cmp_eq_u32_e32 vcc_lo, 0, v87
	v_subrev_nc_u32_e32 v98, 28, v86
	v_sub_nc_u32_e32 v86, 29, v86
	v_lshlrev_b32_e32 v98, v98, v41
	v_cndmask_b32_e32 v86, v87, v86, vcc_lo
	v_and_b32_e32 v87, 0x80000000, v99
	v_and_b32_e32 v98, 7, v98
	v_lshl_add_u32 v86, v86, 23, 0x3b800000
	v_cndmask_b32_e32 v17, v17, v98, vcc_lo
	v_lshlrev_b32_e32 v17, 20, v17
	v_or3_b32 v17, v87, v86, v17
.LBB6_9736:                             ;   in Loop: Header=BB6_9081 Depth=3
	s_or_b32 exec_lo, exec_lo, s23
	s_waitcnt vmcnt(13) lgkmcnt(13)
	v_cmp_gt_i16_sdwa s23, v40, v61 src0_sel:BYTE_0 src1_sel:DWORD
	s_mov_b32 s16, 0
	s_and_saveexec_b32 s73, s23
	s_xor_b32 s23, exec_lo, s73
	s_cbranch_execz .LBB6_10377
; %bb.9737:                             ;   in Loop: Header=BB6_9081 Depth=3
	v_cmp_eq_u16_sdwa s74, v40, v62 src0_sel:BYTE_0 src1_sel:DWORD
	s_mov_b32 s16, -1
	s_and_saveexec_b32 s73, s74
; %bb.9738:                             ;   in Loop: Header=BB6_9081 Depth=3
	s_xor_b32 s16, exec_lo, -1
; %bb.9739:                             ;   in Loop: Header=BB6_9081 Depth=3
	s_or_b32 exec_lo, exec_lo, s73
	s_and_b32 s16, s16, exec_lo
	s_or_saveexec_b32 s23, s23
	v_mov_b32_e32 v86, 0x7f800001
	s_xor_b32 exec_lo, exec_lo, s23
	s_cbranch_execnz .LBB6_10378
.LBB6_9740:                             ;   in Loop: Header=BB6_9081 Depth=3
	s_or_b32 exec_lo, exec_lo, s23
	s_and_saveexec_b32 s23, s16
	s_cbranch_execz .LBB6_9742
.LBB6_9741:                             ;   in Loop: Header=BB6_9081 Depth=3
	v_and_b32_e32 v86, 7, v40
	v_lshrrev_b16 v98, 3, v40
	v_lshlrev_b32_e32 v112, 24, v40
	v_ffbh_u32_e32 v87, v86
	v_and_b32_e32 v98, 15, v98
	v_min_u32_e32 v87, 32, v87
	v_cmp_eq_u32_e32 vcc_lo, 0, v98
	v_subrev_nc_u32_e32 v99, 28, v87
	v_sub_nc_u32_e32 v87, 29, v87
	v_lshlrev_b32_e32 v99, v99, v40
	v_cndmask_b32_e32 v87, v98, v87, vcc_lo
	v_and_b32_e32 v98, 0x80000000, v112
	v_and_b32_e32 v99, 7, v99
	v_lshl_add_u32 v87, v87, 23, 0x3b800000
	v_cndmask_b32_e32 v86, v86, v99, vcc_lo
	v_lshlrev_b32_e32 v86, 20, v86
	v_or3_b32 v86, v98, v87, v86
.LBB6_9742:                             ;   in Loop: Header=BB6_9081 Depth=3
	s_or_b32 exec_lo, exec_lo, s23
	v_max_f32_e32 v86, v86, v86
	v_max_f32_e32 v17, v17, v17
	s_mov_b32 s16, 0
	v_max_f32_e32 v17, v17, v86
.LBB6_9743:                             ;   in Loop: Header=BB6_9081 Depth=3
	s_and_b32 vcc_lo, exec_lo, s16
	s_cbranch_vccz .LBB6_9757
; %bb.9744:                             ;   in Loop: Header=BB6_9081 Depth=3
	v_cmp_gt_i16_sdwa s23, v41, v61 src0_sel:BYTE_0 src1_sel:DWORD
	s_mov_b32 s16, 0
	s_and_saveexec_b32 s73, s23
	s_xor_b32 s23, exec_lo, s73
	s_cbranch_execz .LBB6_10379
; %bb.9745:                             ;   in Loop: Header=BB6_9081 Depth=3
	v_cmp_eq_u16_sdwa s74, v41, v62 src0_sel:BYTE_0 src1_sel:DWORD
	s_mov_b32 s16, -1
	s_and_saveexec_b32 s73, s74
; %bb.9746:                             ;   in Loop: Header=BB6_9081 Depth=3
	s_xor_b32 s16, exec_lo, -1
; %bb.9747:                             ;   in Loop: Header=BB6_9081 Depth=3
	s_or_b32 exec_lo, exec_lo, s73
	s_and_b32 s16, s16, exec_lo
	s_or_saveexec_b32 s23, s23
	v_mov_b32_e32 v17, 0x7f800001
	s_xor_b32 exec_lo, exec_lo, s23
	s_cbranch_execnz .LBB6_10380
.LBB6_9748:                             ;   in Loop: Header=BB6_9081 Depth=3
	s_or_b32 exec_lo, exec_lo, s23
	s_and_saveexec_b32 s23, s16
	s_cbranch_execz .LBB6_9750
.LBB6_9749:                             ;   in Loop: Header=BB6_9081 Depth=3
	v_and_b32_e32 v17, 7, v41
	v_lshrrev_b16 v87, 3, v41
	v_lshlrev_b32_e32 v99, 24, v41
	v_ffbh_u32_e32 v86, v17
	v_and_b32_e32 v87, 15, v87
	v_min_u32_e32 v86, 32, v86
	v_cmp_eq_u32_e32 vcc_lo, 0, v87
	v_subrev_nc_u32_e32 v98, 28, v86
	v_sub_nc_u32_e32 v86, 29, v86
	v_lshlrev_b32_e32 v98, v98, v41
	v_cndmask_b32_e32 v86, v87, v86, vcc_lo
	v_and_b32_e32 v87, 0x80000000, v99
	v_and_b32_e32 v98, 7, v98
	v_lshl_add_u32 v86, v86, 23, 0x3b800000
	v_cndmask_b32_e32 v17, v17, v98, vcc_lo
	v_lshlrev_b32_e32 v17, 20, v17
	v_or3_b32 v17, v87, v86, v17
.LBB6_9750:                             ;   in Loop: Header=BB6_9081 Depth=3
	s_or_b32 exec_lo, exec_lo, s23
	s_waitcnt vmcnt(13) lgkmcnt(13)
	v_cmp_gt_i16_sdwa s23, v40, v61 src0_sel:BYTE_0 src1_sel:DWORD
	s_mov_b32 s16, 0
	s_and_saveexec_b32 s73, s23
	s_xor_b32 s23, exec_lo, s73
	s_cbranch_execz .LBB6_10381
; %bb.9751:                             ;   in Loop: Header=BB6_9081 Depth=3
	v_cmp_eq_u16_sdwa s74, v40, v62 src0_sel:BYTE_0 src1_sel:DWORD
	s_mov_b32 s16, -1
	s_and_saveexec_b32 s73, s74
; %bb.9752:                             ;   in Loop: Header=BB6_9081 Depth=3
	s_xor_b32 s16, exec_lo, -1
; %bb.9753:                             ;   in Loop: Header=BB6_9081 Depth=3
	s_or_b32 exec_lo, exec_lo, s73
	s_and_b32 s16, s16, exec_lo
	s_or_saveexec_b32 s23, s23
	v_mov_b32_e32 v86, 0x7f800001
	s_xor_b32 exec_lo, exec_lo, s23
	s_cbranch_execnz .LBB6_10382
.LBB6_9754:                             ;   in Loop: Header=BB6_9081 Depth=3
	s_or_b32 exec_lo, exec_lo, s23
	s_and_saveexec_b32 s23, s16
	s_cbranch_execz .LBB6_9756
.LBB6_9755:                             ;   in Loop: Header=BB6_9081 Depth=3
	v_and_b32_e32 v86, 7, v40
	v_lshrrev_b16 v98, 3, v40
	v_lshlrev_b32_e32 v112, 24, v40
	v_ffbh_u32_e32 v87, v86
	v_and_b32_e32 v98, 15, v98
	v_min_u32_e32 v87, 32, v87
	v_cmp_eq_u32_e32 vcc_lo, 0, v98
	v_subrev_nc_u32_e32 v99, 28, v87
	v_sub_nc_u32_e32 v87, 29, v87
	v_lshlrev_b32_e32 v99, v99, v40
	v_cndmask_b32_e32 v87, v98, v87, vcc_lo
	v_and_b32_e32 v98, 0x80000000, v112
	v_and_b32_e32 v99, 7, v99
	v_lshl_add_u32 v87, v87, 23, 0x3b800000
	v_cndmask_b32_e32 v86, v86, v99, vcc_lo
	v_lshlrev_b32_e32 v86, 20, v86
	v_or3_b32 v86, v98, v87, v86
.LBB6_9756:                             ;   in Loop: Header=BB6_9081 Depth=3
	s_or_b32 exec_lo, exec_lo, s23
	v_max_f32_e32 v86, v86, v86
	v_max_f32_e32 v17, v17, v17
	v_min_f32_e32 v17, v17, v86
.LBB6_9757:                             ;   in Loop: Header=BB6_9081 Depth=3
	v_and_b32_e32 v86, 0x7f800000, v17
	s_waitcnt vmcnt(13) lgkmcnt(13)
	v_mov_b32_e32 v40, 0x80
	s_mov_b32 s23, exec_lo
	v_cmpx_ne_u32_e32 0x7f800000, v86
	s_cbranch_execz .LBB6_9765
; %bb.9758:                             ;   in Loop: Header=BB6_9081 Depth=3
	v_mov_b32_e32 v40, 0
	s_mov_b32 s73, exec_lo
	v_cmpx_ne_u32_e32 0, v17
	s_cbranch_execz .LBB6_9764
; %bb.9759:                             ;   in Loop: Header=BB6_9081 Depth=3
	v_bfe_u32 v87, v17, 23, 8
	v_and_b32_e32 v86, 0x7fffff, v17
                                        ; implicit-def: $vgpr113
	v_cmp_gt_u32_e64 s16, 0x79, v87
	v_sub_nc_u32_e32 v98, 0x78, v87
	v_cmp_eq_u32_e32 vcc_lo, 0, v87
	v_or_b32_e32 v99, 0x800000, v86
	v_add_nc_u32_e32 v87, 0xffffff89, v87
	v_cndmask_b32_e64 v98, 0, v98, s16
	v_cndmask_b32_e32 v86, v99, v86, vcc_lo
	v_cndmask_b32_e64 v87, v87, 0xffffff8a, vcc_lo
	v_cndmask_b32_e64 v98, v98, 0x77, vcc_lo
	v_lshl_add_u32 v99, 0x100000, v98, -1
	v_lshlrev_b32_e64 v112, v98, 0x80000
	v_and_b32_e32 v99, v99, v86
	v_lshrrev_b32_e32 v86, v98, v86
	v_add_nc_u32_e32 v98, v98, v87
	v_cmp_eq_u32_e64 s16, v99, v112
	v_lshrrev_b32_e32 v87, 23, v86
	v_xor_b32_e32 v99, 1, v87
	v_bfe_u32 v87, v86, 20, 1
	v_add_nc_u32_e32 v87, -1, v87
	v_cndmask_b32_e64 v87, 0, v87, s16
	s_mov_b32 s16, exec_lo
	v_add_nc_u32_e32 v87, v87, v86
	v_and_b32_e32 v87, 0xfffff, v87
	v_add_nc_u32_e32 v112, v87, v86
	v_cmpx_ne_u32_e64 v98, v99
	s_xor_b32 s16, exec_lo, s16
; %bb.9760:                             ;   in Loop: Header=BB6_9081 Depth=3
	v_cmp_lt_u32_e32 vcc_lo, 0xffffff, v112
	v_sub_nc_u32_e32 v86, v98, v99
	v_cndmask_b32_e64 v87, 0, 1, vcc_lo
	v_add_co_ci_u32_e64 v113, null, 0, v86, vcc_lo
	v_lshrrev_b32_e32 v112, v87, v112
; %bb.9761:                             ;   in Loop: Header=BB6_9081 Depth=3
	s_andn2_saveexec_b32 s16, s16
; %bb.9762:                             ;   in Loop: Header=BB6_9081 Depth=3
	v_bfe_u32 v113, v112, 23, 1
; %bb.9763:                             ;   in Loop: Header=BB6_9081 Depth=3
	s_or_b32 exec_lo, exec_lo, s16
	v_lshrrev_b32_e32 v86, 20, v112
	v_cmp_gt_i32_e32 vcc_lo, 16, v113
	v_min_i32_e32 v87, 15, v113
	v_and_b32_sdwa v17, v17, v62 dst_sel:DWORD dst_unused:UNUSED_PAD src0_sel:BYTE_3 src1_sel:DWORD
	v_cndmask_b32_e32 v86, 7, v86, vcc_lo
	v_lshlrev_b32_e32 v87, 3, v87
	v_or_b32_e32 v98, v113, v86
	v_and_b32_e32 v86, 7, v86
	v_cmp_ne_u32_e32 vcc_lo, 0, v98
	v_or3_b32 v17, v87, v17, v86
	v_cndmask_b32_e32 v40, 0, v17, vcc_lo
.LBB6_9764:                             ;   in Loop: Header=BB6_9081 Depth=3
	s_or_b32 exec_lo, exec_lo, s73
.LBB6_9765:                             ;   in Loop: Header=BB6_9081 Depth=3
	s_or_b32 exec_lo, exec_lo, s23
	v_cmp_gt_i16_sdwa s23, v118, v61 src0_sel:BYTE_0 src1_sel:DWORD
	s_andn2_b32 vcc_lo, exec_lo, s19
	s_mov_b32 s16, -1
                                        ; implicit-def: $vgpr17
	s_cbranch_vccnz .LBB6_9779
; %bb.9766:                             ;   in Loop: Header=BB6_9081 Depth=3
	s_mov_b32 s16, 0
	s_and_saveexec_b32 s73, s23
	s_xor_b32 s23, exec_lo, s73
	s_cbranch_execz .LBB6_10383
; %bb.9767:                             ;   in Loop: Header=BB6_9081 Depth=3
	v_cmp_eq_u16_sdwa s74, v118, v62 src0_sel:BYTE_0 src1_sel:DWORD
	s_mov_b32 s16, -1
	s_and_saveexec_b32 s73, s74
; %bb.9768:                             ;   in Loop: Header=BB6_9081 Depth=3
	s_xor_b32 s16, exec_lo, -1
; %bb.9769:                             ;   in Loop: Header=BB6_9081 Depth=3
	s_or_b32 exec_lo, exec_lo, s73
	s_and_b32 s16, s16, exec_lo
	s_or_saveexec_b32 s23, s23
	v_mov_b32_e32 v17, 0x7f800001
	s_xor_b32 exec_lo, exec_lo, s23
	s_cbranch_execnz .LBB6_10384
.LBB6_9770:                             ;   in Loop: Header=BB6_9081 Depth=3
	s_or_b32 exec_lo, exec_lo, s23
	s_and_saveexec_b32 s23, s16
	s_cbranch_execz .LBB6_9772
.LBB6_9771:                             ;   in Loop: Header=BB6_9081 Depth=3
	v_and_b32_e32 v17, 7, v118
	v_lshrrev_b16 v87, 3, v118
	v_lshlrev_b32_e32 v99, 24, v118
	v_ffbh_u32_e32 v86, v17
	v_and_b32_e32 v87, 15, v87
	v_min_u32_e32 v86, 32, v86
	v_cmp_eq_u32_e32 vcc_lo, 0, v87
	v_subrev_nc_u32_e32 v98, 28, v86
	v_sub_nc_u32_e32 v86, 29, v86
	v_lshlrev_b32_e32 v98, v98, v118
	v_cndmask_b32_e32 v86, v87, v86, vcc_lo
	v_and_b32_e32 v87, 0x80000000, v99
	v_and_b32_e32 v98, 7, v98
	v_lshl_add_u32 v86, v86, 23, 0x3b800000
	v_cndmask_b32_e32 v17, v17, v98, vcc_lo
	v_lshlrev_b32_e32 v17, 20, v17
	v_or3_b32 v17, v87, v86, v17
.LBB6_9772:                             ;   in Loop: Header=BB6_9081 Depth=3
	s_or_b32 exec_lo, exec_lo, s23
	s_waitcnt vmcnt(12) lgkmcnt(12)
	v_cmp_gt_i16_sdwa s23, v117, v61 src0_sel:BYTE_0 src1_sel:DWORD
	s_mov_b32 s16, 0
	s_and_saveexec_b32 s73, s23
	s_xor_b32 s23, exec_lo, s73
	s_cbranch_execz .LBB6_10385
; %bb.9773:                             ;   in Loop: Header=BB6_9081 Depth=3
	v_cmp_eq_u16_sdwa s74, v117, v62 src0_sel:BYTE_0 src1_sel:DWORD
	s_mov_b32 s16, -1
	s_and_saveexec_b32 s73, s74
; %bb.9774:                             ;   in Loop: Header=BB6_9081 Depth=3
	s_xor_b32 s16, exec_lo, -1
; %bb.9775:                             ;   in Loop: Header=BB6_9081 Depth=3
	s_or_b32 exec_lo, exec_lo, s73
	s_and_b32 s16, s16, exec_lo
	s_or_saveexec_b32 s23, s23
	v_mov_b32_e32 v86, 0x7f800001
	s_xor_b32 exec_lo, exec_lo, s23
	s_cbranch_execnz .LBB6_10386
.LBB6_9776:                             ;   in Loop: Header=BB6_9081 Depth=3
	s_or_b32 exec_lo, exec_lo, s23
	s_and_saveexec_b32 s23, s16
	s_cbranch_execz .LBB6_9778
.LBB6_9777:                             ;   in Loop: Header=BB6_9081 Depth=3
	v_and_b32_e32 v86, 7, v117
	v_lshrrev_b16 v98, 3, v117
	v_lshlrev_b32_e32 v112, 24, v117
	v_ffbh_u32_e32 v87, v86
	v_and_b32_e32 v98, 15, v98
	v_min_u32_e32 v87, 32, v87
	v_cmp_eq_u32_e32 vcc_lo, 0, v98
	v_subrev_nc_u32_e32 v99, 28, v87
	v_sub_nc_u32_e32 v87, 29, v87
	v_lshlrev_b32_e32 v99, v99, v117
	v_cndmask_b32_e32 v87, v98, v87, vcc_lo
	v_and_b32_e32 v98, 0x80000000, v112
	v_and_b32_e32 v99, 7, v99
	v_lshl_add_u32 v87, v87, 23, 0x3b800000
	v_cndmask_b32_e32 v86, v86, v99, vcc_lo
	v_lshlrev_b32_e32 v86, 20, v86
	v_or3_b32 v86, v98, v87, v86
.LBB6_9778:                             ;   in Loop: Header=BB6_9081 Depth=3
	s_or_b32 exec_lo, exec_lo, s23
	v_max_f32_e32 v86, v86, v86
	v_max_f32_e32 v17, v17, v17
	s_mov_b32 s16, 0
	v_max_f32_e32 v17, v17, v86
.LBB6_9779:                             ;   in Loop: Header=BB6_9081 Depth=3
	s_and_b32 vcc_lo, exec_lo, s16
	s_cbranch_vccz .LBB6_9793
; %bb.9780:                             ;   in Loop: Header=BB6_9081 Depth=3
	v_cmp_gt_i16_sdwa s23, v118, v61 src0_sel:BYTE_0 src1_sel:DWORD
	s_mov_b32 s16, 0
	s_and_saveexec_b32 s73, s23
	s_xor_b32 s23, exec_lo, s73
	s_cbranch_execz .LBB6_10387
; %bb.9781:                             ;   in Loop: Header=BB6_9081 Depth=3
	v_cmp_eq_u16_sdwa s74, v118, v62 src0_sel:BYTE_0 src1_sel:DWORD
	s_mov_b32 s16, -1
	s_and_saveexec_b32 s73, s74
; %bb.9782:                             ;   in Loop: Header=BB6_9081 Depth=3
	s_xor_b32 s16, exec_lo, -1
; %bb.9783:                             ;   in Loop: Header=BB6_9081 Depth=3
	s_or_b32 exec_lo, exec_lo, s73
	s_and_b32 s16, s16, exec_lo
	s_or_saveexec_b32 s23, s23
	v_mov_b32_e32 v17, 0x7f800001
	s_xor_b32 exec_lo, exec_lo, s23
	s_cbranch_execnz .LBB6_10388
.LBB6_9784:                             ;   in Loop: Header=BB6_9081 Depth=3
	s_or_b32 exec_lo, exec_lo, s23
	s_and_saveexec_b32 s23, s16
	s_cbranch_execz .LBB6_9786
.LBB6_9785:                             ;   in Loop: Header=BB6_9081 Depth=3
	v_and_b32_e32 v17, 7, v118
	v_lshrrev_b16 v87, 3, v118
	v_lshlrev_b32_e32 v99, 24, v118
	v_ffbh_u32_e32 v86, v17
	v_and_b32_e32 v87, 15, v87
	v_min_u32_e32 v86, 32, v86
	v_cmp_eq_u32_e32 vcc_lo, 0, v87
	v_subrev_nc_u32_e32 v98, 28, v86
	v_sub_nc_u32_e32 v86, 29, v86
	v_lshlrev_b32_e32 v98, v98, v118
	v_cndmask_b32_e32 v86, v87, v86, vcc_lo
	v_and_b32_e32 v87, 0x80000000, v99
	v_and_b32_e32 v98, 7, v98
	v_lshl_add_u32 v86, v86, 23, 0x3b800000
	v_cndmask_b32_e32 v17, v17, v98, vcc_lo
	v_lshlrev_b32_e32 v17, 20, v17
	v_or3_b32 v17, v87, v86, v17
.LBB6_9786:                             ;   in Loop: Header=BB6_9081 Depth=3
	s_or_b32 exec_lo, exec_lo, s23
	s_waitcnt vmcnt(12) lgkmcnt(12)
	v_cmp_gt_i16_sdwa s23, v117, v61 src0_sel:BYTE_0 src1_sel:DWORD
	s_mov_b32 s16, 0
	s_and_saveexec_b32 s73, s23
	s_xor_b32 s23, exec_lo, s73
	s_cbranch_execz .LBB6_10389
; %bb.9787:                             ;   in Loop: Header=BB6_9081 Depth=3
	v_cmp_eq_u16_sdwa s74, v117, v62 src0_sel:BYTE_0 src1_sel:DWORD
	s_mov_b32 s16, -1
	s_and_saveexec_b32 s73, s74
; %bb.9788:                             ;   in Loop: Header=BB6_9081 Depth=3
	s_xor_b32 s16, exec_lo, -1
; %bb.9789:                             ;   in Loop: Header=BB6_9081 Depth=3
	s_or_b32 exec_lo, exec_lo, s73
	s_and_b32 s16, s16, exec_lo
	s_or_saveexec_b32 s23, s23
	v_mov_b32_e32 v86, 0x7f800001
	s_xor_b32 exec_lo, exec_lo, s23
	s_cbranch_execnz .LBB6_10390
.LBB6_9790:                             ;   in Loop: Header=BB6_9081 Depth=3
	s_or_b32 exec_lo, exec_lo, s23
	s_and_saveexec_b32 s23, s16
	s_cbranch_execz .LBB6_9792
.LBB6_9791:                             ;   in Loop: Header=BB6_9081 Depth=3
	v_and_b32_e32 v86, 7, v117
	v_lshrrev_b16 v98, 3, v117
	v_lshlrev_b32_e32 v112, 24, v117
	v_ffbh_u32_e32 v87, v86
	v_and_b32_e32 v98, 15, v98
	v_min_u32_e32 v87, 32, v87
	v_cmp_eq_u32_e32 vcc_lo, 0, v98
	v_subrev_nc_u32_e32 v99, 28, v87
	v_sub_nc_u32_e32 v87, 29, v87
	v_lshlrev_b32_e32 v99, v99, v117
	v_cndmask_b32_e32 v87, v98, v87, vcc_lo
	v_and_b32_e32 v98, 0x80000000, v112
	v_and_b32_e32 v99, 7, v99
	v_lshl_add_u32 v87, v87, 23, 0x3b800000
	v_cndmask_b32_e32 v86, v86, v99, vcc_lo
	v_lshlrev_b32_e32 v86, 20, v86
	v_or3_b32 v86, v98, v87, v86
.LBB6_9792:                             ;   in Loop: Header=BB6_9081 Depth=3
	s_or_b32 exec_lo, exec_lo, s23
	v_max_f32_e32 v86, v86, v86
	v_max_f32_e32 v17, v17, v17
	v_min_f32_e32 v17, v17, v86
.LBB6_9793:                             ;   in Loop: Header=BB6_9081 Depth=3
	v_and_b32_e32 v86, 0x7f800000, v17
	s_waitcnt vmcnt(12) lgkmcnt(12)
	v_mov_b32_e32 v117, 0x80
	s_mov_b32 s23, exec_lo
	v_cmpx_ne_u32_e32 0x7f800000, v86
	s_cbranch_execz .LBB6_9801
; %bb.9794:                             ;   in Loop: Header=BB6_9081 Depth=3
	v_mov_b32_e32 v117, 0
	s_mov_b32 s73, exec_lo
	v_cmpx_ne_u32_e32 0, v17
	s_cbranch_execz .LBB6_9800
; %bb.9795:                             ;   in Loop: Header=BB6_9081 Depth=3
	v_bfe_u32 v87, v17, 23, 8
	v_and_b32_e32 v86, 0x7fffff, v17
                                        ; implicit-def: $vgpr113
	v_cmp_gt_u32_e64 s16, 0x79, v87
	v_sub_nc_u32_e32 v98, 0x78, v87
	v_cmp_eq_u32_e32 vcc_lo, 0, v87
	v_or_b32_e32 v99, 0x800000, v86
	v_add_nc_u32_e32 v87, 0xffffff89, v87
	v_cndmask_b32_e64 v98, 0, v98, s16
	v_cndmask_b32_e32 v86, v99, v86, vcc_lo
	v_cndmask_b32_e64 v87, v87, 0xffffff8a, vcc_lo
	v_cndmask_b32_e64 v98, v98, 0x77, vcc_lo
	v_lshl_add_u32 v99, 0x100000, v98, -1
	v_lshlrev_b32_e64 v112, v98, 0x80000
	v_and_b32_e32 v99, v99, v86
	v_lshrrev_b32_e32 v86, v98, v86
	v_add_nc_u32_e32 v98, v98, v87
	v_cmp_eq_u32_e64 s16, v99, v112
	v_lshrrev_b32_e32 v87, 23, v86
	v_xor_b32_e32 v99, 1, v87
	v_bfe_u32 v87, v86, 20, 1
	v_add_nc_u32_e32 v87, -1, v87
	v_cndmask_b32_e64 v87, 0, v87, s16
	s_mov_b32 s16, exec_lo
	v_add_nc_u32_e32 v87, v87, v86
	v_and_b32_e32 v87, 0xfffff, v87
	v_add_nc_u32_e32 v112, v87, v86
	v_cmpx_ne_u32_e64 v98, v99
	s_xor_b32 s16, exec_lo, s16
; %bb.9796:                             ;   in Loop: Header=BB6_9081 Depth=3
	v_cmp_lt_u32_e32 vcc_lo, 0xffffff, v112
	v_sub_nc_u32_e32 v86, v98, v99
	v_cndmask_b32_e64 v87, 0, 1, vcc_lo
	v_add_co_ci_u32_e64 v113, null, 0, v86, vcc_lo
	v_lshrrev_b32_e32 v112, v87, v112
; %bb.9797:                             ;   in Loop: Header=BB6_9081 Depth=3
	s_andn2_saveexec_b32 s16, s16
; %bb.9798:                             ;   in Loop: Header=BB6_9081 Depth=3
	v_bfe_u32 v113, v112, 23, 1
; %bb.9799:                             ;   in Loop: Header=BB6_9081 Depth=3
	s_or_b32 exec_lo, exec_lo, s16
	v_lshrrev_b32_e32 v86, 20, v112
	v_cmp_gt_i32_e32 vcc_lo, 16, v113
	v_min_i32_e32 v87, 15, v113
	v_and_b32_sdwa v17, v17, v62 dst_sel:DWORD dst_unused:UNUSED_PAD src0_sel:BYTE_3 src1_sel:DWORD
	v_cndmask_b32_e32 v86, 7, v86, vcc_lo
	v_lshlrev_b32_e32 v87, 3, v87
	v_or_b32_e32 v98, v113, v86
	v_and_b32_e32 v86, 7, v86
	v_cmp_ne_u32_e32 vcc_lo, 0, v98
	v_or3_b32 v17, v87, v17, v86
	v_cndmask_b32_e32 v117, 0, v17, vcc_lo
.LBB6_9800:                             ;   in Loop: Header=BB6_9081 Depth=3
	s_or_b32 exec_lo, exec_lo, s73
.LBB6_9801:                             ;   in Loop: Header=BB6_9081 Depth=3
	s_or_b32 exec_lo, exec_lo, s23
	v_cmp_gt_i16_sdwa s23, v115, v61 src0_sel:BYTE_0 src1_sel:DWORD
	s_andn2_b32 vcc_lo, exec_lo, s19
	s_mov_b32 s16, -1
                                        ; implicit-def: $vgpr17
	s_cbranch_vccnz .LBB6_9815
; %bb.9802:                             ;   in Loop: Header=BB6_9081 Depth=3
	s_mov_b32 s16, 0
	s_and_saveexec_b32 s73, s23
	s_xor_b32 s23, exec_lo, s73
	s_cbranch_execz .LBB6_10391
; %bb.9803:                             ;   in Loop: Header=BB6_9081 Depth=3
	v_cmp_eq_u16_sdwa s74, v115, v62 src0_sel:BYTE_0 src1_sel:DWORD
	s_mov_b32 s16, -1
	s_and_saveexec_b32 s73, s74
; %bb.9804:                             ;   in Loop: Header=BB6_9081 Depth=3
	s_xor_b32 s16, exec_lo, -1
; %bb.9805:                             ;   in Loop: Header=BB6_9081 Depth=3
	s_or_b32 exec_lo, exec_lo, s73
	s_and_b32 s16, s16, exec_lo
	s_or_saveexec_b32 s23, s23
	v_mov_b32_e32 v17, 0x7f800001
	s_xor_b32 exec_lo, exec_lo, s23
	s_cbranch_execnz .LBB6_10392
.LBB6_9806:                             ;   in Loop: Header=BB6_9081 Depth=3
	s_or_b32 exec_lo, exec_lo, s23
	s_and_saveexec_b32 s23, s16
	s_cbranch_execz .LBB6_9808
.LBB6_9807:                             ;   in Loop: Header=BB6_9081 Depth=3
	v_and_b32_e32 v17, 7, v115
	v_lshrrev_b16 v87, 3, v115
	v_lshlrev_b32_e32 v99, 24, v115
	v_ffbh_u32_e32 v86, v17
	v_and_b32_e32 v87, 15, v87
	v_min_u32_e32 v86, 32, v86
	v_cmp_eq_u32_e32 vcc_lo, 0, v87
	v_subrev_nc_u32_e32 v98, 28, v86
	v_sub_nc_u32_e32 v86, 29, v86
	v_lshlrev_b32_e32 v98, v98, v115
	v_cndmask_b32_e32 v86, v87, v86, vcc_lo
	v_and_b32_e32 v87, 0x80000000, v99
	v_and_b32_e32 v98, 7, v98
	v_lshl_add_u32 v86, v86, 23, 0x3b800000
	v_cndmask_b32_e32 v17, v17, v98, vcc_lo
	v_lshlrev_b32_e32 v17, 20, v17
	v_or3_b32 v17, v87, v86, v17
.LBB6_9808:                             ;   in Loop: Header=BB6_9081 Depth=3
	s_or_b32 exec_lo, exec_lo, s23
	s_waitcnt vmcnt(11) lgkmcnt(11)
	v_cmp_gt_i16_sdwa s23, v114, v61 src0_sel:BYTE_0 src1_sel:DWORD
	s_mov_b32 s16, 0
	s_and_saveexec_b32 s73, s23
	s_xor_b32 s23, exec_lo, s73
	s_cbranch_execz .LBB6_10393
; %bb.9809:                             ;   in Loop: Header=BB6_9081 Depth=3
	v_cmp_eq_u16_sdwa s74, v114, v62 src0_sel:BYTE_0 src1_sel:DWORD
	s_mov_b32 s16, -1
	s_and_saveexec_b32 s73, s74
; %bb.9810:                             ;   in Loop: Header=BB6_9081 Depth=3
	s_xor_b32 s16, exec_lo, -1
; %bb.9811:                             ;   in Loop: Header=BB6_9081 Depth=3
	s_or_b32 exec_lo, exec_lo, s73
	s_and_b32 s16, s16, exec_lo
	s_or_saveexec_b32 s23, s23
	v_mov_b32_e32 v86, 0x7f800001
	s_xor_b32 exec_lo, exec_lo, s23
	s_cbranch_execnz .LBB6_10394
.LBB6_9812:                             ;   in Loop: Header=BB6_9081 Depth=3
	s_or_b32 exec_lo, exec_lo, s23
	s_and_saveexec_b32 s23, s16
	s_cbranch_execz .LBB6_9814
.LBB6_9813:                             ;   in Loop: Header=BB6_9081 Depth=3
	v_and_b32_e32 v86, 7, v114
	v_lshrrev_b16 v98, 3, v114
	v_lshlrev_b32_e32 v112, 24, v114
	v_ffbh_u32_e32 v87, v86
	v_and_b32_e32 v98, 15, v98
	v_min_u32_e32 v87, 32, v87
	v_cmp_eq_u32_e32 vcc_lo, 0, v98
	v_subrev_nc_u32_e32 v99, 28, v87
	v_sub_nc_u32_e32 v87, 29, v87
	v_lshlrev_b32_e32 v99, v99, v114
	v_cndmask_b32_e32 v87, v98, v87, vcc_lo
	v_and_b32_e32 v98, 0x80000000, v112
	v_and_b32_e32 v99, 7, v99
	v_lshl_add_u32 v87, v87, 23, 0x3b800000
	v_cndmask_b32_e32 v86, v86, v99, vcc_lo
	v_lshlrev_b32_e32 v86, 20, v86
	v_or3_b32 v86, v98, v87, v86
.LBB6_9814:                             ;   in Loop: Header=BB6_9081 Depth=3
	s_or_b32 exec_lo, exec_lo, s23
	v_max_f32_e32 v86, v86, v86
	v_max_f32_e32 v17, v17, v17
	s_mov_b32 s16, 0
	v_max_f32_e32 v17, v17, v86
.LBB6_9815:                             ;   in Loop: Header=BB6_9081 Depth=3
	s_and_b32 vcc_lo, exec_lo, s16
	s_cbranch_vccz .LBB6_9829
; %bb.9816:                             ;   in Loop: Header=BB6_9081 Depth=3
	v_cmp_gt_i16_sdwa s23, v115, v61 src0_sel:BYTE_0 src1_sel:DWORD
	s_mov_b32 s16, 0
	s_and_saveexec_b32 s73, s23
	s_xor_b32 s23, exec_lo, s73
	s_cbranch_execz .LBB6_10395
; %bb.9817:                             ;   in Loop: Header=BB6_9081 Depth=3
	v_cmp_eq_u16_sdwa s74, v115, v62 src0_sel:BYTE_0 src1_sel:DWORD
	s_mov_b32 s16, -1
	s_and_saveexec_b32 s73, s74
; %bb.9818:                             ;   in Loop: Header=BB6_9081 Depth=3
	s_xor_b32 s16, exec_lo, -1
; %bb.9819:                             ;   in Loop: Header=BB6_9081 Depth=3
	s_or_b32 exec_lo, exec_lo, s73
	s_and_b32 s16, s16, exec_lo
	s_or_saveexec_b32 s23, s23
	v_mov_b32_e32 v17, 0x7f800001
	s_xor_b32 exec_lo, exec_lo, s23
	s_cbranch_execnz .LBB6_10396
.LBB6_9820:                             ;   in Loop: Header=BB6_9081 Depth=3
	s_or_b32 exec_lo, exec_lo, s23
	s_and_saveexec_b32 s23, s16
	s_cbranch_execz .LBB6_9822
.LBB6_9821:                             ;   in Loop: Header=BB6_9081 Depth=3
	v_and_b32_e32 v17, 7, v115
	v_lshrrev_b16 v87, 3, v115
	v_lshlrev_b32_e32 v99, 24, v115
	v_ffbh_u32_e32 v86, v17
	v_and_b32_e32 v87, 15, v87
	v_min_u32_e32 v86, 32, v86
	v_cmp_eq_u32_e32 vcc_lo, 0, v87
	v_subrev_nc_u32_e32 v98, 28, v86
	v_sub_nc_u32_e32 v86, 29, v86
	v_lshlrev_b32_e32 v98, v98, v115
	v_cndmask_b32_e32 v86, v87, v86, vcc_lo
	v_and_b32_e32 v87, 0x80000000, v99
	v_and_b32_e32 v98, 7, v98
	v_lshl_add_u32 v86, v86, 23, 0x3b800000
	v_cndmask_b32_e32 v17, v17, v98, vcc_lo
	v_lshlrev_b32_e32 v17, 20, v17
	v_or3_b32 v17, v87, v86, v17
.LBB6_9822:                             ;   in Loop: Header=BB6_9081 Depth=3
	s_or_b32 exec_lo, exec_lo, s23
	s_waitcnt vmcnt(11) lgkmcnt(11)
	v_cmp_gt_i16_sdwa s23, v114, v61 src0_sel:BYTE_0 src1_sel:DWORD
	s_mov_b32 s16, 0
	s_and_saveexec_b32 s73, s23
	s_xor_b32 s23, exec_lo, s73
	s_cbranch_execz .LBB6_10397
; %bb.9823:                             ;   in Loop: Header=BB6_9081 Depth=3
	v_cmp_eq_u16_sdwa s74, v114, v62 src0_sel:BYTE_0 src1_sel:DWORD
	s_mov_b32 s16, -1
	s_and_saveexec_b32 s73, s74
; %bb.9824:                             ;   in Loop: Header=BB6_9081 Depth=3
	s_xor_b32 s16, exec_lo, -1
; %bb.9825:                             ;   in Loop: Header=BB6_9081 Depth=3
	s_or_b32 exec_lo, exec_lo, s73
	s_and_b32 s16, s16, exec_lo
	s_or_saveexec_b32 s23, s23
	v_mov_b32_e32 v86, 0x7f800001
	s_xor_b32 exec_lo, exec_lo, s23
	s_cbranch_execnz .LBB6_10398
.LBB6_9826:                             ;   in Loop: Header=BB6_9081 Depth=3
	s_or_b32 exec_lo, exec_lo, s23
	s_and_saveexec_b32 s23, s16
	s_cbranch_execz .LBB6_9828
.LBB6_9827:                             ;   in Loop: Header=BB6_9081 Depth=3
	v_and_b32_e32 v86, 7, v114
	v_lshrrev_b16 v98, 3, v114
	v_lshlrev_b32_e32 v112, 24, v114
	v_ffbh_u32_e32 v87, v86
	v_and_b32_e32 v98, 15, v98
	v_min_u32_e32 v87, 32, v87
	v_cmp_eq_u32_e32 vcc_lo, 0, v98
	v_subrev_nc_u32_e32 v99, 28, v87
	v_sub_nc_u32_e32 v87, 29, v87
	v_lshlrev_b32_e32 v99, v99, v114
	v_cndmask_b32_e32 v87, v98, v87, vcc_lo
	v_and_b32_e32 v98, 0x80000000, v112
	v_and_b32_e32 v99, 7, v99
	v_lshl_add_u32 v87, v87, 23, 0x3b800000
	v_cndmask_b32_e32 v86, v86, v99, vcc_lo
	v_lshlrev_b32_e32 v86, 20, v86
	v_or3_b32 v86, v98, v87, v86
.LBB6_9828:                             ;   in Loop: Header=BB6_9081 Depth=3
	s_or_b32 exec_lo, exec_lo, s23
	v_max_f32_e32 v86, v86, v86
	v_max_f32_e32 v17, v17, v17
	v_min_f32_e32 v17, v17, v86
.LBB6_9829:                             ;   in Loop: Header=BB6_9081 Depth=3
	v_and_b32_e32 v86, 0x7f800000, v17
	s_waitcnt vmcnt(11) lgkmcnt(11)
	v_mov_b32_e32 v114, 0x80
	s_mov_b32 s23, exec_lo
	v_cmpx_ne_u32_e32 0x7f800000, v86
	s_cbranch_execz .LBB6_9837
; %bb.9830:                             ;   in Loop: Header=BB6_9081 Depth=3
	v_mov_b32_e32 v114, 0
	s_mov_b32 s73, exec_lo
	v_cmpx_ne_u32_e32 0, v17
	s_cbranch_execz .LBB6_9836
; %bb.9831:                             ;   in Loop: Header=BB6_9081 Depth=3
	v_bfe_u32 v87, v17, 23, 8
	v_and_b32_e32 v86, 0x7fffff, v17
                                        ; implicit-def: $vgpr113
	v_cmp_gt_u32_e64 s16, 0x79, v87
	v_sub_nc_u32_e32 v98, 0x78, v87
	v_cmp_eq_u32_e32 vcc_lo, 0, v87
	v_or_b32_e32 v99, 0x800000, v86
	v_add_nc_u32_e32 v87, 0xffffff89, v87
	v_cndmask_b32_e64 v98, 0, v98, s16
	v_cndmask_b32_e32 v86, v99, v86, vcc_lo
	v_cndmask_b32_e64 v87, v87, 0xffffff8a, vcc_lo
	v_cndmask_b32_e64 v98, v98, 0x77, vcc_lo
	v_lshl_add_u32 v99, 0x100000, v98, -1
	v_lshlrev_b32_e64 v112, v98, 0x80000
	v_and_b32_e32 v99, v99, v86
	v_lshrrev_b32_e32 v86, v98, v86
	v_add_nc_u32_e32 v98, v98, v87
	v_cmp_eq_u32_e64 s16, v99, v112
	v_lshrrev_b32_e32 v87, 23, v86
	v_xor_b32_e32 v99, 1, v87
	v_bfe_u32 v87, v86, 20, 1
	v_add_nc_u32_e32 v87, -1, v87
	v_cndmask_b32_e64 v87, 0, v87, s16
	s_mov_b32 s16, exec_lo
	v_add_nc_u32_e32 v87, v87, v86
	v_and_b32_e32 v87, 0xfffff, v87
	v_add_nc_u32_e32 v112, v87, v86
	v_cmpx_ne_u32_e64 v98, v99
	s_xor_b32 s16, exec_lo, s16
; %bb.9832:                             ;   in Loop: Header=BB6_9081 Depth=3
	v_cmp_lt_u32_e32 vcc_lo, 0xffffff, v112
	v_sub_nc_u32_e32 v86, v98, v99
	v_cndmask_b32_e64 v87, 0, 1, vcc_lo
	v_add_co_ci_u32_e64 v113, null, 0, v86, vcc_lo
	v_lshrrev_b32_e32 v112, v87, v112
; %bb.9833:                             ;   in Loop: Header=BB6_9081 Depth=3
	s_andn2_saveexec_b32 s16, s16
; %bb.9834:                             ;   in Loop: Header=BB6_9081 Depth=3
	v_bfe_u32 v113, v112, 23, 1
; %bb.9835:                             ;   in Loop: Header=BB6_9081 Depth=3
	s_or_b32 exec_lo, exec_lo, s16
	v_lshrrev_b32_e32 v86, 20, v112
	v_cmp_gt_i32_e32 vcc_lo, 16, v113
	v_min_i32_e32 v87, 15, v113
	v_and_b32_sdwa v17, v17, v62 dst_sel:DWORD dst_unused:UNUSED_PAD src0_sel:BYTE_3 src1_sel:DWORD
	v_cndmask_b32_e32 v86, 7, v86, vcc_lo
	v_lshlrev_b32_e32 v87, 3, v87
	v_or_b32_e32 v98, v113, v86
	v_and_b32_e32 v86, 7, v86
	v_cmp_ne_u32_e32 vcc_lo, 0, v98
	v_or3_b32 v17, v87, v17, v86
	v_cndmask_b32_e32 v114, 0, v17, vcc_lo
.LBB6_9836:                             ;   in Loop: Header=BB6_9081 Depth=3
	s_or_b32 exec_lo, exec_lo, s73
.LBB6_9837:                             ;   in Loop: Header=BB6_9081 Depth=3
	s_or_b32 exec_lo, exec_lo, s23
	v_cmp_gt_i16_sdwa s23, v84, v61 src0_sel:BYTE_0 src1_sel:DWORD
	s_andn2_b32 vcc_lo, exec_lo, s19
	s_mov_b32 s16, -1
                                        ; implicit-def: $vgpr17
	s_cbranch_vccnz .LBB6_9851
; %bb.9838:                             ;   in Loop: Header=BB6_9081 Depth=3
	s_mov_b32 s16, 0
	s_and_saveexec_b32 s73, s23
	s_xor_b32 s23, exec_lo, s73
	s_cbranch_execz .LBB6_10399
; %bb.9839:                             ;   in Loop: Header=BB6_9081 Depth=3
	v_cmp_eq_u16_sdwa s74, v84, v62 src0_sel:BYTE_0 src1_sel:DWORD
	s_mov_b32 s16, -1
	s_and_saveexec_b32 s73, s74
; %bb.9840:                             ;   in Loop: Header=BB6_9081 Depth=3
	s_xor_b32 s16, exec_lo, -1
; %bb.9841:                             ;   in Loop: Header=BB6_9081 Depth=3
	s_or_b32 exec_lo, exec_lo, s73
	s_and_b32 s16, s16, exec_lo
	s_or_saveexec_b32 s23, s23
	v_mov_b32_e32 v17, 0x7f800001
	s_xor_b32 exec_lo, exec_lo, s23
	s_cbranch_execnz .LBB6_10400
.LBB6_9842:                             ;   in Loop: Header=BB6_9081 Depth=3
	s_or_b32 exec_lo, exec_lo, s23
	s_and_saveexec_b32 s23, s16
	s_cbranch_execz .LBB6_9844
.LBB6_9843:                             ;   in Loop: Header=BB6_9081 Depth=3
	v_and_b32_e32 v17, 7, v84
	v_lshrrev_b16 v87, 3, v84
	v_lshlrev_b32_e32 v99, 24, v84
	v_ffbh_u32_e32 v86, v17
	v_and_b32_e32 v87, 15, v87
	v_min_u32_e32 v86, 32, v86
	v_cmp_eq_u32_e32 vcc_lo, 0, v87
	v_subrev_nc_u32_e32 v98, 28, v86
	v_sub_nc_u32_e32 v86, 29, v86
	v_lshlrev_b32_e32 v98, v98, v84
	v_cndmask_b32_e32 v86, v87, v86, vcc_lo
	v_and_b32_e32 v87, 0x80000000, v99
	v_and_b32_e32 v98, 7, v98
	v_lshl_add_u32 v86, v86, 23, 0x3b800000
	v_cndmask_b32_e32 v17, v17, v98, vcc_lo
	v_lshlrev_b32_e32 v17, 20, v17
	v_or3_b32 v17, v87, v86, v17
.LBB6_9844:                             ;   in Loop: Header=BB6_9081 Depth=3
	s_or_b32 exec_lo, exec_lo, s23
	s_waitcnt vmcnt(10) lgkmcnt(10)
	v_cmp_gt_i16_sdwa s23, v83, v61 src0_sel:BYTE_0 src1_sel:DWORD
	s_mov_b32 s16, 0
	s_and_saveexec_b32 s73, s23
	s_xor_b32 s23, exec_lo, s73
	s_cbranch_execz .LBB6_10401
; %bb.9845:                             ;   in Loop: Header=BB6_9081 Depth=3
	v_cmp_eq_u16_sdwa s74, v83, v62 src0_sel:BYTE_0 src1_sel:DWORD
	s_mov_b32 s16, -1
	s_and_saveexec_b32 s73, s74
; %bb.9846:                             ;   in Loop: Header=BB6_9081 Depth=3
	s_xor_b32 s16, exec_lo, -1
; %bb.9847:                             ;   in Loop: Header=BB6_9081 Depth=3
	s_or_b32 exec_lo, exec_lo, s73
	s_and_b32 s16, s16, exec_lo
	s_or_saveexec_b32 s23, s23
	v_mov_b32_e32 v86, 0x7f800001
	s_xor_b32 exec_lo, exec_lo, s23
	s_cbranch_execnz .LBB6_10402
.LBB6_9848:                             ;   in Loop: Header=BB6_9081 Depth=3
	s_or_b32 exec_lo, exec_lo, s23
	s_and_saveexec_b32 s23, s16
	s_cbranch_execz .LBB6_9850
.LBB6_9849:                             ;   in Loop: Header=BB6_9081 Depth=3
	v_and_b32_e32 v86, 7, v83
	v_lshrrev_b16 v98, 3, v83
	v_lshlrev_b32_e32 v112, 24, v83
	v_ffbh_u32_e32 v87, v86
	v_and_b32_e32 v98, 15, v98
	v_min_u32_e32 v87, 32, v87
	v_cmp_eq_u32_e32 vcc_lo, 0, v98
	v_subrev_nc_u32_e32 v99, 28, v87
	v_sub_nc_u32_e32 v87, 29, v87
	v_lshlrev_b32_e32 v99, v99, v83
	v_cndmask_b32_e32 v87, v98, v87, vcc_lo
	v_and_b32_e32 v98, 0x80000000, v112
	v_and_b32_e32 v99, 7, v99
	v_lshl_add_u32 v87, v87, 23, 0x3b800000
	v_cndmask_b32_e32 v86, v86, v99, vcc_lo
	v_lshlrev_b32_e32 v86, 20, v86
	v_or3_b32 v86, v98, v87, v86
.LBB6_9850:                             ;   in Loop: Header=BB6_9081 Depth=3
	s_or_b32 exec_lo, exec_lo, s23
	v_max_f32_e32 v86, v86, v86
	v_max_f32_e32 v17, v17, v17
	s_mov_b32 s16, 0
	v_max_f32_e32 v17, v17, v86
.LBB6_9851:                             ;   in Loop: Header=BB6_9081 Depth=3
	s_and_b32 vcc_lo, exec_lo, s16
	s_cbranch_vccz .LBB6_9865
; %bb.9852:                             ;   in Loop: Header=BB6_9081 Depth=3
	v_cmp_gt_i16_sdwa s23, v84, v61 src0_sel:BYTE_0 src1_sel:DWORD
	s_mov_b32 s16, 0
	s_and_saveexec_b32 s73, s23
	s_xor_b32 s23, exec_lo, s73
	s_cbranch_execz .LBB6_10403
; %bb.9853:                             ;   in Loop: Header=BB6_9081 Depth=3
	v_cmp_eq_u16_sdwa s74, v84, v62 src0_sel:BYTE_0 src1_sel:DWORD
	s_mov_b32 s16, -1
	s_and_saveexec_b32 s73, s74
; %bb.9854:                             ;   in Loop: Header=BB6_9081 Depth=3
	s_xor_b32 s16, exec_lo, -1
; %bb.9855:                             ;   in Loop: Header=BB6_9081 Depth=3
	s_or_b32 exec_lo, exec_lo, s73
	s_and_b32 s16, s16, exec_lo
	s_or_saveexec_b32 s23, s23
	v_mov_b32_e32 v17, 0x7f800001
	s_xor_b32 exec_lo, exec_lo, s23
	s_cbranch_execnz .LBB6_10404
.LBB6_9856:                             ;   in Loop: Header=BB6_9081 Depth=3
	s_or_b32 exec_lo, exec_lo, s23
	s_and_saveexec_b32 s23, s16
	s_cbranch_execz .LBB6_9858
.LBB6_9857:                             ;   in Loop: Header=BB6_9081 Depth=3
	v_and_b32_e32 v17, 7, v84
	v_lshrrev_b16 v87, 3, v84
	v_ffbh_u32_e32 v86, v17
	v_and_b32_e32 v87, 15, v87
	v_min_u32_e32 v86, 32, v86
	v_cmp_eq_u32_e32 vcc_lo, 0, v87
	v_subrev_nc_u32_e32 v98, 28, v86
	v_sub_nc_u32_e32 v86, 29, v86
	v_lshlrev_b32_e32 v98, v98, v84
	v_lshlrev_b32_e32 v84, 24, v84
	v_cndmask_b32_e32 v86, v87, v86, vcc_lo
	v_and_b32_e32 v98, 7, v98
	v_and_b32_e32 v84, 0x80000000, v84
	v_lshl_add_u32 v86, v86, 23, 0x3b800000
	v_cndmask_b32_e32 v17, v17, v98, vcc_lo
	v_lshlrev_b32_e32 v17, 20, v17
	v_or3_b32 v17, v84, v86, v17
.LBB6_9858:                             ;   in Loop: Header=BB6_9081 Depth=3
	s_or_b32 exec_lo, exec_lo, s23
	s_waitcnt vmcnt(10) lgkmcnt(10)
	v_cmp_gt_i16_sdwa s23, v83, v61 src0_sel:BYTE_0 src1_sel:DWORD
	s_mov_b32 s16, 0
	s_and_saveexec_b32 s73, s23
	s_xor_b32 s23, exec_lo, s73
	s_cbranch_execz .LBB6_10405
; %bb.9859:                             ;   in Loop: Header=BB6_9081 Depth=3
	v_cmp_eq_u16_sdwa s74, v83, v62 src0_sel:BYTE_0 src1_sel:DWORD
	s_mov_b32 s16, -1
	s_and_saveexec_b32 s73, s74
; %bb.9860:                             ;   in Loop: Header=BB6_9081 Depth=3
	s_xor_b32 s16, exec_lo, -1
; %bb.9861:                             ;   in Loop: Header=BB6_9081 Depth=3
	s_or_b32 exec_lo, exec_lo, s73
	s_and_b32 s16, s16, exec_lo
	s_or_saveexec_b32 s23, s23
	v_mov_b32_e32 v84, 0x7f800001
	s_xor_b32 exec_lo, exec_lo, s23
	s_cbranch_execnz .LBB6_10406
.LBB6_9862:                             ;   in Loop: Header=BB6_9081 Depth=3
	s_or_b32 exec_lo, exec_lo, s23
	s_and_saveexec_b32 s23, s16
	s_cbranch_execz .LBB6_9864
.LBB6_9863:                             ;   in Loop: Header=BB6_9081 Depth=3
	v_and_b32_e32 v84, 7, v83
	v_lshrrev_b16 v87, 3, v83
	v_ffbh_u32_e32 v86, v84
	v_and_b32_e32 v87, 15, v87
	v_min_u32_e32 v86, 32, v86
	v_cmp_eq_u32_e32 vcc_lo, 0, v87
	v_subrev_nc_u32_e32 v98, 28, v86
	v_sub_nc_u32_e32 v86, 29, v86
	v_lshlrev_b32_e32 v98, v98, v83
	v_lshlrev_b32_e32 v83, 24, v83
	v_cndmask_b32_e32 v86, v87, v86, vcc_lo
	v_and_b32_e32 v98, 7, v98
	v_and_b32_e32 v83, 0x80000000, v83
	v_lshl_add_u32 v86, v86, 23, 0x3b800000
	v_cndmask_b32_e32 v84, v84, v98, vcc_lo
	v_lshlrev_b32_e32 v84, 20, v84
	v_or3_b32 v84, v83, v86, v84
.LBB6_9864:                             ;   in Loop: Header=BB6_9081 Depth=3
	s_or_b32 exec_lo, exec_lo, s23
	v_max_f32_e32 v83, v84, v84
	v_max_f32_e32 v17, v17, v17
	v_min_f32_e32 v17, v17, v83
.LBB6_9865:                             ;   in Loop: Header=BB6_9081 Depth=3
	s_waitcnt vmcnt(10) lgkmcnt(10)
	v_and_b32_e32 v83, 0x7f800000, v17
	v_cmp_ne_u32_e32 vcc_lo, 0x7f800000, v83
	v_mov_b32_e32 v83, 0x80
	s_and_saveexec_b32 s23, vcc_lo
	s_cbranch_execz .LBB6_9873
; %bb.9866:                             ;   in Loop: Header=BB6_9081 Depth=3
	v_mov_b32_e32 v83, 0
	s_mov_b32 s73, exec_lo
	v_cmpx_ne_u32_e32 0, v17
	s_cbranch_execz .LBB6_9872
; %bb.9867:                             ;   in Loop: Header=BB6_9081 Depth=3
	v_bfe_u32 v84, v17, 23, 8
	v_and_b32_e32 v83, 0x7fffff, v17
                                        ; implicit-def: $vgpr99
	v_cmp_gt_u32_e64 s16, 0x79, v84
	v_sub_nc_u32_e32 v86, 0x78, v84
	v_cmp_eq_u32_e32 vcc_lo, 0, v84
	v_or_b32_e32 v87, 0x800000, v83
	v_cndmask_b32_e64 v86, 0, v86, s16
	v_cndmask_b32_e32 v83, v87, v83, vcc_lo
	v_cndmask_b32_e64 v86, v86, 0x77, vcc_lo
	v_lshl_add_u32 v87, 0x100000, v86, -1
	v_lshlrev_b32_e64 v98, v86, 0x80000
	v_and_b32_e32 v87, v87, v83
	v_cmp_eq_u32_e64 s16, v87, v98
	v_lshrrev_b32_e32 v87, v86, v83
	v_add_nc_u32_e32 v83, 0xffffff89, v84
	v_lshrrev_b32_e32 v84, 23, v87
	v_cndmask_b32_e64 v83, v83, 0xffffff8a, vcc_lo
	v_xor_b32_e32 v84, 1, v84
	v_add_nc_u32_e32 v83, v86, v83
	v_bfe_u32 v86, v87, 20, 1
	v_add_nc_u32_e32 v86, -1, v86
	v_cndmask_b32_e64 v86, 0, v86, s16
	s_mov_b32 s16, exec_lo
	v_add_nc_u32_e32 v86, v86, v87
	v_and_b32_e32 v86, 0xfffff, v86
	v_add_nc_u32_e32 v98, v86, v87
	v_cmpx_ne_u32_e64 v83, v84
	s_xor_b32 s16, exec_lo, s16
; %bb.9868:                             ;   in Loop: Header=BB6_9081 Depth=3
	v_cmp_lt_u32_e32 vcc_lo, 0xffffff, v98
	v_sub_nc_u32_e32 v83, v83, v84
	v_cndmask_b32_e64 v84, 0, 1, vcc_lo
	v_add_co_ci_u32_e64 v99, null, 0, v83, vcc_lo
	v_lshrrev_b32_e32 v98, v84, v98
; %bb.9869:                             ;   in Loop: Header=BB6_9081 Depth=3
	s_andn2_saveexec_b32 s16, s16
; %bb.9870:                             ;   in Loop: Header=BB6_9081 Depth=3
	v_bfe_u32 v99, v98, 23, 1
; %bb.9871:                             ;   in Loop: Header=BB6_9081 Depth=3
	s_or_b32 exec_lo, exec_lo, s16
	v_lshrrev_b32_e32 v83, 20, v98
	v_cmp_gt_i32_e32 vcc_lo, 16, v99
	v_min_i32_e32 v84, 15, v99
	v_and_b32_sdwa v17, v17, v62 dst_sel:DWORD dst_unused:UNUSED_PAD src0_sel:BYTE_3 src1_sel:DWORD
	v_cndmask_b32_e32 v83, 7, v83, vcc_lo
	v_lshlrev_b32_e32 v84, 3, v84
	v_or_b32_e32 v86, v99, v83
	v_and_b32_e32 v83, 7, v83
	v_cmp_ne_u32_e32 vcc_lo, 0, v86
	v_or3_b32 v17, v84, v17, v83
	v_cndmask_b32_e32 v83, 0, v17, vcc_lo
.LBB6_9872:                             ;   in Loop: Header=BB6_9081 Depth=3
	s_or_b32 exec_lo, exec_lo, s73
.LBB6_9873:                             ;   in Loop: Header=BB6_9081 Depth=3
	s_or_b32 exec_lo, exec_lo, s23
	v_cmp_gt_i16_sdwa s23, v82, v61 src0_sel:BYTE_0 src1_sel:DWORD
	s_andn2_b32 vcc_lo, exec_lo, s19
	s_mov_b32 s16, -1
                                        ; implicit-def: $vgpr17
	s_cbranch_vccnz .LBB6_9887
; %bb.9874:                             ;   in Loop: Header=BB6_9081 Depth=3
	s_mov_b32 s16, 0
	s_and_saveexec_b32 s73, s23
	s_xor_b32 s23, exec_lo, s73
	s_cbranch_execz .LBB6_10407
; %bb.9875:                             ;   in Loop: Header=BB6_9081 Depth=3
	v_cmp_eq_u16_sdwa s74, v82, v62 src0_sel:BYTE_0 src1_sel:DWORD
	s_mov_b32 s16, -1
	s_and_saveexec_b32 s73, s74
; %bb.9876:                             ;   in Loop: Header=BB6_9081 Depth=3
	s_xor_b32 s16, exec_lo, -1
; %bb.9877:                             ;   in Loop: Header=BB6_9081 Depth=3
	s_or_b32 exec_lo, exec_lo, s73
	s_and_b32 s16, s16, exec_lo
	s_or_saveexec_b32 s23, s23
	v_mov_b32_e32 v17, 0x7f800001
	s_xor_b32 exec_lo, exec_lo, s23
	s_cbranch_execnz .LBB6_10408
.LBB6_9878:                             ;   in Loop: Header=BB6_9081 Depth=3
	s_or_b32 exec_lo, exec_lo, s23
	s_and_saveexec_b32 s23, s16
	s_cbranch_execz .LBB6_9880
.LBB6_9879:                             ;   in Loop: Header=BB6_9081 Depth=3
	v_and_b32_e32 v17, 7, v82
	v_lshrrev_b16 v86, 3, v82
	v_lshlrev_b32_e32 v98, 24, v82
	v_ffbh_u32_e32 v84, v17
	v_and_b32_e32 v86, 15, v86
	v_min_u32_e32 v84, 32, v84
	v_cmp_eq_u32_e32 vcc_lo, 0, v86
	v_subrev_nc_u32_e32 v87, 28, v84
	v_sub_nc_u32_e32 v84, 29, v84
	v_lshlrev_b32_e32 v87, v87, v82
	v_cndmask_b32_e32 v84, v86, v84, vcc_lo
	v_and_b32_e32 v86, 0x80000000, v98
	v_and_b32_e32 v87, 7, v87
	v_lshl_add_u32 v84, v84, 23, 0x3b800000
	v_cndmask_b32_e32 v17, v17, v87, vcc_lo
	v_lshlrev_b32_e32 v17, 20, v17
	v_or3_b32 v17, v86, v84, v17
.LBB6_9880:                             ;   in Loop: Header=BB6_9081 Depth=3
	s_or_b32 exec_lo, exec_lo, s23
	s_waitcnt vmcnt(9) lgkmcnt(9)
	v_cmp_gt_i16_sdwa s23, v55, v61 src0_sel:BYTE_0 src1_sel:DWORD
	s_mov_b32 s16, 0
	s_and_saveexec_b32 s73, s23
	s_xor_b32 s23, exec_lo, s73
	s_cbranch_execz .LBB6_10409
; %bb.9881:                             ;   in Loop: Header=BB6_9081 Depth=3
	v_cmp_eq_u16_sdwa s74, v55, v62 src0_sel:BYTE_0 src1_sel:DWORD
	s_mov_b32 s16, -1
	s_and_saveexec_b32 s73, s74
; %bb.9882:                             ;   in Loop: Header=BB6_9081 Depth=3
	s_xor_b32 s16, exec_lo, -1
; %bb.9883:                             ;   in Loop: Header=BB6_9081 Depth=3
	s_or_b32 exec_lo, exec_lo, s73
	s_and_b32 s16, s16, exec_lo
	s_or_saveexec_b32 s23, s23
	v_mov_b32_e32 v84, 0x7f800001
	s_xor_b32 exec_lo, exec_lo, s23
	s_cbranch_execnz .LBB6_10410
.LBB6_9884:                             ;   in Loop: Header=BB6_9081 Depth=3
	s_or_b32 exec_lo, exec_lo, s23
	s_and_saveexec_b32 s23, s16
	s_cbranch_execz .LBB6_9886
.LBB6_9885:                             ;   in Loop: Header=BB6_9081 Depth=3
	v_and_b32_e32 v84, 7, v55
	v_lshrrev_b16 v87, 3, v55
	v_lshlrev_b32_e32 v99, 24, v55
	v_ffbh_u32_e32 v86, v84
	v_and_b32_e32 v87, 15, v87
	v_min_u32_e32 v86, 32, v86
	v_cmp_eq_u32_e32 vcc_lo, 0, v87
	v_subrev_nc_u32_e32 v98, 28, v86
	v_sub_nc_u32_e32 v86, 29, v86
	v_lshlrev_b32_e32 v98, v98, v55
	v_cndmask_b32_e32 v86, v87, v86, vcc_lo
	v_and_b32_e32 v87, 0x80000000, v99
	v_and_b32_e32 v98, 7, v98
	v_lshl_add_u32 v86, v86, 23, 0x3b800000
	v_cndmask_b32_e32 v84, v84, v98, vcc_lo
	v_lshlrev_b32_e32 v84, 20, v84
	v_or3_b32 v84, v87, v86, v84
.LBB6_9886:                             ;   in Loop: Header=BB6_9081 Depth=3
	s_or_b32 exec_lo, exec_lo, s23
	v_max_f32_e32 v84, v84, v84
	v_max_f32_e32 v17, v17, v17
	s_mov_b32 s16, 0
	v_max_f32_e32 v17, v17, v84
.LBB6_9887:                             ;   in Loop: Header=BB6_9081 Depth=3
	s_and_b32 vcc_lo, exec_lo, s16
	s_cbranch_vccz .LBB6_9901
; %bb.9888:                             ;   in Loop: Header=BB6_9081 Depth=3
	v_cmp_gt_i16_sdwa s23, v82, v61 src0_sel:BYTE_0 src1_sel:DWORD
	s_mov_b32 s16, 0
	s_and_saveexec_b32 s73, s23
	s_xor_b32 s23, exec_lo, s73
	s_cbranch_execz .LBB6_10411
; %bb.9889:                             ;   in Loop: Header=BB6_9081 Depth=3
	v_cmp_eq_u16_sdwa s74, v82, v62 src0_sel:BYTE_0 src1_sel:DWORD
	s_mov_b32 s16, -1
	s_and_saveexec_b32 s73, s74
; %bb.9890:                             ;   in Loop: Header=BB6_9081 Depth=3
	s_xor_b32 s16, exec_lo, -1
; %bb.9891:                             ;   in Loop: Header=BB6_9081 Depth=3
	s_or_b32 exec_lo, exec_lo, s73
	s_and_b32 s16, s16, exec_lo
	s_or_saveexec_b32 s23, s23
	v_mov_b32_e32 v17, 0x7f800001
	s_xor_b32 exec_lo, exec_lo, s23
	s_cbranch_execnz .LBB6_10412
.LBB6_9892:                             ;   in Loop: Header=BB6_9081 Depth=3
	s_or_b32 exec_lo, exec_lo, s23
	s_and_saveexec_b32 s23, s16
	s_cbranch_execz .LBB6_9894
.LBB6_9893:                             ;   in Loop: Header=BB6_9081 Depth=3
	v_and_b32_e32 v17, 7, v82
	v_lshrrev_b16 v86, 3, v82
	v_ffbh_u32_e32 v84, v17
	v_and_b32_e32 v86, 15, v86
	v_min_u32_e32 v84, 32, v84
	v_cmp_eq_u32_e32 vcc_lo, 0, v86
	v_subrev_nc_u32_e32 v87, 28, v84
	v_sub_nc_u32_e32 v84, 29, v84
	v_lshlrev_b32_e32 v87, v87, v82
	v_lshlrev_b32_e32 v82, 24, v82
	v_cndmask_b32_e32 v84, v86, v84, vcc_lo
	v_and_b32_e32 v87, 7, v87
	v_and_b32_e32 v82, 0x80000000, v82
	v_lshl_add_u32 v84, v84, 23, 0x3b800000
	v_cndmask_b32_e32 v17, v17, v87, vcc_lo
	v_lshlrev_b32_e32 v17, 20, v17
	v_or3_b32 v17, v82, v84, v17
.LBB6_9894:                             ;   in Loop: Header=BB6_9081 Depth=3
	s_or_b32 exec_lo, exec_lo, s23
	s_waitcnt vmcnt(9) lgkmcnt(9)
	v_cmp_gt_i16_sdwa s23, v55, v61 src0_sel:BYTE_0 src1_sel:DWORD
	s_mov_b32 s16, 0
	s_and_saveexec_b32 s73, s23
	s_xor_b32 s23, exec_lo, s73
	s_cbranch_execz .LBB6_10413
; %bb.9895:                             ;   in Loop: Header=BB6_9081 Depth=3
	v_cmp_eq_u16_sdwa s74, v55, v62 src0_sel:BYTE_0 src1_sel:DWORD
	s_mov_b32 s16, -1
	s_and_saveexec_b32 s73, s74
; %bb.9896:                             ;   in Loop: Header=BB6_9081 Depth=3
	s_xor_b32 s16, exec_lo, -1
; %bb.9897:                             ;   in Loop: Header=BB6_9081 Depth=3
	s_or_b32 exec_lo, exec_lo, s73
	s_and_b32 s16, s16, exec_lo
	s_or_saveexec_b32 s23, s23
	v_mov_b32_e32 v82, 0x7f800001
	s_xor_b32 exec_lo, exec_lo, s23
	s_cbranch_execnz .LBB6_10414
.LBB6_9898:                             ;   in Loop: Header=BB6_9081 Depth=3
	s_or_b32 exec_lo, exec_lo, s23
	s_and_saveexec_b32 s23, s16
	s_cbranch_execz .LBB6_9900
.LBB6_9899:                             ;   in Loop: Header=BB6_9081 Depth=3
	v_and_b32_e32 v82, 7, v55
	v_lshrrev_b16 v86, 3, v55
	v_ffbh_u32_e32 v84, v82
	v_and_b32_e32 v86, 15, v86
	v_min_u32_e32 v84, 32, v84
	v_cmp_eq_u32_e32 vcc_lo, 0, v86
	v_subrev_nc_u32_e32 v87, 28, v84
	v_sub_nc_u32_e32 v84, 29, v84
	v_lshlrev_b32_e32 v87, v87, v55
	v_lshlrev_b32_e32 v55, 24, v55
	v_cndmask_b32_e32 v84, v86, v84, vcc_lo
	v_and_b32_e32 v87, 7, v87
	v_and_b32_e32 v55, 0x80000000, v55
	v_lshl_add_u32 v84, v84, 23, 0x3b800000
	v_cndmask_b32_e32 v82, v82, v87, vcc_lo
	v_lshlrev_b32_e32 v82, 20, v82
	v_or3_b32 v82, v55, v84, v82
.LBB6_9900:                             ;   in Loop: Header=BB6_9081 Depth=3
	s_or_b32 exec_lo, exec_lo, s23
	v_max_f32_e32 v55, v82, v82
	v_max_f32_e32 v17, v17, v17
	v_min_f32_e32 v17, v17, v55
.LBB6_9901:                             ;   in Loop: Header=BB6_9081 Depth=3
	s_waitcnt vmcnt(9) lgkmcnt(9)
	v_and_b32_e32 v55, 0x7f800000, v17
	v_cmp_ne_u32_e32 vcc_lo, 0x7f800000, v55
	v_mov_b32_e32 v55, 0x80
	s_and_saveexec_b32 s23, vcc_lo
	s_cbranch_execz .LBB6_9909
; %bb.9902:                             ;   in Loop: Header=BB6_9081 Depth=3
	v_mov_b32_e32 v55, 0
	s_mov_b32 s73, exec_lo
	v_cmpx_ne_u32_e32 0, v17
	s_cbranch_execz .LBB6_9908
; %bb.9903:                             ;   in Loop: Header=BB6_9081 Depth=3
	v_bfe_u32 v82, v17, 23, 8
	v_and_b32_e32 v55, 0x7fffff, v17
                                        ; implicit-def: $vgpr98
	v_cmp_gt_u32_e64 s16, 0x79, v82
	v_sub_nc_u32_e32 v84, 0x78, v82
	v_cmp_eq_u32_e32 vcc_lo, 0, v82
	v_or_b32_e32 v86, 0x800000, v55
	v_cndmask_b32_e64 v84, 0, v84, s16
	v_cndmask_b32_e32 v55, v86, v55, vcc_lo
	v_cndmask_b32_e64 v84, v84, 0x77, vcc_lo
	v_lshl_add_u32 v86, 0x100000, v84, -1
	v_lshlrev_b32_e64 v87, v84, 0x80000
	v_and_b32_e32 v86, v86, v55
	v_cmp_eq_u32_e64 s16, v86, v87
	v_lshrrev_b32_e32 v86, v84, v55
	v_add_nc_u32_e32 v55, 0xffffff89, v82
	v_lshrrev_b32_e32 v82, 23, v86
	v_cndmask_b32_e64 v55, v55, 0xffffff8a, vcc_lo
	v_xor_b32_e32 v82, 1, v82
	v_add_nc_u32_e32 v55, v84, v55
	v_bfe_u32 v84, v86, 20, 1
	v_add_nc_u32_e32 v84, -1, v84
	v_cndmask_b32_e64 v84, 0, v84, s16
	s_mov_b32 s16, exec_lo
	v_add_nc_u32_e32 v84, v84, v86
	v_and_b32_e32 v84, 0xfffff, v84
	v_add_nc_u32_e32 v84, v84, v86
	v_cmpx_ne_u32_e64 v55, v82
	s_xor_b32 s16, exec_lo, s16
; %bb.9904:                             ;   in Loop: Header=BB6_9081 Depth=3
	v_cmp_lt_u32_e32 vcc_lo, 0xffffff, v84
	v_sub_nc_u32_e32 v55, v55, v82
	v_cndmask_b32_e64 v82, 0, 1, vcc_lo
	v_add_co_ci_u32_e64 v98, null, 0, v55, vcc_lo
	v_lshrrev_b32_e32 v84, v82, v84
; %bb.9905:                             ;   in Loop: Header=BB6_9081 Depth=3
	s_andn2_saveexec_b32 s16, s16
; %bb.9906:                             ;   in Loop: Header=BB6_9081 Depth=3
	v_bfe_u32 v98, v84, 23, 1
; %bb.9907:                             ;   in Loop: Header=BB6_9081 Depth=3
	s_or_b32 exec_lo, exec_lo, s16
	v_lshrrev_b32_e32 v55, 20, v84
	v_cmp_gt_i32_e32 vcc_lo, 16, v98
	v_min_i32_e32 v82, 15, v98
	v_and_b32_sdwa v17, v17, v62 dst_sel:DWORD dst_unused:UNUSED_PAD src0_sel:BYTE_3 src1_sel:DWORD
	v_cndmask_b32_e32 v55, 7, v55, vcc_lo
	v_lshlrev_b32_e32 v82, 3, v82
	v_or_b32_e32 v84, v98, v55
	v_and_b32_e32 v55, 7, v55
	v_cmp_ne_u32_e32 vcc_lo, 0, v84
	v_or3_b32 v17, v82, v17, v55
	v_cndmask_b32_e32 v55, 0, v17, vcc_lo
.LBB6_9908:                             ;   in Loop: Header=BB6_9081 Depth=3
	s_or_b32 exec_lo, exec_lo, s73
.LBB6_9909:                             ;   in Loop: Header=BB6_9081 Depth=3
	s_or_b32 exec_lo, exec_lo, s23
	v_cmp_gt_i16_sdwa s23, v53, v61 src0_sel:BYTE_0 src1_sel:DWORD
	s_andn2_b32 vcc_lo, exec_lo, s19
	s_mov_b32 s16, -1
                                        ; implicit-def: $vgpr17
	s_cbranch_vccnz .LBB6_9923
; %bb.9910:                             ;   in Loop: Header=BB6_9081 Depth=3
	s_mov_b32 s16, 0
	s_and_saveexec_b32 s73, s23
	s_xor_b32 s23, exec_lo, s73
	s_cbranch_execz .LBB6_10415
; %bb.9911:                             ;   in Loop: Header=BB6_9081 Depth=3
	v_cmp_eq_u16_sdwa s74, v53, v62 src0_sel:BYTE_0 src1_sel:DWORD
	s_mov_b32 s16, -1
	s_and_saveexec_b32 s73, s74
; %bb.9912:                             ;   in Loop: Header=BB6_9081 Depth=3
	s_xor_b32 s16, exec_lo, -1
; %bb.9913:                             ;   in Loop: Header=BB6_9081 Depth=3
	s_or_b32 exec_lo, exec_lo, s73
	s_and_b32 s16, s16, exec_lo
	s_or_saveexec_b32 s23, s23
	v_mov_b32_e32 v17, 0x7f800001
	s_xor_b32 exec_lo, exec_lo, s23
	s_cbranch_execnz .LBB6_10416
.LBB6_9914:                             ;   in Loop: Header=BB6_9081 Depth=3
	s_or_b32 exec_lo, exec_lo, s23
	s_and_saveexec_b32 s23, s16
	s_cbranch_execz .LBB6_9916
.LBB6_9915:                             ;   in Loop: Header=BB6_9081 Depth=3
	v_and_b32_e32 v17, 7, v53
	v_lshrrev_b16 v84, 3, v53
	v_lshlrev_b32_e32 v87, 24, v53
	v_ffbh_u32_e32 v82, v17
	v_and_b32_e32 v84, 15, v84
	v_min_u32_e32 v82, 32, v82
	v_cmp_eq_u32_e32 vcc_lo, 0, v84
	v_subrev_nc_u32_e32 v86, 28, v82
	v_sub_nc_u32_e32 v82, 29, v82
	v_lshlrev_b32_e32 v86, v86, v53
	v_cndmask_b32_e32 v82, v84, v82, vcc_lo
	v_and_b32_e32 v84, 0x80000000, v87
	v_and_b32_e32 v86, 7, v86
	v_lshl_add_u32 v82, v82, 23, 0x3b800000
	v_cndmask_b32_e32 v17, v17, v86, vcc_lo
	v_lshlrev_b32_e32 v17, 20, v17
	v_or3_b32 v17, v84, v82, v17
.LBB6_9916:                             ;   in Loop: Header=BB6_9081 Depth=3
	s_or_b32 exec_lo, exec_lo, s23
	s_waitcnt vmcnt(8) lgkmcnt(8)
	v_cmp_gt_i16_sdwa s23, v31, v61 src0_sel:BYTE_0 src1_sel:DWORD
	s_mov_b32 s16, 0
	s_and_saveexec_b32 s73, s23
	s_xor_b32 s23, exec_lo, s73
	s_cbranch_execz .LBB6_10417
; %bb.9917:                             ;   in Loop: Header=BB6_9081 Depth=3
	v_cmp_eq_u16_sdwa s74, v31, v62 src0_sel:BYTE_0 src1_sel:DWORD
	s_mov_b32 s16, -1
	s_and_saveexec_b32 s73, s74
; %bb.9918:                             ;   in Loop: Header=BB6_9081 Depth=3
	s_xor_b32 s16, exec_lo, -1
; %bb.9919:                             ;   in Loop: Header=BB6_9081 Depth=3
	s_or_b32 exec_lo, exec_lo, s73
	s_and_b32 s16, s16, exec_lo
	s_or_saveexec_b32 s23, s23
	v_mov_b32_e32 v82, 0x7f800001
	s_xor_b32 exec_lo, exec_lo, s23
	s_cbranch_execnz .LBB6_10418
.LBB6_9920:                             ;   in Loop: Header=BB6_9081 Depth=3
	s_or_b32 exec_lo, exec_lo, s23
	s_and_saveexec_b32 s23, s16
	s_cbranch_execz .LBB6_9922
.LBB6_9921:                             ;   in Loop: Header=BB6_9081 Depth=3
	v_and_b32_e32 v82, 7, v31
	v_lshrrev_b16 v86, 3, v31
	v_lshlrev_b32_e32 v98, 24, v31
	v_ffbh_u32_e32 v84, v82
	v_and_b32_e32 v86, 15, v86
	v_min_u32_e32 v84, 32, v84
	v_cmp_eq_u32_e32 vcc_lo, 0, v86
	v_subrev_nc_u32_e32 v87, 28, v84
	v_sub_nc_u32_e32 v84, 29, v84
	v_lshlrev_b32_e32 v87, v87, v31
	v_cndmask_b32_e32 v84, v86, v84, vcc_lo
	v_and_b32_e32 v86, 0x80000000, v98
	v_and_b32_e32 v87, 7, v87
	v_lshl_add_u32 v84, v84, 23, 0x3b800000
	v_cndmask_b32_e32 v82, v82, v87, vcc_lo
	v_lshlrev_b32_e32 v82, 20, v82
	v_or3_b32 v82, v86, v84, v82
.LBB6_9922:                             ;   in Loop: Header=BB6_9081 Depth=3
	s_or_b32 exec_lo, exec_lo, s23
	v_max_f32_e32 v82, v82, v82
	v_max_f32_e32 v17, v17, v17
	s_mov_b32 s16, 0
	v_max_f32_e32 v17, v17, v82
.LBB6_9923:                             ;   in Loop: Header=BB6_9081 Depth=3
	s_and_b32 vcc_lo, exec_lo, s16
	s_cbranch_vccz .LBB6_9937
; %bb.9924:                             ;   in Loop: Header=BB6_9081 Depth=3
	v_cmp_gt_i16_sdwa s23, v53, v61 src0_sel:BYTE_0 src1_sel:DWORD
	s_mov_b32 s16, 0
	s_and_saveexec_b32 s73, s23
	s_xor_b32 s23, exec_lo, s73
	s_cbranch_execz .LBB6_10419
; %bb.9925:                             ;   in Loop: Header=BB6_9081 Depth=3
	v_cmp_eq_u16_sdwa s74, v53, v62 src0_sel:BYTE_0 src1_sel:DWORD
	s_mov_b32 s16, -1
	s_and_saveexec_b32 s73, s74
; %bb.9926:                             ;   in Loop: Header=BB6_9081 Depth=3
	s_xor_b32 s16, exec_lo, -1
; %bb.9927:                             ;   in Loop: Header=BB6_9081 Depth=3
	s_or_b32 exec_lo, exec_lo, s73
	s_and_b32 s16, s16, exec_lo
	s_or_saveexec_b32 s23, s23
	v_mov_b32_e32 v17, 0x7f800001
	s_xor_b32 exec_lo, exec_lo, s23
	s_cbranch_execnz .LBB6_10420
.LBB6_9928:                             ;   in Loop: Header=BB6_9081 Depth=3
	s_or_b32 exec_lo, exec_lo, s23
	s_and_saveexec_b32 s23, s16
	s_cbranch_execz .LBB6_9930
.LBB6_9929:                             ;   in Loop: Header=BB6_9081 Depth=3
	v_and_b32_e32 v17, 7, v53
	v_lshrrev_b16 v84, 3, v53
	v_ffbh_u32_e32 v82, v17
	v_and_b32_e32 v84, 15, v84
	v_min_u32_e32 v82, 32, v82
	v_cmp_eq_u32_e32 vcc_lo, 0, v84
	v_subrev_nc_u32_e32 v86, 28, v82
	v_sub_nc_u32_e32 v82, 29, v82
	v_lshlrev_b32_e32 v86, v86, v53
	v_lshlrev_b32_e32 v53, 24, v53
	v_cndmask_b32_e32 v82, v84, v82, vcc_lo
	v_and_b32_e32 v86, 7, v86
	v_and_b32_e32 v53, 0x80000000, v53
	v_lshl_add_u32 v82, v82, 23, 0x3b800000
	v_cndmask_b32_e32 v17, v17, v86, vcc_lo
	v_lshlrev_b32_e32 v17, 20, v17
	v_or3_b32 v17, v53, v82, v17
.LBB6_9930:                             ;   in Loop: Header=BB6_9081 Depth=3
	s_or_b32 exec_lo, exec_lo, s23
	s_waitcnt vmcnt(8) lgkmcnt(8)
	v_cmp_gt_i16_sdwa s23, v31, v61 src0_sel:BYTE_0 src1_sel:DWORD
	s_mov_b32 s16, 0
	s_and_saveexec_b32 s73, s23
	s_xor_b32 s23, exec_lo, s73
	s_cbranch_execz .LBB6_10421
; %bb.9931:                             ;   in Loop: Header=BB6_9081 Depth=3
	v_cmp_eq_u16_sdwa s74, v31, v62 src0_sel:BYTE_0 src1_sel:DWORD
	s_mov_b32 s16, -1
	s_and_saveexec_b32 s73, s74
; %bb.9932:                             ;   in Loop: Header=BB6_9081 Depth=3
	s_xor_b32 s16, exec_lo, -1
; %bb.9933:                             ;   in Loop: Header=BB6_9081 Depth=3
	s_or_b32 exec_lo, exec_lo, s73
	s_and_b32 s16, s16, exec_lo
	s_or_saveexec_b32 s23, s23
	v_mov_b32_e32 v53, 0x7f800001
	s_xor_b32 exec_lo, exec_lo, s23
	s_cbranch_execnz .LBB6_10422
.LBB6_9934:                             ;   in Loop: Header=BB6_9081 Depth=3
	s_or_b32 exec_lo, exec_lo, s23
	s_and_saveexec_b32 s23, s16
	s_cbranch_execz .LBB6_9936
.LBB6_9935:                             ;   in Loop: Header=BB6_9081 Depth=3
	v_and_b32_e32 v53, 7, v31
	v_lshrrev_b16 v84, 3, v31
	v_ffbh_u32_e32 v82, v53
	v_and_b32_e32 v84, 15, v84
	v_min_u32_e32 v82, 32, v82
	v_cmp_eq_u32_e32 vcc_lo, 0, v84
	v_subrev_nc_u32_e32 v86, 28, v82
	v_sub_nc_u32_e32 v82, 29, v82
	v_lshlrev_b32_e32 v86, v86, v31
	v_lshlrev_b32_e32 v31, 24, v31
	v_cndmask_b32_e32 v82, v84, v82, vcc_lo
	v_and_b32_e32 v86, 7, v86
	v_and_b32_e32 v31, 0x80000000, v31
	v_lshl_add_u32 v82, v82, 23, 0x3b800000
	v_cndmask_b32_e32 v53, v53, v86, vcc_lo
	v_lshlrev_b32_e32 v53, 20, v53
	v_or3_b32 v53, v31, v82, v53
.LBB6_9936:                             ;   in Loop: Header=BB6_9081 Depth=3
	s_or_b32 exec_lo, exec_lo, s23
	v_max_f32_e32 v31, v53, v53
	v_max_f32_e32 v17, v17, v17
	v_min_f32_e32 v17, v17, v31
.LBB6_9937:                             ;   in Loop: Header=BB6_9081 Depth=3
	s_waitcnt vmcnt(8) lgkmcnt(8)
	v_and_b32_e32 v31, 0x7f800000, v17
	v_cmp_ne_u32_e32 vcc_lo, 0x7f800000, v31
	v_mov_b32_e32 v31, 0x80
	s_and_saveexec_b32 s23, vcc_lo
	s_cbranch_execz .LBB6_9945
; %bb.9938:                             ;   in Loop: Header=BB6_9081 Depth=3
	v_mov_b32_e32 v31, 0
	s_mov_b32 s73, exec_lo
	v_cmpx_ne_u32_e32 0, v17
	s_cbranch_execz .LBB6_9944
; %bb.9939:                             ;   in Loop: Header=BB6_9081 Depth=3
	v_bfe_u32 v53, v17, 23, 8
	v_and_b32_e32 v31, 0x7fffff, v17
	v_cmp_gt_u32_e64 s16, 0x79, v53
	v_sub_nc_u32_e32 v82, 0x78, v53
	v_cmp_eq_u32_e32 vcc_lo, 0, v53
	v_or_b32_e32 v84, 0x800000, v31
	v_cndmask_b32_e64 v82, 0, v82, s16
	v_cndmask_b32_e32 v31, v84, v31, vcc_lo
	v_cndmask_b32_e64 v82, v82, 0x77, vcc_lo
	v_lshl_add_u32 v84, 0x100000, v82, -1
	v_lshlrev_b32_e64 v86, v82, 0x80000
	v_and_b32_e32 v84, v84, v31
	v_cmp_eq_u32_e64 s16, v84, v86
	v_lshrrev_b32_e32 v84, v82, v31
	v_add_nc_u32_e32 v31, 0xffffff89, v53
	v_lshrrev_b32_e32 v53, 23, v84
	v_cndmask_b32_e64 v31, v31, 0xffffff8a, vcc_lo
	v_xor_b32_e32 v53, 1, v53
	v_add_nc_u32_e32 v31, v82, v31
	v_bfe_u32 v82, v84, 20, 1
	v_add_nc_u32_e32 v82, -1, v82
	v_cndmask_b32_e64 v82, 0, v82, s16
	s_mov_b32 s16, exec_lo
	v_add_nc_u32_e32 v82, v82, v84
	v_and_b32_e32 v82, 0xfffff, v82
	v_add_nc_u32_e32 v82, v82, v84
                                        ; implicit-def: $vgpr84
	v_cmpx_ne_u32_e64 v31, v53
	s_xor_b32 s16, exec_lo, s16
; %bb.9940:                             ;   in Loop: Header=BB6_9081 Depth=3
	v_cmp_lt_u32_e32 vcc_lo, 0xffffff, v82
	v_sub_nc_u32_e32 v31, v31, v53
	v_cndmask_b32_e64 v53, 0, 1, vcc_lo
	v_add_co_ci_u32_e64 v84, null, 0, v31, vcc_lo
	v_lshrrev_b32_e32 v82, v53, v82
; %bb.9941:                             ;   in Loop: Header=BB6_9081 Depth=3
	s_andn2_saveexec_b32 s16, s16
; %bb.9942:                             ;   in Loop: Header=BB6_9081 Depth=3
	v_bfe_u32 v84, v82, 23, 1
; %bb.9943:                             ;   in Loop: Header=BB6_9081 Depth=3
	s_or_b32 exec_lo, exec_lo, s16
	v_lshrrev_b32_e32 v31, 20, v82
	v_cmp_gt_i32_e32 vcc_lo, 16, v84
	v_min_i32_e32 v53, 15, v84
	v_and_b32_sdwa v17, v17, v62 dst_sel:DWORD dst_unused:UNUSED_PAD src0_sel:BYTE_3 src1_sel:DWORD
	v_cndmask_b32_e32 v31, 7, v31, vcc_lo
	v_lshlrev_b32_e32 v53, 3, v53
	v_or_b32_e32 v82, v84, v31
	v_and_b32_e32 v31, 7, v31
	v_cmp_ne_u32_e32 vcc_lo, 0, v82
	v_or3_b32 v17, v53, v17, v31
	v_cndmask_b32_e32 v31, 0, v17, vcc_lo
.LBB6_9944:                             ;   in Loop: Header=BB6_9081 Depth=3
	s_or_b32 exec_lo, exec_lo, s73
.LBB6_9945:                             ;   in Loop: Header=BB6_9081 Depth=3
	s_or_b32 exec_lo, exec_lo, s23
	v_cmp_gt_i16_sdwa s23, v51, v61 src0_sel:BYTE_0 src1_sel:DWORD
	s_andn2_b32 vcc_lo, exec_lo, s19
	s_mov_b32 s16, -1
                                        ; implicit-def: $vgpr17
	s_cbranch_vccnz .LBB6_9959
; %bb.9946:                             ;   in Loop: Header=BB6_9081 Depth=3
	s_mov_b32 s16, 0
	s_and_saveexec_b32 s73, s23
	s_xor_b32 s23, exec_lo, s73
	s_cbranch_execz .LBB6_10423
; %bb.9947:                             ;   in Loop: Header=BB6_9081 Depth=3
	v_cmp_eq_u16_sdwa s74, v51, v62 src0_sel:BYTE_0 src1_sel:DWORD
	s_mov_b32 s16, -1
	s_and_saveexec_b32 s73, s74
; %bb.9948:                             ;   in Loop: Header=BB6_9081 Depth=3
	s_xor_b32 s16, exec_lo, -1
; %bb.9949:                             ;   in Loop: Header=BB6_9081 Depth=3
	s_or_b32 exec_lo, exec_lo, s73
	s_and_b32 s16, s16, exec_lo
	s_or_saveexec_b32 s23, s23
	v_mov_b32_e32 v17, 0x7f800001
	s_xor_b32 exec_lo, exec_lo, s23
	s_cbranch_execnz .LBB6_10424
.LBB6_9950:                             ;   in Loop: Header=BB6_9081 Depth=3
	s_or_b32 exec_lo, exec_lo, s23
	s_and_saveexec_b32 s23, s16
	s_cbranch_execz .LBB6_9952
.LBB6_9951:                             ;   in Loop: Header=BB6_9081 Depth=3
	v_and_b32_e32 v17, 7, v51
	v_lshrrev_b16 v82, 3, v51
	v_lshlrev_b32_e32 v86, 24, v51
	v_ffbh_u32_e32 v53, v17
	v_and_b32_e32 v82, 15, v82
	v_min_u32_e32 v53, 32, v53
	v_cmp_eq_u32_e32 vcc_lo, 0, v82
	v_subrev_nc_u32_e32 v84, 28, v53
	v_sub_nc_u32_e32 v53, 29, v53
	v_lshlrev_b32_e32 v84, v84, v51
	v_cndmask_b32_e32 v53, v82, v53, vcc_lo
	v_and_b32_e32 v82, 0x80000000, v86
	v_and_b32_e32 v84, 7, v84
	v_lshl_add_u32 v53, v53, 23, 0x3b800000
	v_cndmask_b32_e32 v17, v17, v84, vcc_lo
	v_lshlrev_b32_e32 v17, 20, v17
	v_or3_b32 v17, v82, v53, v17
.LBB6_9952:                             ;   in Loop: Header=BB6_9081 Depth=3
	s_or_b32 exec_lo, exec_lo, s23
	s_waitcnt vmcnt(7) lgkmcnt(7)
	v_cmp_gt_i16_sdwa s23, v50, v61 src0_sel:BYTE_0 src1_sel:DWORD
	s_mov_b32 s16, 0
	s_and_saveexec_b32 s73, s23
	s_xor_b32 s23, exec_lo, s73
	s_cbranch_execz .LBB6_10425
; %bb.9953:                             ;   in Loop: Header=BB6_9081 Depth=3
	v_cmp_eq_u16_sdwa s74, v50, v62 src0_sel:BYTE_0 src1_sel:DWORD
	s_mov_b32 s16, -1
	s_and_saveexec_b32 s73, s74
; %bb.9954:                             ;   in Loop: Header=BB6_9081 Depth=3
	s_xor_b32 s16, exec_lo, -1
; %bb.9955:                             ;   in Loop: Header=BB6_9081 Depth=3
	s_or_b32 exec_lo, exec_lo, s73
	s_and_b32 s16, s16, exec_lo
	s_or_saveexec_b32 s23, s23
	v_mov_b32_e32 v53, 0x7f800001
	s_xor_b32 exec_lo, exec_lo, s23
	s_cbranch_execnz .LBB6_10426
.LBB6_9956:                             ;   in Loop: Header=BB6_9081 Depth=3
	s_or_b32 exec_lo, exec_lo, s23
	s_and_saveexec_b32 s23, s16
	s_cbranch_execz .LBB6_9958
.LBB6_9957:                             ;   in Loop: Header=BB6_9081 Depth=3
	v_and_b32_e32 v53, 7, v50
	v_lshrrev_b16 v84, 3, v50
	v_lshlrev_b32_e32 v87, 24, v50
	v_ffbh_u32_e32 v82, v53
	v_and_b32_e32 v84, 15, v84
	v_min_u32_e32 v82, 32, v82
	v_cmp_eq_u32_e32 vcc_lo, 0, v84
	v_subrev_nc_u32_e32 v86, 28, v82
	v_sub_nc_u32_e32 v82, 29, v82
	v_lshlrev_b32_e32 v86, v86, v50
	v_cndmask_b32_e32 v82, v84, v82, vcc_lo
	v_and_b32_e32 v84, 0x80000000, v87
	v_and_b32_e32 v86, 7, v86
	v_lshl_add_u32 v82, v82, 23, 0x3b800000
	v_cndmask_b32_e32 v53, v53, v86, vcc_lo
	v_lshlrev_b32_e32 v53, 20, v53
	v_or3_b32 v53, v84, v82, v53
.LBB6_9958:                             ;   in Loop: Header=BB6_9081 Depth=3
	s_or_b32 exec_lo, exec_lo, s23
	v_max_f32_e32 v53, v53, v53
	v_max_f32_e32 v17, v17, v17
	s_mov_b32 s16, 0
	v_max_f32_e32 v17, v17, v53
.LBB6_9959:                             ;   in Loop: Header=BB6_9081 Depth=3
	s_and_b32 vcc_lo, exec_lo, s16
	s_cbranch_vccz .LBB6_9973
; %bb.9960:                             ;   in Loop: Header=BB6_9081 Depth=3
	v_cmp_gt_i16_sdwa s23, v51, v61 src0_sel:BYTE_0 src1_sel:DWORD
	s_mov_b32 s16, 0
	s_and_saveexec_b32 s73, s23
	s_xor_b32 s23, exec_lo, s73
	s_cbranch_execz .LBB6_10427
; %bb.9961:                             ;   in Loop: Header=BB6_9081 Depth=3
	v_cmp_eq_u16_sdwa s74, v51, v62 src0_sel:BYTE_0 src1_sel:DWORD
	s_mov_b32 s16, -1
	s_and_saveexec_b32 s73, s74
; %bb.9962:                             ;   in Loop: Header=BB6_9081 Depth=3
	s_xor_b32 s16, exec_lo, -1
; %bb.9963:                             ;   in Loop: Header=BB6_9081 Depth=3
	s_or_b32 exec_lo, exec_lo, s73
	s_and_b32 s16, s16, exec_lo
	s_or_saveexec_b32 s23, s23
	v_mov_b32_e32 v17, 0x7f800001
	s_xor_b32 exec_lo, exec_lo, s23
	s_cbranch_execnz .LBB6_10428
.LBB6_9964:                             ;   in Loop: Header=BB6_9081 Depth=3
	s_or_b32 exec_lo, exec_lo, s23
	s_and_saveexec_b32 s23, s16
	s_cbranch_execz .LBB6_9966
.LBB6_9965:                             ;   in Loop: Header=BB6_9081 Depth=3
	v_and_b32_e32 v17, 7, v51
	v_lshrrev_b16 v82, 3, v51
	v_ffbh_u32_e32 v53, v17
	v_and_b32_e32 v82, 15, v82
	v_min_u32_e32 v53, 32, v53
	v_cmp_eq_u32_e32 vcc_lo, 0, v82
	v_subrev_nc_u32_e32 v84, 28, v53
	v_sub_nc_u32_e32 v53, 29, v53
	v_lshlrev_b32_e32 v84, v84, v51
	v_lshlrev_b32_e32 v51, 24, v51
	v_cndmask_b32_e32 v53, v82, v53, vcc_lo
	v_and_b32_e32 v84, 7, v84
	v_and_b32_e32 v51, 0x80000000, v51
	v_lshl_add_u32 v53, v53, 23, 0x3b800000
	v_cndmask_b32_e32 v17, v17, v84, vcc_lo
	v_lshlrev_b32_e32 v17, 20, v17
	v_or3_b32 v17, v51, v53, v17
.LBB6_9966:                             ;   in Loop: Header=BB6_9081 Depth=3
	s_or_b32 exec_lo, exec_lo, s23
	s_waitcnt vmcnt(7) lgkmcnt(7)
	v_cmp_gt_i16_sdwa s23, v50, v61 src0_sel:BYTE_0 src1_sel:DWORD
	s_mov_b32 s16, 0
	s_and_saveexec_b32 s73, s23
	s_xor_b32 s23, exec_lo, s73
	s_cbranch_execz .LBB6_10429
; %bb.9967:                             ;   in Loop: Header=BB6_9081 Depth=3
	v_cmp_eq_u16_sdwa s74, v50, v62 src0_sel:BYTE_0 src1_sel:DWORD
	s_mov_b32 s16, -1
	s_and_saveexec_b32 s73, s74
; %bb.9968:                             ;   in Loop: Header=BB6_9081 Depth=3
	s_xor_b32 s16, exec_lo, -1
; %bb.9969:                             ;   in Loop: Header=BB6_9081 Depth=3
	s_or_b32 exec_lo, exec_lo, s73
	s_and_b32 s16, s16, exec_lo
	s_or_saveexec_b32 s23, s23
	v_mov_b32_e32 v51, 0x7f800001
	s_xor_b32 exec_lo, exec_lo, s23
	s_cbranch_execnz .LBB6_10430
.LBB6_9970:                             ;   in Loop: Header=BB6_9081 Depth=3
	s_or_b32 exec_lo, exec_lo, s23
	s_and_saveexec_b32 s23, s16
	s_cbranch_execz .LBB6_9972
.LBB6_9971:                             ;   in Loop: Header=BB6_9081 Depth=3
	v_and_b32_e32 v51, 7, v50
	v_lshrrev_b16 v82, 3, v50
	v_ffbh_u32_e32 v53, v51
	v_and_b32_e32 v82, 15, v82
	v_min_u32_e32 v53, 32, v53
	v_cmp_eq_u32_e32 vcc_lo, 0, v82
	v_subrev_nc_u32_e32 v84, 28, v53
	v_sub_nc_u32_e32 v53, 29, v53
	v_lshlrev_b32_e32 v84, v84, v50
	v_lshlrev_b32_e32 v50, 24, v50
	v_cndmask_b32_e32 v53, v82, v53, vcc_lo
	v_and_b32_e32 v84, 7, v84
	v_and_b32_e32 v50, 0x80000000, v50
	v_lshl_add_u32 v53, v53, 23, 0x3b800000
	v_cndmask_b32_e32 v51, v51, v84, vcc_lo
	v_lshlrev_b32_e32 v51, 20, v51
	v_or3_b32 v51, v50, v53, v51
.LBB6_9972:                             ;   in Loop: Header=BB6_9081 Depth=3
	s_or_b32 exec_lo, exec_lo, s23
	v_max_f32_e32 v50, v51, v51
	v_max_f32_e32 v17, v17, v17
	v_min_f32_e32 v17, v17, v50
.LBB6_9973:                             ;   in Loop: Header=BB6_9081 Depth=3
	s_waitcnt vmcnt(7) lgkmcnt(7)
	v_and_b32_e32 v50, 0x7f800000, v17
	v_cmp_ne_u32_e32 vcc_lo, 0x7f800000, v50
	v_mov_b32_e32 v50, 0x80
	s_and_saveexec_b32 s23, vcc_lo
	s_cbranch_execz .LBB6_9981
; %bb.9974:                             ;   in Loop: Header=BB6_9081 Depth=3
	v_mov_b32_e32 v50, 0
	s_mov_b32 s73, exec_lo
	v_cmpx_ne_u32_e32 0, v17
	s_cbranch_execz .LBB6_9980
; %bb.9975:                             ;   in Loop: Header=BB6_9081 Depth=3
	v_bfe_u32 v51, v17, 23, 8
	v_and_b32_e32 v50, 0x7fffff, v17
	v_cmp_gt_u32_e64 s16, 0x79, v51
	v_sub_nc_u32_e32 v53, 0x78, v51
	v_cmp_eq_u32_e32 vcc_lo, 0, v51
	v_or_b32_e32 v82, 0x800000, v50
	v_cndmask_b32_e64 v53, 0, v53, s16
	v_cndmask_b32_e32 v50, v82, v50, vcc_lo
	v_cndmask_b32_e64 v53, v53, 0x77, vcc_lo
	v_lshl_add_u32 v82, 0x100000, v53, -1
	v_lshlrev_b32_e64 v84, v53, 0x80000
	v_and_b32_e32 v82, v82, v50
	v_cmp_eq_u32_e64 s16, v82, v84
	v_lshrrev_b32_e32 v82, v53, v50
	v_add_nc_u32_e32 v50, 0xffffff89, v51
	v_lshrrev_b32_e32 v51, 23, v82
	v_cndmask_b32_e64 v50, v50, 0xffffff8a, vcc_lo
	v_xor_b32_e32 v51, 1, v51
	v_add_nc_u32_e32 v50, v53, v50
	v_bfe_u32 v53, v82, 20, 1
	v_add_nc_u32_e32 v53, -1, v53
	v_cndmask_b32_e64 v53, 0, v53, s16
	s_mov_b32 s16, exec_lo
	v_add_nc_u32_e32 v53, v53, v82
	v_and_b32_e32 v53, 0xfffff, v53
	v_add_nc_u32_e32 v53, v53, v82
                                        ; implicit-def: $vgpr82
	v_cmpx_ne_u32_e64 v50, v51
	s_xor_b32 s16, exec_lo, s16
; %bb.9976:                             ;   in Loop: Header=BB6_9081 Depth=3
	v_cmp_lt_u32_e32 vcc_lo, 0xffffff, v53
	v_sub_nc_u32_e32 v50, v50, v51
	v_cndmask_b32_e64 v51, 0, 1, vcc_lo
	v_add_co_ci_u32_e64 v82, null, 0, v50, vcc_lo
	v_lshrrev_b32_e32 v53, v51, v53
; %bb.9977:                             ;   in Loop: Header=BB6_9081 Depth=3
	s_andn2_saveexec_b32 s16, s16
; %bb.9978:                             ;   in Loop: Header=BB6_9081 Depth=3
	v_bfe_u32 v82, v53, 23, 1
; %bb.9979:                             ;   in Loop: Header=BB6_9081 Depth=3
	s_or_b32 exec_lo, exec_lo, s16
	v_lshrrev_b32_e32 v50, 20, v53
	v_cmp_gt_i32_e32 vcc_lo, 16, v82
	v_min_i32_e32 v51, 15, v82
	v_and_b32_sdwa v17, v17, v62 dst_sel:DWORD dst_unused:UNUSED_PAD src0_sel:BYTE_3 src1_sel:DWORD
	v_cndmask_b32_e32 v50, 7, v50, vcc_lo
	v_lshlrev_b32_e32 v51, 3, v51
	v_or_b32_e32 v53, v82, v50
	v_and_b32_e32 v50, 7, v50
	v_cmp_ne_u32_e32 vcc_lo, 0, v53
	v_or3_b32 v17, v51, v17, v50
	v_cndmask_b32_e32 v50, 0, v17, vcc_lo
.LBB6_9980:                             ;   in Loop: Header=BB6_9081 Depth=3
	s_or_b32 exec_lo, exec_lo, s73
.LBB6_9981:                             ;   in Loop: Header=BB6_9081 Depth=3
	s_or_b32 exec_lo, exec_lo, s23
	v_cmp_gt_i16_sdwa s23, v48, v61 src0_sel:BYTE_0 src1_sel:DWORD
	s_andn2_b32 vcc_lo, exec_lo, s19
	s_mov_b32 s16, -1
                                        ; implicit-def: $vgpr17
	s_cbranch_vccnz .LBB6_9995
; %bb.9982:                             ;   in Loop: Header=BB6_9081 Depth=3
	s_mov_b32 s16, 0
	s_and_saveexec_b32 s73, s23
	s_xor_b32 s23, exec_lo, s73
	s_cbranch_execz .LBB6_10431
; %bb.9983:                             ;   in Loop: Header=BB6_9081 Depth=3
	v_cmp_eq_u16_sdwa s74, v48, v62 src0_sel:BYTE_0 src1_sel:DWORD
	s_mov_b32 s16, -1
	s_and_saveexec_b32 s73, s74
; %bb.9984:                             ;   in Loop: Header=BB6_9081 Depth=3
	s_xor_b32 s16, exec_lo, -1
; %bb.9985:                             ;   in Loop: Header=BB6_9081 Depth=3
	s_or_b32 exec_lo, exec_lo, s73
	s_and_b32 s16, s16, exec_lo
	s_or_saveexec_b32 s23, s23
	v_mov_b32_e32 v17, 0x7f800001
	s_xor_b32 exec_lo, exec_lo, s23
	s_cbranch_execnz .LBB6_10432
.LBB6_9986:                             ;   in Loop: Header=BB6_9081 Depth=3
	s_or_b32 exec_lo, exec_lo, s23
	s_and_saveexec_b32 s23, s16
	s_cbranch_execz .LBB6_9988
.LBB6_9987:                             ;   in Loop: Header=BB6_9081 Depth=3
	v_and_b32_e32 v17, 7, v48
	v_lshrrev_b16 v53, 3, v48
	v_lshlrev_b32_e32 v84, 24, v48
	v_ffbh_u32_e32 v51, v17
	v_and_b32_e32 v53, 15, v53
	v_min_u32_e32 v51, 32, v51
	v_cmp_eq_u32_e32 vcc_lo, 0, v53
	v_subrev_nc_u32_e32 v82, 28, v51
	v_sub_nc_u32_e32 v51, 29, v51
	v_lshlrev_b32_e32 v82, v82, v48
	v_cndmask_b32_e32 v51, v53, v51, vcc_lo
	v_and_b32_e32 v53, 0x80000000, v84
	v_and_b32_e32 v82, 7, v82
	v_lshl_add_u32 v51, v51, 23, 0x3b800000
	v_cndmask_b32_e32 v17, v17, v82, vcc_lo
	v_lshlrev_b32_e32 v17, 20, v17
	v_or3_b32 v17, v53, v51, v17
.LBB6_9988:                             ;   in Loop: Header=BB6_9081 Depth=3
	s_or_b32 exec_lo, exec_lo, s23
	s_waitcnt vmcnt(6) lgkmcnt(6)
	v_cmp_gt_i16_sdwa s23, v39, v61 src0_sel:BYTE_0 src1_sel:DWORD
	s_mov_b32 s16, 0
	s_and_saveexec_b32 s73, s23
	s_xor_b32 s23, exec_lo, s73
	s_cbranch_execz .LBB6_10433
; %bb.9989:                             ;   in Loop: Header=BB6_9081 Depth=3
	v_cmp_eq_u16_sdwa s74, v39, v62 src0_sel:BYTE_0 src1_sel:DWORD
	s_mov_b32 s16, -1
	s_and_saveexec_b32 s73, s74
; %bb.9990:                             ;   in Loop: Header=BB6_9081 Depth=3
	s_xor_b32 s16, exec_lo, -1
; %bb.9991:                             ;   in Loop: Header=BB6_9081 Depth=3
	s_or_b32 exec_lo, exec_lo, s73
	s_and_b32 s16, s16, exec_lo
	s_or_saveexec_b32 s23, s23
	v_mov_b32_e32 v51, 0x7f800001
	s_xor_b32 exec_lo, exec_lo, s23
	s_cbranch_execnz .LBB6_10434
.LBB6_9992:                             ;   in Loop: Header=BB6_9081 Depth=3
	s_or_b32 exec_lo, exec_lo, s23
	s_and_saveexec_b32 s23, s16
	s_cbranch_execz .LBB6_9994
.LBB6_9993:                             ;   in Loop: Header=BB6_9081 Depth=3
	v_and_b32_e32 v51, 7, v39
	v_lshrrev_b16 v82, 3, v39
	v_lshlrev_b32_e32 v86, 24, v39
	v_ffbh_u32_e32 v53, v51
	v_and_b32_e32 v82, 15, v82
	v_min_u32_e32 v53, 32, v53
	v_cmp_eq_u32_e32 vcc_lo, 0, v82
	v_subrev_nc_u32_e32 v84, 28, v53
	v_sub_nc_u32_e32 v53, 29, v53
	v_lshlrev_b32_e32 v84, v84, v39
	v_cndmask_b32_e32 v53, v82, v53, vcc_lo
	v_and_b32_e32 v82, 0x80000000, v86
	v_and_b32_e32 v84, 7, v84
	v_lshl_add_u32 v53, v53, 23, 0x3b800000
	v_cndmask_b32_e32 v51, v51, v84, vcc_lo
	v_lshlrev_b32_e32 v51, 20, v51
	v_or3_b32 v51, v82, v53, v51
.LBB6_9994:                             ;   in Loop: Header=BB6_9081 Depth=3
	s_or_b32 exec_lo, exec_lo, s23
	v_max_f32_e32 v51, v51, v51
	v_max_f32_e32 v17, v17, v17
	s_mov_b32 s16, 0
	v_max_f32_e32 v17, v17, v51
.LBB6_9995:                             ;   in Loop: Header=BB6_9081 Depth=3
	s_and_b32 vcc_lo, exec_lo, s16
	s_cbranch_vccz .LBB6_10009
; %bb.9996:                             ;   in Loop: Header=BB6_9081 Depth=3
	v_cmp_gt_i16_sdwa s23, v48, v61 src0_sel:BYTE_0 src1_sel:DWORD
	s_mov_b32 s16, 0
	s_and_saveexec_b32 s73, s23
	s_xor_b32 s23, exec_lo, s73
	s_cbranch_execz .LBB6_10435
; %bb.9997:                             ;   in Loop: Header=BB6_9081 Depth=3
	v_cmp_eq_u16_sdwa s74, v48, v62 src0_sel:BYTE_0 src1_sel:DWORD
	s_mov_b32 s16, -1
	s_and_saveexec_b32 s73, s74
; %bb.9998:                             ;   in Loop: Header=BB6_9081 Depth=3
	s_xor_b32 s16, exec_lo, -1
; %bb.9999:                             ;   in Loop: Header=BB6_9081 Depth=3
	s_or_b32 exec_lo, exec_lo, s73
	s_and_b32 s16, s16, exec_lo
	s_or_saveexec_b32 s23, s23
	v_mov_b32_e32 v17, 0x7f800001
	s_xor_b32 exec_lo, exec_lo, s23
	s_cbranch_execnz .LBB6_10436
.LBB6_10000:                            ;   in Loop: Header=BB6_9081 Depth=3
	s_or_b32 exec_lo, exec_lo, s23
	s_and_saveexec_b32 s23, s16
	s_cbranch_execz .LBB6_10002
.LBB6_10001:                            ;   in Loop: Header=BB6_9081 Depth=3
	v_and_b32_e32 v17, 7, v48
	v_lshrrev_b16 v53, 3, v48
	v_ffbh_u32_e32 v51, v17
	v_and_b32_e32 v53, 15, v53
	v_min_u32_e32 v51, 32, v51
	v_cmp_eq_u32_e32 vcc_lo, 0, v53
	v_subrev_nc_u32_e32 v82, 28, v51
	v_sub_nc_u32_e32 v51, 29, v51
	v_lshlrev_b32_e32 v82, v82, v48
	v_lshlrev_b32_e32 v48, 24, v48
	v_cndmask_b32_e32 v51, v53, v51, vcc_lo
	v_and_b32_e32 v82, 7, v82
	v_and_b32_e32 v48, 0x80000000, v48
	v_lshl_add_u32 v51, v51, 23, 0x3b800000
	v_cndmask_b32_e32 v17, v17, v82, vcc_lo
	v_lshlrev_b32_e32 v17, 20, v17
	v_or3_b32 v17, v48, v51, v17
.LBB6_10002:                            ;   in Loop: Header=BB6_9081 Depth=3
	s_or_b32 exec_lo, exec_lo, s23
	s_waitcnt vmcnt(6) lgkmcnt(6)
	v_cmp_gt_i16_sdwa s23, v39, v61 src0_sel:BYTE_0 src1_sel:DWORD
	s_mov_b32 s16, 0
	s_and_saveexec_b32 s73, s23
	s_xor_b32 s23, exec_lo, s73
	s_cbranch_execz .LBB6_10437
; %bb.10003:                            ;   in Loop: Header=BB6_9081 Depth=3
	v_cmp_eq_u16_sdwa s74, v39, v62 src0_sel:BYTE_0 src1_sel:DWORD
	s_mov_b32 s16, -1
	s_and_saveexec_b32 s73, s74
; %bb.10004:                            ;   in Loop: Header=BB6_9081 Depth=3
	s_xor_b32 s16, exec_lo, -1
; %bb.10005:                            ;   in Loop: Header=BB6_9081 Depth=3
	s_or_b32 exec_lo, exec_lo, s73
	s_and_b32 s16, s16, exec_lo
	s_or_saveexec_b32 s23, s23
	v_mov_b32_e32 v48, 0x7f800001
	s_xor_b32 exec_lo, exec_lo, s23
	s_cbranch_execnz .LBB6_10438
.LBB6_10006:                            ;   in Loop: Header=BB6_9081 Depth=3
	s_or_b32 exec_lo, exec_lo, s23
	s_and_saveexec_b32 s23, s16
	s_cbranch_execz .LBB6_10008
.LBB6_10007:                            ;   in Loop: Header=BB6_9081 Depth=3
	v_and_b32_e32 v48, 7, v39
	v_lshrrev_b16 v53, 3, v39
	v_ffbh_u32_e32 v51, v48
	v_and_b32_e32 v53, 15, v53
	v_min_u32_e32 v51, 32, v51
	v_cmp_eq_u32_e32 vcc_lo, 0, v53
	v_subrev_nc_u32_e32 v82, 28, v51
	v_sub_nc_u32_e32 v51, 29, v51
	v_lshlrev_b32_e32 v82, v82, v39
	v_lshlrev_b32_e32 v39, 24, v39
	v_cndmask_b32_e32 v51, v53, v51, vcc_lo
	v_and_b32_e32 v82, 7, v82
	v_and_b32_e32 v39, 0x80000000, v39
	v_lshl_add_u32 v51, v51, 23, 0x3b800000
	v_cndmask_b32_e32 v48, v48, v82, vcc_lo
	v_lshlrev_b32_e32 v48, 20, v48
	v_or3_b32 v48, v39, v51, v48
.LBB6_10008:                            ;   in Loop: Header=BB6_9081 Depth=3
	s_or_b32 exec_lo, exec_lo, s23
	v_max_f32_e32 v39, v48, v48
	v_max_f32_e32 v17, v17, v17
	v_min_f32_e32 v17, v17, v39
.LBB6_10009:                            ;   in Loop: Header=BB6_9081 Depth=3
	s_waitcnt vmcnt(6) lgkmcnt(6)
	v_and_b32_e32 v39, 0x7f800000, v17
	v_cmp_ne_u32_e32 vcc_lo, 0x7f800000, v39
	v_mov_b32_e32 v39, 0x80
	s_and_saveexec_b32 s23, vcc_lo
	s_cbranch_execz .LBB6_10017
; %bb.10010:                            ;   in Loop: Header=BB6_9081 Depth=3
	v_mov_b32_e32 v39, 0
	s_mov_b32 s73, exec_lo
	v_cmpx_ne_u32_e32 0, v17
	s_cbranch_execz .LBB6_10016
; %bb.10011:                            ;   in Loop: Header=BB6_9081 Depth=3
	v_bfe_u32 v48, v17, 23, 8
	v_and_b32_e32 v39, 0x7fffff, v17
	v_cmp_gt_u32_e64 s16, 0x79, v48
	v_sub_nc_u32_e32 v51, 0x78, v48
	v_cmp_eq_u32_e32 vcc_lo, 0, v48
	v_or_b32_e32 v53, 0x800000, v39
	v_cndmask_b32_e64 v51, 0, v51, s16
	v_cndmask_b32_e32 v39, v53, v39, vcc_lo
	v_cndmask_b32_e64 v51, v51, 0x77, vcc_lo
	v_lshl_add_u32 v53, 0x100000, v51, -1
	v_lshlrev_b32_e64 v82, v51, 0x80000
	v_and_b32_e32 v53, v53, v39
	v_cmp_eq_u32_e64 s16, v53, v82
	v_lshrrev_b32_e32 v53, v51, v39
	v_add_nc_u32_e32 v39, 0xffffff89, v48
	v_lshrrev_b32_e32 v48, 23, v53
	v_cndmask_b32_e64 v39, v39, 0xffffff8a, vcc_lo
	v_xor_b32_e32 v48, 1, v48
	v_add_nc_u32_e32 v39, v51, v39
	v_bfe_u32 v51, v53, 20, 1
	v_add_nc_u32_e32 v51, -1, v51
	v_cndmask_b32_e64 v51, 0, v51, s16
	s_mov_b32 s16, exec_lo
	v_add_nc_u32_e32 v51, v51, v53
	v_and_b32_e32 v51, 0xfffff, v51
	v_add_nc_u32_e32 v51, v51, v53
                                        ; implicit-def: $vgpr53
	v_cmpx_ne_u32_e64 v39, v48
	s_xor_b32 s16, exec_lo, s16
; %bb.10012:                            ;   in Loop: Header=BB6_9081 Depth=3
	v_cmp_lt_u32_e32 vcc_lo, 0xffffff, v51
	v_sub_nc_u32_e32 v39, v39, v48
	v_cndmask_b32_e64 v48, 0, 1, vcc_lo
	v_add_co_ci_u32_e64 v53, null, 0, v39, vcc_lo
	v_lshrrev_b32_e32 v51, v48, v51
; %bb.10013:                            ;   in Loop: Header=BB6_9081 Depth=3
	s_andn2_saveexec_b32 s16, s16
; %bb.10014:                            ;   in Loop: Header=BB6_9081 Depth=3
	v_bfe_u32 v53, v51, 23, 1
; %bb.10015:                            ;   in Loop: Header=BB6_9081 Depth=3
	s_or_b32 exec_lo, exec_lo, s16
	v_lshrrev_b32_e32 v39, 20, v51
	v_cmp_gt_i32_e32 vcc_lo, 16, v53
	v_min_i32_e32 v48, 15, v53
	v_and_b32_sdwa v17, v17, v62 dst_sel:DWORD dst_unused:UNUSED_PAD src0_sel:BYTE_3 src1_sel:DWORD
	v_cndmask_b32_e32 v39, 7, v39, vcc_lo
	v_lshlrev_b32_e32 v48, 3, v48
	v_or_b32_e32 v51, v53, v39
	v_and_b32_e32 v39, 7, v39
	v_cmp_ne_u32_e32 vcc_lo, 0, v51
	v_or3_b32 v17, v48, v17, v39
	v_cndmask_b32_e32 v39, 0, v17, vcc_lo
.LBB6_10016:                            ;   in Loop: Header=BB6_9081 Depth=3
	s_or_b32 exec_lo, exec_lo, s73
.LBB6_10017:                            ;   in Loop: Header=BB6_9081 Depth=3
	s_or_b32 exec_lo, exec_lo, s23
	v_cmp_gt_i16_sdwa s23, v37, v61 src0_sel:BYTE_0 src1_sel:DWORD
	s_andn2_b32 vcc_lo, exec_lo, s19
	s_mov_b32 s16, -1
                                        ; implicit-def: $vgpr17
	s_cbranch_vccnz .LBB6_10031
; %bb.10018:                            ;   in Loop: Header=BB6_9081 Depth=3
	s_mov_b32 s16, 0
	s_and_saveexec_b32 s73, s23
	s_xor_b32 s23, exec_lo, s73
	s_cbranch_execz .LBB6_10439
; %bb.10019:                            ;   in Loop: Header=BB6_9081 Depth=3
	v_cmp_eq_u16_sdwa s74, v37, v62 src0_sel:BYTE_0 src1_sel:DWORD
	s_mov_b32 s16, -1
	s_and_saveexec_b32 s73, s74
; %bb.10020:                            ;   in Loop: Header=BB6_9081 Depth=3
	s_xor_b32 s16, exec_lo, -1
; %bb.10021:                            ;   in Loop: Header=BB6_9081 Depth=3
	s_or_b32 exec_lo, exec_lo, s73
	s_and_b32 s16, s16, exec_lo
	s_or_saveexec_b32 s23, s23
	v_mov_b32_e32 v17, 0x7f800001
	s_xor_b32 exec_lo, exec_lo, s23
	s_cbranch_execnz .LBB6_10440
.LBB6_10022:                            ;   in Loop: Header=BB6_9081 Depth=3
	s_or_b32 exec_lo, exec_lo, s23
	s_and_saveexec_b32 s23, s16
	s_cbranch_execz .LBB6_10024
.LBB6_10023:                            ;   in Loop: Header=BB6_9081 Depth=3
	v_and_b32_e32 v17, 7, v37
	v_lshrrev_b16 v51, 3, v37
	v_lshlrev_b32_e32 v82, 24, v37
	v_ffbh_u32_e32 v48, v17
	v_and_b32_e32 v51, 15, v51
	v_min_u32_e32 v48, 32, v48
	v_cmp_eq_u32_e32 vcc_lo, 0, v51
	v_subrev_nc_u32_e32 v53, 28, v48
	v_sub_nc_u32_e32 v48, 29, v48
	v_lshlrev_b32_e32 v53, v53, v37
	v_cndmask_b32_e32 v48, v51, v48, vcc_lo
	v_and_b32_e32 v51, 0x80000000, v82
	v_and_b32_e32 v53, 7, v53
	v_lshl_add_u32 v48, v48, 23, 0x3b800000
	v_cndmask_b32_e32 v17, v17, v53, vcc_lo
	v_lshlrev_b32_e32 v17, 20, v17
	v_or3_b32 v17, v51, v48, v17
.LBB6_10024:                            ;   in Loop: Header=BB6_9081 Depth=3
	s_or_b32 exec_lo, exec_lo, s23
	s_waitcnt vmcnt(5) lgkmcnt(5)
	v_cmp_gt_i16_sdwa s23, v36, v61 src0_sel:BYTE_0 src1_sel:DWORD
	s_mov_b32 s16, 0
	s_and_saveexec_b32 s73, s23
	s_xor_b32 s23, exec_lo, s73
	s_cbranch_execz .LBB6_10441
; %bb.10025:                            ;   in Loop: Header=BB6_9081 Depth=3
	v_cmp_eq_u16_sdwa s74, v36, v62 src0_sel:BYTE_0 src1_sel:DWORD
	s_mov_b32 s16, -1
	s_and_saveexec_b32 s73, s74
; %bb.10026:                            ;   in Loop: Header=BB6_9081 Depth=3
	s_xor_b32 s16, exec_lo, -1
; %bb.10027:                            ;   in Loop: Header=BB6_9081 Depth=3
	s_or_b32 exec_lo, exec_lo, s73
	s_and_b32 s16, s16, exec_lo
	s_or_saveexec_b32 s23, s23
	v_mov_b32_e32 v48, 0x7f800001
	s_xor_b32 exec_lo, exec_lo, s23
	s_cbranch_execnz .LBB6_10442
.LBB6_10028:                            ;   in Loop: Header=BB6_9081 Depth=3
	s_or_b32 exec_lo, exec_lo, s23
	s_and_saveexec_b32 s23, s16
	s_cbranch_execz .LBB6_10030
.LBB6_10029:                            ;   in Loop: Header=BB6_9081 Depth=3
	v_and_b32_e32 v48, 7, v36
	v_lshrrev_b16 v53, 3, v36
	v_lshlrev_b32_e32 v84, 24, v36
	v_ffbh_u32_e32 v51, v48
	v_and_b32_e32 v53, 15, v53
	v_min_u32_e32 v51, 32, v51
	v_cmp_eq_u32_e32 vcc_lo, 0, v53
	v_subrev_nc_u32_e32 v82, 28, v51
	v_sub_nc_u32_e32 v51, 29, v51
	v_lshlrev_b32_e32 v82, v82, v36
	v_cndmask_b32_e32 v51, v53, v51, vcc_lo
	v_and_b32_e32 v53, 0x80000000, v84
	v_and_b32_e32 v82, 7, v82
	v_lshl_add_u32 v51, v51, 23, 0x3b800000
	v_cndmask_b32_e32 v48, v48, v82, vcc_lo
	v_lshlrev_b32_e32 v48, 20, v48
	v_or3_b32 v48, v53, v51, v48
.LBB6_10030:                            ;   in Loop: Header=BB6_9081 Depth=3
	s_or_b32 exec_lo, exec_lo, s23
	v_max_f32_e32 v48, v48, v48
	v_max_f32_e32 v17, v17, v17
	s_mov_b32 s16, 0
	v_max_f32_e32 v17, v17, v48
.LBB6_10031:                            ;   in Loop: Header=BB6_9081 Depth=3
	s_and_b32 vcc_lo, exec_lo, s16
	s_cbranch_vccz .LBB6_10045
; %bb.10032:                            ;   in Loop: Header=BB6_9081 Depth=3
	v_cmp_gt_i16_sdwa s23, v37, v61 src0_sel:BYTE_0 src1_sel:DWORD
	s_mov_b32 s16, 0
	s_and_saveexec_b32 s73, s23
	s_xor_b32 s23, exec_lo, s73
	s_cbranch_execz .LBB6_10443
; %bb.10033:                            ;   in Loop: Header=BB6_9081 Depth=3
	v_cmp_eq_u16_sdwa s74, v37, v62 src0_sel:BYTE_0 src1_sel:DWORD
	s_mov_b32 s16, -1
	s_and_saveexec_b32 s73, s74
; %bb.10034:                            ;   in Loop: Header=BB6_9081 Depth=3
	s_xor_b32 s16, exec_lo, -1
; %bb.10035:                            ;   in Loop: Header=BB6_9081 Depth=3
	s_or_b32 exec_lo, exec_lo, s73
	s_and_b32 s16, s16, exec_lo
	s_or_saveexec_b32 s23, s23
	v_mov_b32_e32 v17, 0x7f800001
	s_xor_b32 exec_lo, exec_lo, s23
	s_cbranch_execnz .LBB6_10444
.LBB6_10036:                            ;   in Loop: Header=BB6_9081 Depth=3
	s_or_b32 exec_lo, exec_lo, s23
	s_and_saveexec_b32 s23, s16
	s_cbranch_execz .LBB6_10038
.LBB6_10037:                            ;   in Loop: Header=BB6_9081 Depth=3
	v_and_b32_e32 v17, 7, v37
	v_lshrrev_b16 v51, 3, v37
	v_ffbh_u32_e32 v48, v17
	v_and_b32_e32 v51, 15, v51
	v_min_u32_e32 v48, 32, v48
	v_cmp_eq_u32_e32 vcc_lo, 0, v51
	v_subrev_nc_u32_e32 v53, 28, v48
	v_sub_nc_u32_e32 v48, 29, v48
	v_lshlrev_b32_e32 v53, v53, v37
	v_lshlrev_b32_e32 v37, 24, v37
	v_cndmask_b32_e32 v48, v51, v48, vcc_lo
	v_and_b32_e32 v53, 7, v53
	v_and_b32_e32 v37, 0x80000000, v37
	v_lshl_add_u32 v48, v48, 23, 0x3b800000
	v_cndmask_b32_e32 v17, v17, v53, vcc_lo
	v_lshlrev_b32_e32 v17, 20, v17
	v_or3_b32 v17, v37, v48, v17
.LBB6_10038:                            ;   in Loop: Header=BB6_9081 Depth=3
	s_or_b32 exec_lo, exec_lo, s23
	s_waitcnt vmcnt(5) lgkmcnt(5)
	v_cmp_gt_i16_sdwa s23, v36, v61 src0_sel:BYTE_0 src1_sel:DWORD
	s_mov_b32 s16, 0
	s_and_saveexec_b32 s73, s23
	s_xor_b32 s23, exec_lo, s73
	s_cbranch_execz .LBB6_10445
; %bb.10039:                            ;   in Loop: Header=BB6_9081 Depth=3
	v_cmp_eq_u16_sdwa s74, v36, v62 src0_sel:BYTE_0 src1_sel:DWORD
	s_mov_b32 s16, -1
	s_and_saveexec_b32 s73, s74
; %bb.10040:                            ;   in Loop: Header=BB6_9081 Depth=3
	s_xor_b32 s16, exec_lo, -1
; %bb.10041:                            ;   in Loop: Header=BB6_9081 Depth=3
	s_or_b32 exec_lo, exec_lo, s73
	s_and_b32 s16, s16, exec_lo
	s_or_saveexec_b32 s23, s23
	v_mov_b32_e32 v37, 0x7f800001
	s_xor_b32 exec_lo, exec_lo, s23
	s_cbranch_execnz .LBB6_10446
.LBB6_10042:                            ;   in Loop: Header=BB6_9081 Depth=3
	s_or_b32 exec_lo, exec_lo, s23
	s_and_saveexec_b32 s23, s16
	s_cbranch_execz .LBB6_10044
.LBB6_10043:                            ;   in Loop: Header=BB6_9081 Depth=3
	v_and_b32_e32 v37, 7, v36
	v_lshrrev_b16 v51, 3, v36
	v_ffbh_u32_e32 v48, v37
	v_and_b32_e32 v51, 15, v51
	v_min_u32_e32 v48, 32, v48
	v_cmp_eq_u32_e32 vcc_lo, 0, v51
	v_subrev_nc_u32_e32 v53, 28, v48
	v_sub_nc_u32_e32 v48, 29, v48
	v_lshlrev_b32_e32 v53, v53, v36
	v_lshlrev_b32_e32 v36, 24, v36
	v_cndmask_b32_e32 v48, v51, v48, vcc_lo
	v_and_b32_e32 v53, 7, v53
	v_and_b32_e32 v36, 0x80000000, v36
	v_lshl_add_u32 v48, v48, 23, 0x3b800000
	v_cndmask_b32_e32 v37, v37, v53, vcc_lo
	v_lshlrev_b32_e32 v37, 20, v37
	v_or3_b32 v37, v36, v48, v37
.LBB6_10044:                            ;   in Loop: Header=BB6_9081 Depth=3
	s_or_b32 exec_lo, exec_lo, s23
	v_max_f32_e32 v36, v37, v37
	v_max_f32_e32 v17, v17, v17
	v_min_f32_e32 v17, v17, v36
.LBB6_10045:                            ;   in Loop: Header=BB6_9081 Depth=3
	s_waitcnt vmcnt(5) lgkmcnt(5)
	v_and_b32_e32 v36, 0x7f800000, v17
	v_cmp_ne_u32_e32 vcc_lo, 0x7f800000, v36
	v_mov_b32_e32 v36, 0x80
	s_and_saveexec_b32 s23, vcc_lo
	s_cbranch_execz .LBB6_10053
; %bb.10046:                            ;   in Loop: Header=BB6_9081 Depth=3
	v_mov_b32_e32 v36, 0
	s_mov_b32 s73, exec_lo
	v_cmpx_ne_u32_e32 0, v17
	s_cbranch_execz .LBB6_10052
; %bb.10047:                            ;   in Loop: Header=BB6_9081 Depth=3
	v_bfe_u32 v37, v17, 23, 8
	v_and_b32_e32 v36, 0x7fffff, v17
	v_cmp_gt_u32_e64 s16, 0x79, v37
	v_sub_nc_u32_e32 v48, 0x78, v37
	v_cmp_eq_u32_e32 vcc_lo, 0, v37
	v_or_b32_e32 v51, 0x800000, v36
	v_cndmask_b32_e64 v48, 0, v48, s16
	v_cndmask_b32_e32 v36, v51, v36, vcc_lo
	v_cndmask_b32_e64 v48, v48, 0x77, vcc_lo
	v_lshl_add_u32 v51, 0x100000, v48, -1
	v_lshlrev_b32_e64 v53, v48, 0x80000
	v_and_b32_e32 v51, v51, v36
	v_cmp_eq_u32_e64 s16, v51, v53
	v_lshrrev_b32_e32 v51, v48, v36
	v_add_nc_u32_e32 v36, 0xffffff89, v37
	v_lshrrev_b32_e32 v37, 23, v51
	v_cndmask_b32_e64 v36, v36, 0xffffff8a, vcc_lo
	v_xor_b32_e32 v37, 1, v37
	v_add_nc_u32_e32 v36, v48, v36
	v_bfe_u32 v48, v51, 20, 1
	v_add_nc_u32_e32 v48, -1, v48
	v_cndmask_b32_e64 v48, 0, v48, s16
	s_mov_b32 s16, exec_lo
	v_add_nc_u32_e32 v48, v48, v51
	v_and_b32_e32 v48, 0xfffff, v48
	v_add_nc_u32_e32 v48, v48, v51
                                        ; implicit-def: $vgpr51
	v_cmpx_ne_u32_e64 v36, v37
	s_xor_b32 s16, exec_lo, s16
; %bb.10048:                            ;   in Loop: Header=BB6_9081 Depth=3
	v_cmp_lt_u32_e32 vcc_lo, 0xffffff, v48
	v_sub_nc_u32_e32 v36, v36, v37
	v_cndmask_b32_e64 v37, 0, 1, vcc_lo
	v_add_co_ci_u32_e64 v51, null, 0, v36, vcc_lo
	v_lshrrev_b32_e32 v48, v37, v48
; %bb.10049:                            ;   in Loop: Header=BB6_9081 Depth=3
	s_andn2_saveexec_b32 s16, s16
; %bb.10050:                            ;   in Loop: Header=BB6_9081 Depth=3
	v_bfe_u32 v51, v48, 23, 1
; %bb.10051:                            ;   in Loop: Header=BB6_9081 Depth=3
	s_or_b32 exec_lo, exec_lo, s16
	v_lshrrev_b32_e32 v36, 20, v48
	v_cmp_gt_i32_e32 vcc_lo, 16, v51
	v_min_i32_e32 v37, 15, v51
	v_and_b32_sdwa v17, v17, v62 dst_sel:DWORD dst_unused:UNUSED_PAD src0_sel:BYTE_3 src1_sel:DWORD
	v_cndmask_b32_e32 v36, 7, v36, vcc_lo
	v_lshlrev_b32_e32 v37, 3, v37
	v_or_b32_e32 v48, v51, v36
	v_and_b32_e32 v36, 7, v36
	v_cmp_ne_u32_e32 vcc_lo, 0, v48
	v_or3_b32 v17, v37, v17, v36
	v_cndmask_b32_e32 v36, 0, v17, vcc_lo
.LBB6_10052:                            ;   in Loop: Header=BB6_9081 Depth=3
	s_or_b32 exec_lo, exec_lo, s73
.LBB6_10053:                            ;   in Loop: Header=BB6_9081 Depth=3
	s_or_b32 exec_lo, exec_lo, s23
	v_cmp_gt_i16_sdwa s23, v34, v61 src0_sel:BYTE_0 src1_sel:DWORD
	s_andn2_b32 vcc_lo, exec_lo, s19
	s_mov_b32 s16, -1
                                        ; implicit-def: $vgpr17
	s_cbranch_vccnz .LBB6_10067
; %bb.10054:                            ;   in Loop: Header=BB6_9081 Depth=3
	s_mov_b32 s16, 0
	s_and_saveexec_b32 s73, s23
	s_xor_b32 s23, exec_lo, s73
	s_cbranch_execz .LBB6_10447
; %bb.10055:                            ;   in Loop: Header=BB6_9081 Depth=3
	v_cmp_eq_u16_sdwa s74, v34, v62 src0_sel:BYTE_0 src1_sel:DWORD
	s_mov_b32 s16, -1
	s_and_saveexec_b32 s73, s74
; %bb.10056:                            ;   in Loop: Header=BB6_9081 Depth=3
	s_xor_b32 s16, exec_lo, -1
; %bb.10057:                            ;   in Loop: Header=BB6_9081 Depth=3
	s_or_b32 exec_lo, exec_lo, s73
	s_and_b32 s16, s16, exec_lo
	s_or_saveexec_b32 s23, s23
	v_mov_b32_e32 v17, 0x7f800001
	s_xor_b32 exec_lo, exec_lo, s23
	s_cbranch_execnz .LBB6_10448
.LBB6_10058:                            ;   in Loop: Header=BB6_9081 Depth=3
	s_or_b32 exec_lo, exec_lo, s23
	s_and_saveexec_b32 s23, s16
	s_cbranch_execz .LBB6_10060
.LBB6_10059:                            ;   in Loop: Header=BB6_9081 Depth=3
	v_and_b32_e32 v17, 7, v34
	v_lshrrev_b16 v48, 3, v34
	v_lshlrev_b32_e32 v53, 24, v34
	v_ffbh_u32_e32 v37, v17
	v_and_b32_e32 v48, 15, v48
	v_min_u32_e32 v37, 32, v37
	v_cmp_eq_u32_e32 vcc_lo, 0, v48
	v_subrev_nc_u32_e32 v51, 28, v37
	v_sub_nc_u32_e32 v37, 29, v37
	v_lshlrev_b32_e32 v51, v51, v34
	v_cndmask_b32_e32 v37, v48, v37, vcc_lo
	v_and_b32_e32 v48, 0x80000000, v53
	v_and_b32_e32 v51, 7, v51
	v_lshl_add_u32 v37, v37, 23, 0x3b800000
	v_cndmask_b32_e32 v17, v17, v51, vcc_lo
	v_lshlrev_b32_e32 v17, 20, v17
	v_or3_b32 v17, v48, v37, v17
.LBB6_10060:                            ;   in Loop: Header=BB6_9081 Depth=3
	s_or_b32 exec_lo, exec_lo, s23
	s_waitcnt vmcnt(4) lgkmcnt(4)
	v_cmp_gt_i16_sdwa s23, v33, v61 src0_sel:BYTE_0 src1_sel:DWORD
	s_mov_b32 s16, 0
	s_and_saveexec_b32 s73, s23
	s_xor_b32 s23, exec_lo, s73
	s_cbranch_execz .LBB6_10449
; %bb.10061:                            ;   in Loop: Header=BB6_9081 Depth=3
	v_cmp_eq_u16_sdwa s74, v33, v62 src0_sel:BYTE_0 src1_sel:DWORD
	s_mov_b32 s16, -1
	s_and_saveexec_b32 s73, s74
; %bb.10062:                            ;   in Loop: Header=BB6_9081 Depth=3
	s_xor_b32 s16, exec_lo, -1
; %bb.10063:                            ;   in Loop: Header=BB6_9081 Depth=3
	s_or_b32 exec_lo, exec_lo, s73
	s_and_b32 s16, s16, exec_lo
	s_or_saveexec_b32 s23, s23
	v_mov_b32_e32 v37, 0x7f800001
	s_xor_b32 exec_lo, exec_lo, s23
	s_cbranch_execnz .LBB6_10450
.LBB6_10064:                            ;   in Loop: Header=BB6_9081 Depth=3
	s_or_b32 exec_lo, exec_lo, s23
	s_and_saveexec_b32 s23, s16
	s_cbranch_execz .LBB6_10066
.LBB6_10065:                            ;   in Loop: Header=BB6_9081 Depth=3
	v_and_b32_e32 v37, 7, v33
	v_lshrrev_b16 v51, 3, v33
	v_lshlrev_b32_e32 v82, 24, v33
	v_ffbh_u32_e32 v48, v37
	v_and_b32_e32 v51, 15, v51
	v_min_u32_e32 v48, 32, v48
	v_cmp_eq_u32_e32 vcc_lo, 0, v51
	v_subrev_nc_u32_e32 v53, 28, v48
	v_sub_nc_u32_e32 v48, 29, v48
	v_lshlrev_b32_e32 v53, v53, v33
	v_cndmask_b32_e32 v48, v51, v48, vcc_lo
	v_and_b32_e32 v51, 0x80000000, v82
	v_and_b32_e32 v53, 7, v53
	v_lshl_add_u32 v48, v48, 23, 0x3b800000
	v_cndmask_b32_e32 v37, v37, v53, vcc_lo
	v_lshlrev_b32_e32 v37, 20, v37
	v_or3_b32 v37, v51, v48, v37
.LBB6_10066:                            ;   in Loop: Header=BB6_9081 Depth=3
	s_or_b32 exec_lo, exec_lo, s23
	v_max_f32_e32 v37, v37, v37
	v_max_f32_e32 v17, v17, v17
	s_mov_b32 s16, 0
	v_max_f32_e32 v17, v17, v37
.LBB6_10067:                            ;   in Loop: Header=BB6_9081 Depth=3
	s_and_b32 vcc_lo, exec_lo, s16
	s_cbranch_vccz .LBB6_10081
; %bb.10068:                            ;   in Loop: Header=BB6_9081 Depth=3
	v_cmp_gt_i16_sdwa s23, v34, v61 src0_sel:BYTE_0 src1_sel:DWORD
	s_mov_b32 s16, 0
	s_and_saveexec_b32 s73, s23
	s_xor_b32 s23, exec_lo, s73
	s_cbranch_execz .LBB6_10451
; %bb.10069:                            ;   in Loop: Header=BB6_9081 Depth=3
	v_cmp_eq_u16_sdwa s74, v34, v62 src0_sel:BYTE_0 src1_sel:DWORD
	s_mov_b32 s16, -1
	s_and_saveexec_b32 s73, s74
; %bb.10070:                            ;   in Loop: Header=BB6_9081 Depth=3
	s_xor_b32 s16, exec_lo, -1
; %bb.10071:                            ;   in Loop: Header=BB6_9081 Depth=3
	s_or_b32 exec_lo, exec_lo, s73
	s_and_b32 s16, s16, exec_lo
	s_or_saveexec_b32 s23, s23
	v_mov_b32_e32 v17, 0x7f800001
	s_xor_b32 exec_lo, exec_lo, s23
	s_cbranch_execnz .LBB6_10452
.LBB6_10072:                            ;   in Loop: Header=BB6_9081 Depth=3
	s_or_b32 exec_lo, exec_lo, s23
	s_and_saveexec_b32 s23, s16
	s_cbranch_execz .LBB6_10074
.LBB6_10073:                            ;   in Loop: Header=BB6_9081 Depth=3
	v_and_b32_e32 v17, 7, v34
	v_lshrrev_b16 v48, 3, v34
	v_ffbh_u32_e32 v37, v17
	v_and_b32_e32 v48, 15, v48
	v_min_u32_e32 v37, 32, v37
	v_cmp_eq_u32_e32 vcc_lo, 0, v48
	v_subrev_nc_u32_e32 v51, 28, v37
	v_sub_nc_u32_e32 v37, 29, v37
	v_lshlrev_b32_e32 v51, v51, v34
	v_lshlrev_b32_e32 v34, 24, v34
	v_cndmask_b32_e32 v37, v48, v37, vcc_lo
	v_and_b32_e32 v51, 7, v51
	v_and_b32_e32 v34, 0x80000000, v34
	v_lshl_add_u32 v37, v37, 23, 0x3b800000
	v_cndmask_b32_e32 v17, v17, v51, vcc_lo
	v_lshlrev_b32_e32 v17, 20, v17
	v_or3_b32 v17, v34, v37, v17
.LBB6_10074:                            ;   in Loop: Header=BB6_9081 Depth=3
	s_or_b32 exec_lo, exec_lo, s23
	s_waitcnt vmcnt(4) lgkmcnt(4)
	v_cmp_gt_i16_sdwa s23, v33, v61 src0_sel:BYTE_0 src1_sel:DWORD
	s_mov_b32 s16, 0
	s_and_saveexec_b32 s73, s23
	s_xor_b32 s23, exec_lo, s73
	s_cbranch_execz .LBB6_10453
; %bb.10075:                            ;   in Loop: Header=BB6_9081 Depth=3
	v_cmp_eq_u16_sdwa s74, v33, v62 src0_sel:BYTE_0 src1_sel:DWORD
	s_mov_b32 s16, -1
	s_and_saveexec_b32 s73, s74
; %bb.10076:                            ;   in Loop: Header=BB6_9081 Depth=3
	s_xor_b32 s16, exec_lo, -1
; %bb.10077:                            ;   in Loop: Header=BB6_9081 Depth=3
	s_or_b32 exec_lo, exec_lo, s73
	s_and_b32 s16, s16, exec_lo
	s_or_saveexec_b32 s23, s23
	v_mov_b32_e32 v34, 0x7f800001
	s_xor_b32 exec_lo, exec_lo, s23
	s_cbranch_execnz .LBB6_10454
.LBB6_10078:                            ;   in Loop: Header=BB6_9081 Depth=3
	s_or_b32 exec_lo, exec_lo, s23
	s_and_saveexec_b32 s23, s16
	s_cbranch_execz .LBB6_10080
.LBB6_10079:                            ;   in Loop: Header=BB6_9081 Depth=3
	v_and_b32_e32 v34, 7, v33
	v_lshrrev_b16 v48, 3, v33
	v_ffbh_u32_e32 v37, v34
	v_and_b32_e32 v48, 15, v48
	v_min_u32_e32 v37, 32, v37
	v_cmp_eq_u32_e32 vcc_lo, 0, v48
	v_subrev_nc_u32_e32 v51, 28, v37
	v_sub_nc_u32_e32 v37, 29, v37
	v_lshlrev_b32_e32 v51, v51, v33
	v_lshlrev_b32_e32 v33, 24, v33
	v_cndmask_b32_e32 v37, v48, v37, vcc_lo
	v_and_b32_e32 v51, 7, v51
	v_and_b32_e32 v33, 0x80000000, v33
	v_lshl_add_u32 v37, v37, 23, 0x3b800000
	v_cndmask_b32_e32 v34, v34, v51, vcc_lo
	v_lshlrev_b32_e32 v34, 20, v34
	v_or3_b32 v34, v33, v37, v34
.LBB6_10080:                            ;   in Loop: Header=BB6_9081 Depth=3
	s_or_b32 exec_lo, exec_lo, s23
	v_max_f32_e32 v33, v34, v34
	v_max_f32_e32 v17, v17, v17
	v_min_f32_e32 v17, v17, v33
.LBB6_10081:                            ;   in Loop: Header=BB6_9081 Depth=3
	s_waitcnt vmcnt(4) lgkmcnt(4)
	v_and_b32_e32 v33, 0x7f800000, v17
	v_cmp_ne_u32_e32 vcc_lo, 0x7f800000, v33
	v_mov_b32_e32 v33, 0x80
	s_and_saveexec_b32 s23, vcc_lo
	s_cbranch_execz .LBB6_10089
; %bb.10082:                            ;   in Loop: Header=BB6_9081 Depth=3
	v_mov_b32_e32 v33, 0
	s_mov_b32 s73, exec_lo
	v_cmpx_ne_u32_e32 0, v17
	s_cbranch_execz .LBB6_10088
; %bb.10083:                            ;   in Loop: Header=BB6_9081 Depth=3
	v_bfe_u32 v34, v17, 23, 8
	v_and_b32_e32 v33, 0x7fffff, v17
	v_cmp_gt_u32_e64 s16, 0x79, v34
	v_sub_nc_u32_e32 v37, 0x78, v34
	v_cmp_eq_u32_e32 vcc_lo, 0, v34
	v_or_b32_e32 v48, 0x800000, v33
	v_cndmask_b32_e64 v37, 0, v37, s16
	v_cndmask_b32_e32 v33, v48, v33, vcc_lo
	v_cndmask_b32_e64 v37, v37, 0x77, vcc_lo
	v_lshl_add_u32 v48, 0x100000, v37, -1
	v_lshlrev_b32_e64 v51, v37, 0x80000
	v_and_b32_e32 v48, v48, v33
	v_cmp_eq_u32_e64 s16, v48, v51
	v_lshrrev_b32_e32 v48, v37, v33
	v_add_nc_u32_e32 v33, 0xffffff89, v34
	v_lshrrev_b32_e32 v34, 23, v48
	v_cndmask_b32_e64 v33, v33, 0xffffff8a, vcc_lo
	v_xor_b32_e32 v34, 1, v34
	v_add_nc_u32_e32 v33, v37, v33
	v_bfe_u32 v37, v48, 20, 1
	v_add_nc_u32_e32 v37, -1, v37
	v_cndmask_b32_e64 v37, 0, v37, s16
	s_mov_b32 s16, exec_lo
	v_add_nc_u32_e32 v37, v37, v48
	v_and_b32_e32 v37, 0xfffff, v37
	v_add_nc_u32_e32 v37, v37, v48
                                        ; implicit-def: $vgpr48
	v_cmpx_ne_u32_e64 v33, v34
	s_xor_b32 s16, exec_lo, s16
; %bb.10084:                            ;   in Loop: Header=BB6_9081 Depth=3
	v_cmp_lt_u32_e32 vcc_lo, 0xffffff, v37
	v_sub_nc_u32_e32 v33, v33, v34
	v_cndmask_b32_e64 v34, 0, 1, vcc_lo
	v_add_co_ci_u32_e64 v48, null, 0, v33, vcc_lo
	v_lshrrev_b32_e32 v37, v34, v37
; %bb.10085:                            ;   in Loop: Header=BB6_9081 Depth=3
	s_andn2_saveexec_b32 s16, s16
; %bb.10086:                            ;   in Loop: Header=BB6_9081 Depth=3
	v_bfe_u32 v48, v37, 23, 1
; %bb.10087:                            ;   in Loop: Header=BB6_9081 Depth=3
	s_or_b32 exec_lo, exec_lo, s16
	v_lshrrev_b32_e32 v33, 20, v37
	v_cmp_gt_i32_e32 vcc_lo, 16, v48
	v_min_i32_e32 v34, 15, v48
	v_and_b32_sdwa v17, v17, v62 dst_sel:DWORD dst_unused:UNUSED_PAD src0_sel:BYTE_3 src1_sel:DWORD
	v_cndmask_b32_e32 v33, 7, v33, vcc_lo
	v_lshlrev_b32_e32 v34, 3, v34
	v_or_b32_e32 v37, v48, v33
	v_and_b32_e32 v33, 7, v33
	v_cmp_ne_u32_e32 vcc_lo, 0, v37
	v_or3_b32 v17, v34, v17, v33
	v_cndmask_b32_e32 v33, 0, v17, vcc_lo
.LBB6_10088:                            ;   in Loop: Header=BB6_9081 Depth=3
	s_or_b32 exec_lo, exec_lo, s73
.LBB6_10089:                            ;   in Loop: Header=BB6_9081 Depth=3
	s_or_b32 exec_lo, exec_lo, s23
	v_cmp_gt_i16_sdwa s23, v30, v61 src0_sel:BYTE_0 src1_sel:DWORD
	s_andn2_b32 vcc_lo, exec_lo, s19
	s_mov_b32 s16, -1
                                        ; implicit-def: $vgpr17
	s_cbranch_vccnz .LBB6_10103
; %bb.10090:                            ;   in Loop: Header=BB6_9081 Depth=3
	s_mov_b32 s16, 0
	s_and_saveexec_b32 s73, s23
	s_xor_b32 s23, exec_lo, s73
	s_cbranch_execz .LBB6_10455
; %bb.10091:                            ;   in Loop: Header=BB6_9081 Depth=3
	v_cmp_eq_u16_sdwa s74, v30, v62 src0_sel:BYTE_0 src1_sel:DWORD
	s_mov_b32 s16, -1
	s_and_saveexec_b32 s73, s74
; %bb.10092:                            ;   in Loop: Header=BB6_9081 Depth=3
	s_xor_b32 s16, exec_lo, -1
; %bb.10093:                            ;   in Loop: Header=BB6_9081 Depth=3
	s_or_b32 exec_lo, exec_lo, s73
	s_and_b32 s16, s16, exec_lo
	s_or_saveexec_b32 s23, s23
	v_mov_b32_e32 v17, 0x7f800001
	s_xor_b32 exec_lo, exec_lo, s23
	s_cbranch_execnz .LBB6_10456
.LBB6_10094:                            ;   in Loop: Header=BB6_9081 Depth=3
	s_or_b32 exec_lo, exec_lo, s23
	s_and_saveexec_b32 s23, s16
	s_cbranch_execz .LBB6_10096
.LBB6_10095:                            ;   in Loop: Header=BB6_9081 Depth=3
	v_and_b32_e32 v17, 7, v30
	v_lshrrev_b16 v37, 3, v30
	v_lshlrev_b32_e32 v51, 24, v30
	v_ffbh_u32_e32 v34, v17
	v_and_b32_e32 v37, 15, v37
	v_min_u32_e32 v34, 32, v34
	v_cmp_eq_u32_e32 vcc_lo, 0, v37
	v_subrev_nc_u32_e32 v48, 28, v34
	v_sub_nc_u32_e32 v34, 29, v34
	v_lshlrev_b32_e32 v48, v48, v30
	v_cndmask_b32_e32 v34, v37, v34, vcc_lo
	v_and_b32_e32 v37, 0x80000000, v51
	v_and_b32_e32 v48, 7, v48
	v_lshl_add_u32 v34, v34, 23, 0x3b800000
	v_cndmask_b32_e32 v17, v17, v48, vcc_lo
	v_lshlrev_b32_e32 v17, 20, v17
	v_or3_b32 v17, v37, v34, v17
.LBB6_10096:                            ;   in Loop: Header=BB6_9081 Depth=3
	s_or_b32 exec_lo, exec_lo, s23
	s_waitcnt vmcnt(3) lgkmcnt(3)
	v_cmp_gt_i16_sdwa s23, v29, v61 src0_sel:BYTE_0 src1_sel:DWORD
	s_mov_b32 s16, 0
	s_and_saveexec_b32 s73, s23
	s_xor_b32 s23, exec_lo, s73
	s_cbranch_execz .LBB6_10457
; %bb.10097:                            ;   in Loop: Header=BB6_9081 Depth=3
	v_cmp_eq_u16_sdwa s74, v29, v62 src0_sel:BYTE_0 src1_sel:DWORD
	s_mov_b32 s16, -1
	s_and_saveexec_b32 s73, s74
; %bb.10098:                            ;   in Loop: Header=BB6_9081 Depth=3
	s_xor_b32 s16, exec_lo, -1
; %bb.10099:                            ;   in Loop: Header=BB6_9081 Depth=3
	s_or_b32 exec_lo, exec_lo, s73
	s_and_b32 s16, s16, exec_lo
	s_or_saveexec_b32 s23, s23
	v_mov_b32_e32 v34, 0x7f800001
	s_xor_b32 exec_lo, exec_lo, s23
	s_cbranch_execnz .LBB6_10458
.LBB6_10100:                            ;   in Loop: Header=BB6_9081 Depth=3
	s_or_b32 exec_lo, exec_lo, s23
	s_and_saveexec_b32 s23, s16
	s_cbranch_execz .LBB6_10102
.LBB6_10101:                            ;   in Loop: Header=BB6_9081 Depth=3
	v_and_b32_e32 v34, 7, v29
	v_lshrrev_b16 v48, 3, v29
	v_lshlrev_b32_e32 v53, 24, v29
	v_ffbh_u32_e32 v37, v34
	v_and_b32_e32 v48, 15, v48
	v_min_u32_e32 v37, 32, v37
	v_cmp_eq_u32_e32 vcc_lo, 0, v48
	v_subrev_nc_u32_e32 v51, 28, v37
	v_sub_nc_u32_e32 v37, 29, v37
	v_lshlrev_b32_e32 v51, v51, v29
	v_cndmask_b32_e32 v37, v48, v37, vcc_lo
	v_and_b32_e32 v48, 0x80000000, v53
	v_and_b32_e32 v51, 7, v51
	v_lshl_add_u32 v37, v37, 23, 0x3b800000
	v_cndmask_b32_e32 v34, v34, v51, vcc_lo
	v_lshlrev_b32_e32 v34, 20, v34
	v_or3_b32 v34, v48, v37, v34
.LBB6_10102:                            ;   in Loop: Header=BB6_9081 Depth=3
	s_or_b32 exec_lo, exec_lo, s23
	v_max_f32_e32 v34, v34, v34
	v_max_f32_e32 v17, v17, v17
	s_mov_b32 s16, 0
	v_max_f32_e32 v17, v17, v34
.LBB6_10103:                            ;   in Loop: Header=BB6_9081 Depth=3
	s_and_b32 vcc_lo, exec_lo, s16
	s_cbranch_vccz .LBB6_10117
; %bb.10104:                            ;   in Loop: Header=BB6_9081 Depth=3
	v_cmp_gt_i16_sdwa s23, v30, v61 src0_sel:BYTE_0 src1_sel:DWORD
	s_mov_b32 s16, 0
	s_and_saveexec_b32 s73, s23
	s_xor_b32 s23, exec_lo, s73
	s_cbranch_execz .LBB6_10459
; %bb.10105:                            ;   in Loop: Header=BB6_9081 Depth=3
	v_cmp_eq_u16_sdwa s74, v30, v62 src0_sel:BYTE_0 src1_sel:DWORD
	s_mov_b32 s16, -1
	s_and_saveexec_b32 s73, s74
; %bb.10106:                            ;   in Loop: Header=BB6_9081 Depth=3
	s_xor_b32 s16, exec_lo, -1
; %bb.10107:                            ;   in Loop: Header=BB6_9081 Depth=3
	s_or_b32 exec_lo, exec_lo, s73
	s_and_b32 s16, s16, exec_lo
	s_or_saveexec_b32 s23, s23
	v_mov_b32_e32 v17, 0x7f800001
	s_xor_b32 exec_lo, exec_lo, s23
	s_cbranch_execnz .LBB6_10460
.LBB6_10108:                            ;   in Loop: Header=BB6_9081 Depth=3
	s_or_b32 exec_lo, exec_lo, s23
	s_and_saveexec_b32 s23, s16
	s_cbranch_execz .LBB6_10110
.LBB6_10109:                            ;   in Loop: Header=BB6_9081 Depth=3
	v_and_b32_e32 v17, 7, v30
	v_lshrrev_b16 v37, 3, v30
	v_ffbh_u32_e32 v34, v17
	v_and_b32_e32 v37, 15, v37
	v_min_u32_e32 v34, 32, v34
	v_cmp_eq_u32_e32 vcc_lo, 0, v37
	v_subrev_nc_u32_e32 v48, 28, v34
	v_sub_nc_u32_e32 v34, 29, v34
	v_lshlrev_b32_e32 v48, v48, v30
	v_lshlrev_b32_e32 v30, 24, v30
	v_cndmask_b32_e32 v34, v37, v34, vcc_lo
	v_and_b32_e32 v48, 7, v48
	v_and_b32_e32 v30, 0x80000000, v30
	v_lshl_add_u32 v34, v34, 23, 0x3b800000
	v_cndmask_b32_e32 v17, v17, v48, vcc_lo
	v_lshlrev_b32_e32 v17, 20, v17
	v_or3_b32 v17, v30, v34, v17
.LBB6_10110:                            ;   in Loop: Header=BB6_9081 Depth=3
	s_or_b32 exec_lo, exec_lo, s23
	s_waitcnt vmcnt(3) lgkmcnt(3)
	v_cmp_gt_i16_sdwa s23, v29, v61 src0_sel:BYTE_0 src1_sel:DWORD
	s_mov_b32 s16, 0
	s_and_saveexec_b32 s73, s23
	s_xor_b32 s23, exec_lo, s73
	s_cbranch_execz .LBB6_10461
; %bb.10111:                            ;   in Loop: Header=BB6_9081 Depth=3
	v_cmp_eq_u16_sdwa s74, v29, v62 src0_sel:BYTE_0 src1_sel:DWORD
	s_mov_b32 s16, -1
	s_and_saveexec_b32 s73, s74
; %bb.10112:                            ;   in Loop: Header=BB6_9081 Depth=3
	s_xor_b32 s16, exec_lo, -1
; %bb.10113:                            ;   in Loop: Header=BB6_9081 Depth=3
	s_or_b32 exec_lo, exec_lo, s73
	s_and_b32 s16, s16, exec_lo
	s_or_saveexec_b32 s23, s23
	v_mov_b32_e32 v30, 0x7f800001
	s_xor_b32 exec_lo, exec_lo, s23
	s_cbranch_execnz .LBB6_10462
.LBB6_10114:                            ;   in Loop: Header=BB6_9081 Depth=3
	s_or_b32 exec_lo, exec_lo, s23
	s_and_saveexec_b32 s23, s16
	s_cbranch_execz .LBB6_10116
.LBB6_10115:                            ;   in Loop: Header=BB6_9081 Depth=3
	v_and_b32_e32 v30, 7, v29
	v_lshrrev_b16 v37, 3, v29
	v_ffbh_u32_e32 v34, v30
	v_and_b32_e32 v37, 15, v37
	v_min_u32_e32 v34, 32, v34
	v_cmp_eq_u32_e32 vcc_lo, 0, v37
	v_subrev_nc_u32_e32 v48, 28, v34
	v_sub_nc_u32_e32 v34, 29, v34
	v_lshlrev_b32_e32 v48, v48, v29
	v_lshlrev_b32_e32 v29, 24, v29
	v_cndmask_b32_e32 v34, v37, v34, vcc_lo
	v_and_b32_e32 v48, 7, v48
	v_and_b32_e32 v29, 0x80000000, v29
	v_lshl_add_u32 v34, v34, 23, 0x3b800000
	v_cndmask_b32_e32 v30, v30, v48, vcc_lo
	v_lshlrev_b32_e32 v30, 20, v30
	v_or3_b32 v30, v29, v34, v30
.LBB6_10116:                            ;   in Loop: Header=BB6_9081 Depth=3
	s_or_b32 exec_lo, exec_lo, s23
	v_max_f32_e32 v29, v30, v30
	v_max_f32_e32 v17, v17, v17
	v_min_f32_e32 v17, v17, v29
.LBB6_10117:                            ;   in Loop: Header=BB6_9081 Depth=3
	s_waitcnt vmcnt(3) lgkmcnt(3)
	v_and_b32_e32 v29, 0x7f800000, v17
	v_cmp_ne_u32_e32 vcc_lo, 0x7f800000, v29
	v_mov_b32_e32 v29, 0x80
	s_and_saveexec_b32 s23, vcc_lo
	s_cbranch_execz .LBB6_10125
; %bb.10118:                            ;   in Loop: Header=BB6_9081 Depth=3
	v_mov_b32_e32 v29, 0
	s_mov_b32 s73, exec_lo
	v_cmpx_ne_u32_e32 0, v17
	s_cbranch_execz .LBB6_10124
; %bb.10119:                            ;   in Loop: Header=BB6_9081 Depth=3
	v_bfe_u32 v30, v17, 23, 8
	v_and_b32_e32 v29, 0x7fffff, v17
	v_cmp_gt_u32_e64 s16, 0x79, v30
	v_sub_nc_u32_e32 v34, 0x78, v30
	v_cmp_eq_u32_e32 vcc_lo, 0, v30
	v_or_b32_e32 v37, 0x800000, v29
	v_cndmask_b32_e64 v34, 0, v34, s16
	v_cndmask_b32_e32 v29, v37, v29, vcc_lo
	v_cndmask_b32_e64 v34, v34, 0x77, vcc_lo
	v_lshl_add_u32 v37, 0x100000, v34, -1
	v_lshlrev_b32_e64 v48, v34, 0x80000
	v_and_b32_e32 v37, v37, v29
	v_cmp_eq_u32_e64 s16, v37, v48
	v_lshrrev_b32_e32 v37, v34, v29
	v_add_nc_u32_e32 v29, 0xffffff89, v30
	v_lshrrev_b32_e32 v30, 23, v37
	v_cndmask_b32_e64 v29, v29, 0xffffff8a, vcc_lo
	v_xor_b32_e32 v30, 1, v30
	v_add_nc_u32_e32 v29, v34, v29
	v_bfe_u32 v34, v37, 20, 1
	v_add_nc_u32_e32 v34, -1, v34
	v_cndmask_b32_e64 v34, 0, v34, s16
	s_mov_b32 s16, exec_lo
	v_add_nc_u32_e32 v34, v34, v37
	v_and_b32_e32 v34, 0xfffff, v34
	v_add_nc_u32_e32 v34, v34, v37
                                        ; implicit-def: $vgpr37
	v_cmpx_ne_u32_e64 v29, v30
	s_xor_b32 s16, exec_lo, s16
; %bb.10120:                            ;   in Loop: Header=BB6_9081 Depth=3
	v_cmp_lt_u32_e32 vcc_lo, 0xffffff, v34
	v_sub_nc_u32_e32 v29, v29, v30
	v_cndmask_b32_e64 v30, 0, 1, vcc_lo
	v_add_co_ci_u32_e64 v37, null, 0, v29, vcc_lo
	v_lshrrev_b32_e32 v34, v30, v34
; %bb.10121:                            ;   in Loop: Header=BB6_9081 Depth=3
	s_andn2_saveexec_b32 s16, s16
; %bb.10122:                            ;   in Loop: Header=BB6_9081 Depth=3
	v_bfe_u32 v37, v34, 23, 1
; %bb.10123:                            ;   in Loop: Header=BB6_9081 Depth=3
	s_or_b32 exec_lo, exec_lo, s16
	v_lshrrev_b32_e32 v29, 20, v34
	v_cmp_gt_i32_e32 vcc_lo, 16, v37
	v_min_i32_e32 v30, 15, v37
	v_and_b32_sdwa v17, v17, v62 dst_sel:DWORD dst_unused:UNUSED_PAD src0_sel:BYTE_3 src1_sel:DWORD
	v_cndmask_b32_e32 v29, 7, v29, vcc_lo
	v_lshlrev_b32_e32 v30, 3, v30
	v_or_b32_e32 v34, v37, v29
	v_and_b32_e32 v29, 7, v29
	v_cmp_ne_u32_e32 vcc_lo, 0, v34
	v_or3_b32 v17, v30, v17, v29
	v_cndmask_b32_e32 v29, 0, v17, vcc_lo
.LBB6_10124:                            ;   in Loop: Header=BB6_9081 Depth=3
	s_or_b32 exec_lo, exec_lo, s73
.LBB6_10125:                            ;   in Loop: Header=BB6_9081 Depth=3
	s_or_b32 exec_lo, exec_lo, s23
	v_cmp_gt_i16_sdwa s23, v27, v61 src0_sel:BYTE_0 src1_sel:DWORD
	s_andn2_b32 vcc_lo, exec_lo, s19
	s_mov_b32 s16, -1
                                        ; implicit-def: $vgpr17
	s_cbranch_vccnz .LBB6_10139
; %bb.10126:                            ;   in Loop: Header=BB6_9081 Depth=3
	s_mov_b32 s16, 0
	s_and_saveexec_b32 s73, s23
	s_xor_b32 s23, exec_lo, s73
	s_cbranch_execz .LBB6_10463
; %bb.10127:                            ;   in Loop: Header=BB6_9081 Depth=3
	v_cmp_eq_u16_sdwa s74, v27, v62 src0_sel:BYTE_0 src1_sel:DWORD
	s_mov_b32 s16, -1
	s_and_saveexec_b32 s73, s74
; %bb.10128:                            ;   in Loop: Header=BB6_9081 Depth=3
	s_xor_b32 s16, exec_lo, -1
; %bb.10129:                            ;   in Loop: Header=BB6_9081 Depth=3
	s_or_b32 exec_lo, exec_lo, s73
	s_and_b32 s16, s16, exec_lo
	s_or_saveexec_b32 s23, s23
	v_mov_b32_e32 v17, 0x7f800001
	s_xor_b32 exec_lo, exec_lo, s23
	s_cbranch_execnz .LBB6_10464
.LBB6_10130:                            ;   in Loop: Header=BB6_9081 Depth=3
	s_or_b32 exec_lo, exec_lo, s23
	s_and_saveexec_b32 s23, s16
	s_cbranch_execz .LBB6_10132
.LBB6_10131:                            ;   in Loop: Header=BB6_9081 Depth=3
	v_and_b32_e32 v17, 7, v27
	v_lshrrev_b16 v34, 3, v27
	v_lshlrev_b32_e32 v48, 24, v27
	v_ffbh_u32_e32 v30, v17
	v_and_b32_e32 v34, 15, v34
	v_min_u32_e32 v30, 32, v30
	v_cmp_eq_u32_e32 vcc_lo, 0, v34
	v_subrev_nc_u32_e32 v37, 28, v30
	v_sub_nc_u32_e32 v30, 29, v30
	v_lshlrev_b32_e32 v37, v37, v27
	v_cndmask_b32_e32 v30, v34, v30, vcc_lo
	v_and_b32_e32 v34, 0x80000000, v48
	v_and_b32_e32 v37, 7, v37
	v_lshl_add_u32 v30, v30, 23, 0x3b800000
	v_cndmask_b32_e32 v17, v17, v37, vcc_lo
	v_lshlrev_b32_e32 v17, 20, v17
	v_or3_b32 v17, v34, v30, v17
.LBB6_10132:                            ;   in Loop: Header=BB6_9081 Depth=3
	s_or_b32 exec_lo, exec_lo, s23
	s_waitcnt vmcnt(2) lgkmcnt(2)
	v_cmp_gt_i16_sdwa s23, v26, v61 src0_sel:BYTE_0 src1_sel:DWORD
	s_mov_b32 s16, 0
	s_and_saveexec_b32 s73, s23
	s_xor_b32 s23, exec_lo, s73
	s_cbranch_execz .LBB6_10465
; %bb.10133:                            ;   in Loop: Header=BB6_9081 Depth=3
	v_cmp_eq_u16_sdwa s74, v26, v62 src0_sel:BYTE_0 src1_sel:DWORD
	s_mov_b32 s16, -1
	s_and_saveexec_b32 s73, s74
; %bb.10134:                            ;   in Loop: Header=BB6_9081 Depth=3
	s_xor_b32 s16, exec_lo, -1
; %bb.10135:                            ;   in Loop: Header=BB6_9081 Depth=3
	s_or_b32 exec_lo, exec_lo, s73
	s_and_b32 s16, s16, exec_lo
	s_or_saveexec_b32 s23, s23
	v_mov_b32_e32 v30, 0x7f800001
	s_xor_b32 exec_lo, exec_lo, s23
	s_cbranch_execnz .LBB6_10466
.LBB6_10136:                            ;   in Loop: Header=BB6_9081 Depth=3
	s_or_b32 exec_lo, exec_lo, s23
	s_and_saveexec_b32 s23, s16
	s_cbranch_execz .LBB6_10138
.LBB6_10137:                            ;   in Loop: Header=BB6_9081 Depth=3
	v_and_b32_e32 v30, 7, v26
	v_lshrrev_b16 v37, 3, v26
	v_lshlrev_b32_e32 v51, 24, v26
	v_ffbh_u32_e32 v34, v30
	v_and_b32_e32 v37, 15, v37
	v_min_u32_e32 v34, 32, v34
	v_cmp_eq_u32_e32 vcc_lo, 0, v37
	v_subrev_nc_u32_e32 v48, 28, v34
	v_sub_nc_u32_e32 v34, 29, v34
	v_lshlrev_b32_e32 v48, v48, v26
	v_cndmask_b32_e32 v34, v37, v34, vcc_lo
	v_and_b32_e32 v37, 0x80000000, v51
	v_and_b32_e32 v48, 7, v48
	v_lshl_add_u32 v34, v34, 23, 0x3b800000
	v_cndmask_b32_e32 v30, v30, v48, vcc_lo
	v_lshlrev_b32_e32 v30, 20, v30
	v_or3_b32 v30, v37, v34, v30
.LBB6_10138:                            ;   in Loop: Header=BB6_9081 Depth=3
	s_or_b32 exec_lo, exec_lo, s23
	v_max_f32_e32 v30, v30, v30
	v_max_f32_e32 v17, v17, v17
	s_mov_b32 s16, 0
	v_max_f32_e32 v17, v17, v30
.LBB6_10139:                            ;   in Loop: Header=BB6_9081 Depth=3
	s_and_b32 vcc_lo, exec_lo, s16
	s_cbranch_vccz .LBB6_10153
; %bb.10140:                            ;   in Loop: Header=BB6_9081 Depth=3
	v_cmp_gt_i16_sdwa s23, v27, v61 src0_sel:BYTE_0 src1_sel:DWORD
	s_mov_b32 s16, 0
	s_and_saveexec_b32 s73, s23
	s_xor_b32 s23, exec_lo, s73
	s_cbranch_execz .LBB6_10467
; %bb.10141:                            ;   in Loop: Header=BB6_9081 Depth=3
	v_cmp_eq_u16_sdwa s74, v27, v62 src0_sel:BYTE_0 src1_sel:DWORD
	s_mov_b32 s16, -1
	s_and_saveexec_b32 s73, s74
; %bb.10142:                            ;   in Loop: Header=BB6_9081 Depth=3
	s_xor_b32 s16, exec_lo, -1
; %bb.10143:                            ;   in Loop: Header=BB6_9081 Depth=3
	s_or_b32 exec_lo, exec_lo, s73
	s_and_b32 s16, s16, exec_lo
	s_or_saveexec_b32 s23, s23
	v_mov_b32_e32 v17, 0x7f800001
	s_xor_b32 exec_lo, exec_lo, s23
	s_cbranch_execnz .LBB6_10468
.LBB6_10144:                            ;   in Loop: Header=BB6_9081 Depth=3
	s_or_b32 exec_lo, exec_lo, s23
	s_and_saveexec_b32 s23, s16
	s_cbranch_execz .LBB6_10146
.LBB6_10145:                            ;   in Loop: Header=BB6_9081 Depth=3
	v_and_b32_e32 v17, 7, v27
	v_lshrrev_b16 v34, 3, v27
	v_ffbh_u32_e32 v30, v17
	v_and_b32_e32 v34, 15, v34
	v_min_u32_e32 v30, 32, v30
	v_cmp_eq_u32_e32 vcc_lo, 0, v34
	v_subrev_nc_u32_e32 v37, 28, v30
	v_sub_nc_u32_e32 v30, 29, v30
	v_lshlrev_b32_e32 v37, v37, v27
	v_lshlrev_b32_e32 v27, 24, v27
	v_cndmask_b32_e32 v30, v34, v30, vcc_lo
	v_and_b32_e32 v37, 7, v37
	v_and_b32_e32 v27, 0x80000000, v27
	v_lshl_add_u32 v30, v30, 23, 0x3b800000
	v_cndmask_b32_e32 v17, v17, v37, vcc_lo
	v_lshlrev_b32_e32 v17, 20, v17
	v_or3_b32 v17, v27, v30, v17
.LBB6_10146:                            ;   in Loop: Header=BB6_9081 Depth=3
	s_or_b32 exec_lo, exec_lo, s23
	s_waitcnt vmcnt(2) lgkmcnt(2)
	v_cmp_gt_i16_sdwa s23, v26, v61 src0_sel:BYTE_0 src1_sel:DWORD
	s_mov_b32 s16, 0
	s_and_saveexec_b32 s73, s23
	s_xor_b32 s23, exec_lo, s73
	s_cbranch_execz .LBB6_10469
; %bb.10147:                            ;   in Loop: Header=BB6_9081 Depth=3
	v_cmp_eq_u16_sdwa s74, v26, v62 src0_sel:BYTE_0 src1_sel:DWORD
	s_mov_b32 s16, -1
	s_and_saveexec_b32 s73, s74
; %bb.10148:                            ;   in Loop: Header=BB6_9081 Depth=3
	s_xor_b32 s16, exec_lo, -1
; %bb.10149:                            ;   in Loop: Header=BB6_9081 Depth=3
	s_or_b32 exec_lo, exec_lo, s73
	s_and_b32 s16, s16, exec_lo
	s_or_saveexec_b32 s23, s23
	v_mov_b32_e32 v27, 0x7f800001
	s_xor_b32 exec_lo, exec_lo, s23
	s_cbranch_execnz .LBB6_10470
.LBB6_10150:                            ;   in Loop: Header=BB6_9081 Depth=3
	s_or_b32 exec_lo, exec_lo, s23
	s_and_saveexec_b32 s23, s16
	s_cbranch_execz .LBB6_10152
.LBB6_10151:                            ;   in Loop: Header=BB6_9081 Depth=3
	v_and_b32_e32 v27, 7, v26
	v_lshrrev_b16 v34, 3, v26
	v_ffbh_u32_e32 v30, v27
	v_and_b32_e32 v34, 15, v34
	v_min_u32_e32 v30, 32, v30
	v_cmp_eq_u32_e32 vcc_lo, 0, v34
	v_subrev_nc_u32_e32 v37, 28, v30
	v_sub_nc_u32_e32 v30, 29, v30
	v_lshlrev_b32_e32 v37, v37, v26
	v_lshlrev_b32_e32 v26, 24, v26
	v_cndmask_b32_e32 v30, v34, v30, vcc_lo
	v_and_b32_e32 v37, 7, v37
	v_and_b32_e32 v26, 0x80000000, v26
	v_lshl_add_u32 v30, v30, 23, 0x3b800000
	v_cndmask_b32_e32 v27, v27, v37, vcc_lo
	v_lshlrev_b32_e32 v27, 20, v27
	v_or3_b32 v27, v26, v30, v27
.LBB6_10152:                            ;   in Loop: Header=BB6_9081 Depth=3
	s_or_b32 exec_lo, exec_lo, s23
	v_max_f32_e32 v26, v27, v27
	v_max_f32_e32 v17, v17, v17
	v_min_f32_e32 v17, v17, v26
.LBB6_10153:                            ;   in Loop: Header=BB6_9081 Depth=3
	s_waitcnt vmcnt(2) lgkmcnt(2)
	v_and_b32_e32 v26, 0x7f800000, v17
	v_cmp_ne_u32_e32 vcc_lo, 0x7f800000, v26
	v_mov_b32_e32 v26, 0x80
	s_and_saveexec_b32 s23, vcc_lo
	s_cbranch_execz .LBB6_10161
; %bb.10154:                            ;   in Loop: Header=BB6_9081 Depth=3
	v_mov_b32_e32 v26, 0
	s_mov_b32 s73, exec_lo
	v_cmpx_ne_u32_e32 0, v17
	s_cbranch_execz .LBB6_10160
; %bb.10155:                            ;   in Loop: Header=BB6_9081 Depth=3
	v_bfe_u32 v27, v17, 23, 8
	v_and_b32_e32 v26, 0x7fffff, v17
	v_cmp_gt_u32_e64 s16, 0x79, v27
	v_sub_nc_u32_e32 v30, 0x78, v27
	v_cmp_eq_u32_e32 vcc_lo, 0, v27
	v_or_b32_e32 v34, 0x800000, v26
	v_cndmask_b32_e64 v30, 0, v30, s16
	v_cndmask_b32_e32 v26, v34, v26, vcc_lo
	v_cndmask_b32_e64 v30, v30, 0x77, vcc_lo
	v_lshl_add_u32 v34, 0x100000, v30, -1
	v_lshlrev_b32_e64 v37, v30, 0x80000
	v_and_b32_e32 v34, v34, v26
	v_cmp_eq_u32_e64 s16, v34, v37
	v_lshrrev_b32_e32 v34, v30, v26
	v_add_nc_u32_e32 v26, 0xffffff89, v27
	v_lshrrev_b32_e32 v27, 23, v34
	v_cndmask_b32_e64 v26, v26, 0xffffff8a, vcc_lo
	v_xor_b32_e32 v27, 1, v27
	v_add_nc_u32_e32 v26, v30, v26
	v_bfe_u32 v30, v34, 20, 1
	v_add_nc_u32_e32 v30, -1, v30
	v_cndmask_b32_e64 v30, 0, v30, s16
	s_mov_b32 s16, exec_lo
	v_add_nc_u32_e32 v30, v30, v34
	v_and_b32_e32 v30, 0xfffff, v30
	v_add_nc_u32_e32 v30, v30, v34
                                        ; implicit-def: $vgpr34
	v_cmpx_ne_u32_e64 v26, v27
	s_xor_b32 s16, exec_lo, s16
; %bb.10156:                            ;   in Loop: Header=BB6_9081 Depth=3
	v_cmp_lt_u32_e32 vcc_lo, 0xffffff, v30
	v_sub_nc_u32_e32 v26, v26, v27
	v_cndmask_b32_e64 v27, 0, 1, vcc_lo
	v_add_co_ci_u32_e64 v34, null, 0, v26, vcc_lo
	v_lshrrev_b32_e32 v30, v27, v30
; %bb.10157:                            ;   in Loop: Header=BB6_9081 Depth=3
	s_andn2_saveexec_b32 s16, s16
; %bb.10158:                            ;   in Loop: Header=BB6_9081 Depth=3
	v_bfe_u32 v34, v30, 23, 1
; %bb.10159:                            ;   in Loop: Header=BB6_9081 Depth=3
	s_or_b32 exec_lo, exec_lo, s16
	v_lshrrev_b32_e32 v26, 20, v30
	v_cmp_gt_i32_e32 vcc_lo, 16, v34
	v_min_i32_e32 v27, 15, v34
	v_and_b32_sdwa v17, v17, v62 dst_sel:DWORD dst_unused:UNUSED_PAD src0_sel:BYTE_3 src1_sel:DWORD
	v_cndmask_b32_e32 v26, 7, v26, vcc_lo
	v_lshlrev_b32_e32 v27, 3, v27
	v_or_b32_e32 v30, v34, v26
	v_and_b32_e32 v26, 7, v26
	v_cmp_ne_u32_e32 vcc_lo, 0, v30
	v_or3_b32 v17, v27, v17, v26
	v_cndmask_b32_e32 v26, 0, v17, vcc_lo
.LBB6_10160:                            ;   in Loop: Header=BB6_9081 Depth=3
	s_or_b32 exec_lo, exec_lo, s73
.LBB6_10161:                            ;   in Loop: Header=BB6_9081 Depth=3
	s_or_b32 exec_lo, exec_lo, s23
	v_cmp_gt_i16_sdwa s23, v24, v61 src0_sel:BYTE_0 src1_sel:DWORD
	s_andn2_b32 vcc_lo, exec_lo, s19
	s_mov_b32 s16, -1
                                        ; implicit-def: $vgpr17
	s_cbranch_vccnz .LBB6_10175
; %bb.10162:                            ;   in Loop: Header=BB6_9081 Depth=3
	s_mov_b32 s16, 0
	s_and_saveexec_b32 s73, s23
	s_xor_b32 s23, exec_lo, s73
	s_cbranch_execz .LBB6_10471
; %bb.10163:                            ;   in Loop: Header=BB6_9081 Depth=3
	v_cmp_eq_u16_sdwa s74, v24, v62 src0_sel:BYTE_0 src1_sel:DWORD
	s_mov_b32 s16, -1
	s_and_saveexec_b32 s73, s74
; %bb.10164:                            ;   in Loop: Header=BB6_9081 Depth=3
	s_xor_b32 s16, exec_lo, -1
; %bb.10165:                            ;   in Loop: Header=BB6_9081 Depth=3
	s_or_b32 exec_lo, exec_lo, s73
	s_and_b32 s16, s16, exec_lo
	s_or_saveexec_b32 s23, s23
	v_mov_b32_e32 v17, 0x7f800001
	s_xor_b32 exec_lo, exec_lo, s23
	s_cbranch_execnz .LBB6_10472
.LBB6_10166:                            ;   in Loop: Header=BB6_9081 Depth=3
	s_or_b32 exec_lo, exec_lo, s23
	s_and_saveexec_b32 s23, s16
	s_cbranch_execz .LBB6_10168
.LBB6_10167:                            ;   in Loop: Header=BB6_9081 Depth=3
	v_and_b32_e32 v17, 7, v24
	v_lshrrev_b16 v30, 3, v24
	v_lshlrev_b32_e32 v37, 24, v24
	v_ffbh_u32_e32 v27, v17
	v_and_b32_e32 v30, 15, v30
	v_min_u32_e32 v27, 32, v27
	v_cmp_eq_u32_e32 vcc_lo, 0, v30
	v_subrev_nc_u32_e32 v34, 28, v27
	v_sub_nc_u32_e32 v27, 29, v27
	v_lshlrev_b32_e32 v34, v34, v24
	v_cndmask_b32_e32 v27, v30, v27, vcc_lo
	v_and_b32_e32 v30, 0x80000000, v37
	v_and_b32_e32 v34, 7, v34
	v_lshl_add_u32 v27, v27, 23, 0x3b800000
	v_cndmask_b32_e32 v17, v17, v34, vcc_lo
	v_lshlrev_b32_e32 v17, 20, v17
	v_or3_b32 v17, v30, v27, v17
.LBB6_10168:                            ;   in Loop: Header=BB6_9081 Depth=3
	s_or_b32 exec_lo, exec_lo, s23
	s_waitcnt vmcnt(1) lgkmcnt(1)
	v_cmp_gt_i16_sdwa s23, v23, v61 src0_sel:BYTE_0 src1_sel:DWORD
	s_mov_b32 s16, 0
	s_and_saveexec_b32 s73, s23
	s_xor_b32 s23, exec_lo, s73
	s_cbranch_execz .LBB6_10473
; %bb.10169:                            ;   in Loop: Header=BB6_9081 Depth=3
	v_cmp_eq_u16_sdwa s74, v23, v62 src0_sel:BYTE_0 src1_sel:DWORD
	s_mov_b32 s16, -1
	s_and_saveexec_b32 s73, s74
; %bb.10170:                            ;   in Loop: Header=BB6_9081 Depth=3
	s_xor_b32 s16, exec_lo, -1
; %bb.10171:                            ;   in Loop: Header=BB6_9081 Depth=3
	s_or_b32 exec_lo, exec_lo, s73
	s_and_b32 s16, s16, exec_lo
	s_or_saveexec_b32 s23, s23
	v_mov_b32_e32 v27, 0x7f800001
	s_xor_b32 exec_lo, exec_lo, s23
	s_cbranch_execnz .LBB6_10474
.LBB6_10172:                            ;   in Loop: Header=BB6_9081 Depth=3
	s_or_b32 exec_lo, exec_lo, s23
	s_and_saveexec_b32 s23, s16
	s_cbranch_execz .LBB6_10174
.LBB6_10173:                            ;   in Loop: Header=BB6_9081 Depth=3
	v_and_b32_e32 v27, 7, v23
	v_lshrrev_b16 v34, 3, v23
	v_lshlrev_b32_e32 v48, 24, v23
	v_ffbh_u32_e32 v30, v27
	v_and_b32_e32 v34, 15, v34
	v_min_u32_e32 v30, 32, v30
	v_cmp_eq_u32_e32 vcc_lo, 0, v34
	v_subrev_nc_u32_e32 v37, 28, v30
	v_sub_nc_u32_e32 v30, 29, v30
	v_lshlrev_b32_e32 v37, v37, v23
	v_cndmask_b32_e32 v30, v34, v30, vcc_lo
	v_and_b32_e32 v34, 0x80000000, v48
	v_and_b32_e32 v37, 7, v37
	v_lshl_add_u32 v30, v30, 23, 0x3b800000
	v_cndmask_b32_e32 v27, v27, v37, vcc_lo
	v_lshlrev_b32_e32 v27, 20, v27
	v_or3_b32 v27, v34, v30, v27
.LBB6_10174:                            ;   in Loop: Header=BB6_9081 Depth=3
	s_or_b32 exec_lo, exec_lo, s23
	v_max_f32_e32 v27, v27, v27
	v_max_f32_e32 v17, v17, v17
	s_mov_b32 s16, 0
	v_max_f32_e32 v17, v17, v27
.LBB6_10175:                            ;   in Loop: Header=BB6_9081 Depth=3
	s_and_b32 vcc_lo, exec_lo, s16
	s_cbranch_vccz .LBB6_10189
; %bb.10176:                            ;   in Loop: Header=BB6_9081 Depth=3
	v_cmp_gt_i16_sdwa s23, v24, v61 src0_sel:BYTE_0 src1_sel:DWORD
	s_mov_b32 s16, 0
	s_and_saveexec_b32 s73, s23
	s_xor_b32 s23, exec_lo, s73
	s_cbranch_execz .LBB6_10475
; %bb.10177:                            ;   in Loop: Header=BB6_9081 Depth=3
	v_cmp_eq_u16_sdwa s74, v24, v62 src0_sel:BYTE_0 src1_sel:DWORD
	s_mov_b32 s16, -1
	s_and_saveexec_b32 s73, s74
; %bb.10178:                            ;   in Loop: Header=BB6_9081 Depth=3
	s_xor_b32 s16, exec_lo, -1
; %bb.10179:                            ;   in Loop: Header=BB6_9081 Depth=3
	s_or_b32 exec_lo, exec_lo, s73
	s_and_b32 s16, s16, exec_lo
	s_or_saveexec_b32 s23, s23
	v_mov_b32_e32 v17, 0x7f800001
	s_xor_b32 exec_lo, exec_lo, s23
	s_cbranch_execnz .LBB6_10476
.LBB6_10180:                            ;   in Loop: Header=BB6_9081 Depth=3
	s_or_b32 exec_lo, exec_lo, s23
	s_and_saveexec_b32 s23, s16
	s_cbranch_execz .LBB6_10182
.LBB6_10181:                            ;   in Loop: Header=BB6_9081 Depth=3
	v_and_b32_e32 v17, 7, v24
	v_lshrrev_b16 v30, 3, v24
	v_ffbh_u32_e32 v27, v17
	v_and_b32_e32 v30, 15, v30
	v_min_u32_e32 v27, 32, v27
	v_cmp_eq_u32_e32 vcc_lo, 0, v30
	v_subrev_nc_u32_e32 v34, 28, v27
	v_sub_nc_u32_e32 v27, 29, v27
	v_lshlrev_b32_e32 v34, v34, v24
	v_lshlrev_b32_e32 v24, 24, v24
	v_cndmask_b32_e32 v27, v30, v27, vcc_lo
	v_and_b32_e32 v34, 7, v34
	v_and_b32_e32 v24, 0x80000000, v24
	v_lshl_add_u32 v27, v27, 23, 0x3b800000
	v_cndmask_b32_e32 v17, v17, v34, vcc_lo
	v_lshlrev_b32_e32 v17, 20, v17
	v_or3_b32 v17, v24, v27, v17
.LBB6_10182:                            ;   in Loop: Header=BB6_9081 Depth=3
	s_or_b32 exec_lo, exec_lo, s23
	s_waitcnt vmcnt(1) lgkmcnt(1)
	v_cmp_gt_i16_sdwa s23, v23, v61 src0_sel:BYTE_0 src1_sel:DWORD
	s_mov_b32 s16, 0
	s_and_saveexec_b32 s73, s23
	s_xor_b32 s23, exec_lo, s73
	s_cbranch_execz .LBB6_10477
; %bb.10183:                            ;   in Loop: Header=BB6_9081 Depth=3
	v_cmp_eq_u16_sdwa s74, v23, v62 src0_sel:BYTE_0 src1_sel:DWORD
	s_mov_b32 s16, -1
	s_and_saveexec_b32 s73, s74
; %bb.10184:                            ;   in Loop: Header=BB6_9081 Depth=3
	s_xor_b32 s16, exec_lo, -1
; %bb.10185:                            ;   in Loop: Header=BB6_9081 Depth=3
	s_or_b32 exec_lo, exec_lo, s73
	s_and_b32 s16, s16, exec_lo
	s_or_saveexec_b32 s23, s23
	v_mov_b32_e32 v24, 0x7f800001
	s_xor_b32 exec_lo, exec_lo, s23
	s_cbranch_execnz .LBB6_10478
.LBB6_10186:                            ;   in Loop: Header=BB6_9081 Depth=3
	s_or_b32 exec_lo, exec_lo, s23
	s_and_saveexec_b32 s23, s16
	s_cbranch_execz .LBB6_10188
.LBB6_10187:                            ;   in Loop: Header=BB6_9081 Depth=3
	v_and_b32_e32 v24, 7, v23
	v_lshrrev_b16 v30, 3, v23
	v_ffbh_u32_e32 v27, v24
	v_and_b32_e32 v30, 15, v30
	v_min_u32_e32 v27, 32, v27
	v_cmp_eq_u32_e32 vcc_lo, 0, v30
	v_subrev_nc_u32_e32 v34, 28, v27
	v_sub_nc_u32_e32 v27, 29, v27
	v_lshlrev_b32_e32 v34, v34, v23
	v_lshlrev_b32_e32 v23, 24, v23
	v_cndmask_b32_e32 v27, v30, v27, vcc_lo
	v_and_b32_e32 v34, 7, v34
	v_and_b32_e32 v23, 0x80000000, v23
	v_lshl_add_u32 v27, v27, 23, 0x3b800000
	v_cndmask_b32_e32 v24, v24, v34, vcc_lo
	v_lshlrev_b32_e32 v24, 20, v24
	v_or3_b32 v24, v23, v27, v24
.LBB6_10188:                            ;   in Loop: Header=BB6_9081 Depth=3
	s_or_b32 exec_lo, exec_lo, s23
	v_max_f32_e32 v23, v24, v24
	v_max_f32_e32 v17, v17, v17
	v_min_f32_e32 v17, v17, v23
.LBB6_10189:                            ;   in Loop: Header=BB6_9081 Depth=3
	s_waitcnt vmcnt(1) lgkmcnt(1)
	v_and_b32_e32 v23, 0x7f800000, v17
	v_cmp_ne_u32_e32 vcc_lo, 0x7f800000, v23
	v_mov_b32_e32 v23, 0x80
	s_and_saveexec_b32 s23, vcc_lo
	s_cbranch_execz .LBB6_10197
; %bb.10190:                            ;   in Loop: Header=BB6_9081 Depth=3
	v_mov_b32_e32 v23, 0
	s_mov_b32 s73, exec_lo
	v_cmpx_ne_u32_e32 0, v17
	s_cbranch_execz .LBB6_10196
; %bb.10191:                            ;   in Loop: Header=BB6_9081 Depth=3
	v_bfe_u32 v24, v17, 23, 8
	v_and_b32_e32 v23, 0x7fffff, v17
	v_cmp_gt_u32_e64 s16, 0x79, v24
	v_sub_nc_u32_e32 v27, 0x78, v24
	v_cmp_eq_u32_e32 vcc_lo, 0, v24
	v_or_b32_e32 v30, 0x800000, v23
	v_cndmask_b32_e64 v27, 0, v27, s16
	v_cndmask_b32_e32 v23, v30, v23, vcc_lo
	v_cndmask_b32_e64 v27, v27, 0x77, vcc_lo
	v_lshl_add_u32 v30, 0x100000, v27, -1
	v_lshlrev_b32_e64 v34, v27, 0x80000
	v_and_b32_e32 v30, v30, v23
	v_cmp_eq_u32_e64 s16, v30, v34
	v_lshrrev_b32_e32 v30, v27, v23
	v_add_nc_u32_e32 v23, 0xffffff89, v24
	v_lshrrev_b32_e32 v24, 23, v30
	v_cndmask_b32_e64 v23, v23, 0xffffff8a, vcc_lo
	v_xor_b32_e32 v24, 1, v24
	v_add_nc_u32_e32 v23, v27, v23
	v_bfe_u32 v27, v30, 20, 1
	v_add_nc_u32_e32 v27, -1, v27
	v_cndmask_b32_e64 v27, 0, v27, s16
	s_mov_b32 s16, exec_lo
	v_add_nc_u32_e32 v27, v27, v30
	v_and_b32_e32 v27, 0xfffff, v27
	v_add_nc_u32_e32 v27, v27, v30
                                        ; implicit-def: $vgpr30
	v_cmpx_ne_u32_e64 v23, v24
	s_xor_b32 s16, exec_lo, s16
; %bb.10192:                            ;   in Loop: Header=BB6_9081 Depth=3
	v_cmp_lt_u32_e32 vcc_lo, 0xffffff, v27
	v_sub_nc_u32_e32 v23, v23, v24
	v_cndmask_b32_e64 v24, 0, 1, vcc_lo
	v_add_co_ci_u32_e64 v30, null, 0, v23, vcc_lo
	v_lshrrev_b32_e32 v27, v24, v27
; %bb.10193:                            ;   in Loop: Header=BB6_9081 Depth=3
	s_andn2_saveexec_b32 s16, s16
; %bb.10194:                            ;   in Loop: Header=BB6_9081 Depth=3
	v_bfe_u32 v30, v27, 23, 1
; %bb.10195:                            ;   in Loop: Header=BB6_9081 Depth=3
	s_or_b32 exec_lo, exec_lo, s16
	v_lshrrev_b32_e32 v23, 20, v27
	v_cmp_gt_i32_e32 vcc_lo, 16, v30
	v_min_i32_e32 v24, 15, v30
	v_and_b32_sdwa v17, v17, v62 dst_sel:DWORD dst_unused:UNUSED_PAD src0_sel:BYTE_3 src1_sel:DWORD
	v_cndmask_b32_e32 v23, 7, v23, vcc_lo
	v_lshlrev_b32_e32 v24, 3, v24
	v_or_b32_e32 v27, v30, v23
	v_and_b32_e32 v23, 7, v23
	v_cmp_ne_u32_e32 vcc_lo, 0, v27
	v_or3_b32 v17, v24, v17, v23
	v_cndmask_b32_e32 v23, 0, v17, vcc_lo
.LBB6_10196:                            ;   in Loop: Header=BB6_9081 Depth=3
	s_or_b32 exec_lo, exec_lo, s73
.LBB6_10197:                            ;   in Loop: Header=BB6_9081 Depth=3
	s_or_b32 exec_lo, exec_lo, s23
	v_cmp_gt_i16_sdwa s23, v21, v61 src0_sel:BYTE_0 src1_sel:DWORD
	s_andn2_b32 vcc_lo, exec_lo, s19
	s_mov_b32 s16, -1
                                        ; implicit-def: $vgpr24
	s_cbranch_vccnz .LBB6_10211
; %bb.10198:                            ;   in Loop: Header=BB6_9081 Depth=3
	s_mov_b32 s16, 0
	s_and_saveexec_b32 s73, s23
	s_xor_b32 s23, exec_lo, s73
	s_cbranch_execz .LBB6_10479
; %bb.10199:                            ;   in Loop: Header=BB6_9081 Depth=3
	v_cmp_eq_u16_sdwa s74, v21, v62 src0_sel:BYTE_0 src1_sel:DWORD
	s_mov_b32 s16, -1
	s_and_saveexec_b32 s73, s74
; %bb.10200:                            ;   in Loop: Header=BB6_9081 Depth=3
	s_xor_b32 s16, exec_lo, -1
; %bb.10201:                            ;   in Loop: Header=BB6_9081 Depth=3
	s_or_b32 exec_lo, exec_lo, s73
	s_and_b32 s16, s16, exec_lo
	s_or_saveexec_b32 s23, s23
	v_mov_b32_e32 v17, 0x7f800001
	s_xor_b32 exec_lo, exec_lo, s23
	s_cbranch_execnz .LBB6_10480
.LBB6_10202:                            ;   in Loop: Header=BB6_9081 Depth=3
	s_or_b32 exec_lo, exec_lo, s23
	s_and_saveexec_b32 s23, s16
	s_cbranch_execz .LBB6_10204
.LBB6_10203:                            ;   in Loop: Header=BB6_9081 Depth=3
	v_and_b32_e32 v17, 7, v21
	v_lshrrev_b16 v27, 3, v21
	v_lshlrev_b32_e32 v34, 24, v21
	v_ffbh_u32_e32 v24, v17
	v_and_b32_e32 v27, 15, v27
	v_min_u32_e32 v24, 32, v24
	v_cmp_eq_u32_e32 vcc_lo, 0, v27
	v_subrev_nc_u32_e32 v30, 28, v24
	v_sub_nc_u32_e32 v24, 29, v24
	v_lshlrev_b32_e32 v30, v30, v21
	v_cndmask_b32_e32 v24, v27, v24, vcc_lo
	v_and_b32_e32 v27, 0x80000000, v34
	v_and_b32_e32 v30, 7, v30
	v_lshl_add_u32 v24, v24, 23, 0x3b800000
	v_cndmask_b32_e32 v17, v17, v30, vcc_lo
	v_lshlrev_b32_e32 v17, 20, v17
	v_or3_b32 v17, v27, v24, v17
.LBB6_10204:                            ;   in Loop: Header=BB6_9081 Depth=3
	s_or_b32 exec_lo, exec_lo, s23
	s_waitcnt vmcnt(0) lgkmcnt(0)
	v_cmp_gt_i16_sdwa s23, v20, v61 src0_sel:BYTE_0 src1_sel:DWORD
	s_mov_b32 s16, 0
	s_and_saveexec_b32 s73, s23
	s_xor_b32 s23, exec_lo, s73
	s_cbranch_execz .LBB6_10481
; %bb.10205:                            ;   in Loop: Header=BB6_9081 Depth=3
	v_cmp_eq_u16_sdwa s74, v20, v62 src0_sel:BYTE_0 src1_sel:DWORD
	s_mov_b32 s16, -1
	s_and_saveexec_b32 s73, s74
; %bb.10206:                            ;   in Loop: Header=BB6_9081 Depth=3
	s_xor_b32 s16, exec_lo, -1
; %bb.10207:                            ;   in Loop: Header=BB6_9081 Depth=3
	s_or_b32 exec_lo, exec_lo, s73
	s_and_b32 s16, s16, exec_lo
	s_or_saveexec_b32 s23, s23
	v_mov_b32_e32 v24, 0x7f800001
	s_xor_b32 exec_lo, exec_lo, s23
	s_cbranch_execnz .LBB6_10482
.LBB6_10208:                            ;   in Loop: Header=BB6_9081 Depth=3
	s_or_b32 exec_lo, exec_lo, s23
	s_and_saveexec_b32 s23, s16
	s_cbranch_execz .LBB6_10210
.LBB6_10209:                            ;   in Loop: Header=BB6_9081 Depth=3
	v_and_b32_e32 v24, 7, v20
	v_lshrrev_b16 v30, 3, v20
	v_lshlrev_b32_e32 v37, 24, v20
	v_ffbh_u32_e32 v27, v24
	v_and_b32_e32 v30, 15, v30
	v_min_u32_e32 v27, 32, v27
	v_cmp_eq_u32_e32 vcc_lo, 0, v30
	v_subrev_nc_u32_e32 v34, 28, v27
	v_sub_nc_u32_e32 v27, 29, v27
	v_lshlrev_b32_e32 v34, v34, v20
	v_cndmask_b32_e32 v27, v30, v27, vcc_lo
	v_and_b32_e32 v30, 0x80000000, v37
	v_and_b32_e32 v34, 7, v34
	v_lshl_add_u32 v27, v27, 23, 0x3b800000
	v_cndmask_b32_e32 v24, v24, v34, vcc_lo
	v_lshlrev_b32_e32 v24, 20, v24
	v_or3_b32 v24, v30, v27, v24
.LBB6_10210:                            ;   in Loop: Header=BB6_9081 Depth=3
	s_or_b32 exec_lo, exec_lo, s23
	v_max_f32_e32 v24, v24, v24
	v_max_f32_e32 v17, v17, v17
	s_mov_b32 s16, 0
	v_max_f32_e32 v24, v17, v24
.LBB6_10211:                            ;   in Loop: Header=BB6_9081 Depth=3
	s_and_b32 vcc_lo, exec_lo, s16
	s_cbranch_vccz .LBB6_10225
; %bb.10212:                            ;   in Loop: Header=BB6_9081 Depth=3
	v_cmp_gt_i16_sdwa s23, v21, v61 src0_sel:BYTE_0 src1_sel:DWORD
	s_mov_b32 s16, 0
	s_and_saveexec_b32 s73, s23
	s_xor_b32 s23, exec_lo, s73
	s_cbranch_execz .LBB6_10483
; %bb.10213:                            ;   in Loop: Header=BB6_9081 Depth=3
	v_cmp_eq_u16_sdwa s74, v21, v62 src0_sel:BYTE_0 src1_sel:DWORD
	s_mov_b32 s16, -1
	s_and_saveexec_b32 s73, s74
; %bb.10214:                            ;   in Loop: Header=BB6_9081 Depth=3
	s_xor_b32 s16, exec_lo, -1
; %bb.10215:                            ;   in Loop: Header=BB6_9081 Depth=3
	s_or_b32 exec_lo, exec_lo, s73
	s_and_b32 s16, s16, exec_lo
	s_or_saveexec_b32 s23, s23
	v_mov_b32_e32 v17, 0x7f800001
	s_xor_b32 exec_lo, exec_lo, s23
	s_cbranch_execnz .LBB6_10484
.LBB6_10216:                            ;   in Loop: Header=BB6_9081 Depth=3
	s_or_b32 exec_lo, exec_lo, s23
	s_and_saveexec_b32 s23, s16
	s_cbranch_execz .LBB6_10218
.LBB6_10217:                            ;   in Loop: Header=BB6_9081 Depth=3
	v_and_b32_e32 v17, 7, v21
	v_lshrrev_b16 v27, 3, v21
	v_ffbh_u32_e32 v24, v17
	v_and_b32_e32 v27, 15, v27
	v_min_u32_e32 v24, 32, v24
	v_cmp_eq_u32_e32 vcc_lo, 0, v27
	v_subrev_nc_u32_e32 v30, 28, v24
	v_sub_nc_u32_e32 v24, 29, v24
	v_lshlrev_b32_e32 v30, v30, v21
	v_lshlrev_b32_e32 v21, 24, v21
	v_cndmask_b32_e32 v24, v27, v24, vcc_lo
	v_and_b32_e32 v30, 7, v30
	v_and_b32_e32 v21, 0x80000000, v21
	v_lshl_add_u32 v24, v24, 23, 0x3b800000
	v_cndmask_b32_e32 v17, v17, v30, vcc_lo
	v_lshlrev_b32_e32 v17, 20, v17
	v_or3_b32 v17, v21, v24, v17
.LBB6_10218:                            ;   in Loop: Header=BB6_9081 Depth=3
	s_or_b32 exec_lo, exec_lo, s23
	s_waitcnt vmcnt(0) lgkmcnt(0)
	v_cmp_gt_i16_sdwa s23, v20, v61 src0_sel:BYTE_0 src1_sel:DWORD
	s_mov_b32 s16, 0
	s_and_saveexec_b32 s73, s23
	s_xor_b32 s23, exec_lo, s73
	s_cbranch_execz .LBB6_10485
; %bb.10219:                            ;   in Loop: Header=BB6_9081 Depth=3
	v_cmp_eq_u16_sdwa s74, v20, v62 src0_sel:BYTE_0 src1_sel:DWORD
	s_mov_b32 s16, -1
	s_and_saveexec_b32 s73, s74
; %bb.10220:                            ;   in Loop: Header=BB6_9081 Depth=3
	s_xor_b32 s16, exec_lo, -1
; %bb.10221:                            ;   in Loop: Header=BB6_9081 Depth=3
	s_or_b32 exec_lo, exec_lo, s73
	s_and_b32 s16, s16, exec_lo
	s_or_saveexec_b32 s23, s23
	v_mov_b32_e32 v21, 0x7f800001
	s_xor_b32 exec_lo, exec_lo, s23
	s_cbranch_execnz .LBB6_10486
.LBB6_10222:                            ;   in Loop: Header=BB6_9081 Depth=3
	s_or_b32 exec_lo, exec_lo, s23
	s_and_saveexec_b32 s23, s16
	s_cbranch_execz .LBB6_10224
.LBB6_10223:                            ;   in Loop: Header=BB6_9081 Depth=3
	v_and_b32_e32 v21, 7, v20
	v_lshrrev_b16 v27, 3, v20
	v_ffbh_u32_e32 v24, v21
	v_and_b32_e32 v27, 15, v27
	v_min_u32_e32 v24, 32, v24
	v_cmp_eq_u32_e32 vcc_lo, 0, v27
	v_subrev_nc_u32_e32 v30, 28, v24
	v_sub_nc_u32_e32 v24, 29, v24
	v_lshlrev_b32_e32 v30, v30, v20
	v_lshlrev_b32_e32 v20, 24, v20
	v_cndmask_b32_e32 v24, v27, v24, vcc_lo
	v_and_b32_e32 v30, 7, v30
	v_and_b32_e32 v20, 0x80000000, v20
	v_lshl_add_u32 v24, v24, 23, 0x3b800000
	v_cndmask_b32_e32 v21, v21, v30, vcc_lo
	v_lshlrev_b32_e32 v21, 20, v21
	v_or3_b32 v21, v20, v24, v21
.LBB6_10224:                            ;   in Loop: Header=BB6_9081 Depth=3
	s_or_b32 exec_lo, exec_lo, s23
	v_max_f32_e32 v20, v21, v21
	v_max_f32_e32 v17, v17, v17
	v_min_f32_e32 v24, v17, v20
.LBB6_10225:                            ;   in Loop: Header=BB6_9081 Depth=3
	v_and_b32_e32 v17, 0x7f800000, v24
	v_cmp_ne_u32_e32 vcc_lo, 0x7f800000, v17
	v_mov_b32_e32 v17, 0x80
	s_and_saveexec_b32 s23, vcc_lo
	s_cbranch_execz .LBB6_9080
; %bb.10226:                            ;   in Loop: Header=BB6_9081 Depth=3
	v_mov_b32_e32 v17, 0
	s_mov_b32 s73, exec_lo
	v_cmpx_ne_u32_e32 0, v24
	s_cbranch_execz .LBB6_9079
; %bb.10227:                            ;   in Loop: Header=BB6_9081 Depth=3
	s_waitcnt vmcnt(0) lgkmcnt(0)
	v_bfe_u32 v20, v24, 23, 8
	v_and_b32_e32 v17, 0x7fffff, v24
	v_cmp_gt_u32_e64 s16, 0x79, v20
	v_sub_nc_u32_e32 v21, 0x78, v20
	v_cmp_eq_u32_e32 vcc_lo, 0, v20
	v_or_b32_e32 v27, 0x800000, v17
	v_cndmask_b32_e64 v21, 0, v21, s16
	v_cndmask_b32_e32 v17, v27, v17, vcc_lo
	v_cndmask_b32_e64 v21, v21, 0x77, vcc_lo
	v_lshl_add_u32 v27, 0x100000, v21, -1
	v_lshlrev_b32_e64 v30, v21, 0x80000
	v_and_b32_e32 v27, v27, v17
	v_cmp_eq_u32_e64 s16, v27, v30
	v_lshrrev_b32_e32 v27, v21, v17
	v_add_nc_u32_e32 v17, 0xffffff89, v20
	v_lshrrev_b32_e32 v20, 23, v27
	v_cndmask_b32_e64 v17, v17, 0xffffff8a, vcc_lo
	v_xor_b32_e32 v20, 1, v20
	v_add_nc_u32_e32 v17, v21, v17
	v_bfe_u32 v21, v27, 20, 1
	v_add_nc_u32_e32 v21, -1, v21
	v_cndmask_b32_e64 v21, 0, v21, s16
	s_mov_b32 s16, exec_lo
	v_add_nc_u32_e32 v21, v21, v27
	v_and_b32_e32 v21, 0xfffff, v21
	v_add_nc_u32_e32 v27, v21, v27
                                        ; implicit-def: $vgpr21
	v_cmpx_ne_u32_e64 v17, v20
	s_xor_b32 s16, exec_lo, s16
; %bb.10228:                            ;   in Loop: Header=BB6_9081 Depth=3
	v_cmp_lt_u32_e32 vcc_lo, 0xffffff, v27
	v_sub_nc_u32_e32 v17, v17, v20
	v_cndmask_b32_e64 v20, 0, 1, vcc_lo
	v_add_co_ci_u32_e64 v21, null, 0, v17, vcc_lo
	v_lshrrev_b32_e32 v27, v20, v27
; %bb.10229:                            ;   in Loop: Header=BB6_9081 Depth=3
	s_andn2_saveexec_b32 s16, s16
	s_cbranch_execz .LBB6_9078
; %bb.10230:                            ;   in Loop: Header=BB6_9081 Depth=3
	v_bfe_u32 v21, v27, 23, 1
	s_branch .LBB6_9078
.LBB6_10231:                            ;   in Loop: Header=BB6_9081 Depth=3
	s_or_saveexec_b32 s16, s16
	v_mov_b32_e32 v17, 0x7f800001
	s_xor_b32 exec_lo, exec_lo, s16
	s_cbranch_execz .LBB6_9086
.LBB6_10232:                            ;   in Loop: Header=BB6_9081 Depth=3
	v_cmp_ne_u16_sdwa s23, v46, v2 src0_sel:BYTE_0 src1_sel:DWORD
	v_mov_b32_e32 v17, 0
	s_andn2_b32 s73, s73, exec_lo
	s_and_b32 s23, s23, exec_lo
	s_or_b32 s73, s73, s23
	s_or_b32 exec_lo, exec_lo, s16
	s_and_saveexec_b32 s16, s73
	s_cbranch_execnz .LBB6_9087
	s_branch .LBB6_9088
.LBB6_10233:                            ;   in Loop: Header=BB6_9081 Depth=3
	s_or_saveexec_b32 s16, s16
	v_mov_b32_e32 v86, 0x7f800001
	s_xor_b32 exec_lo, exec_lo, s16
	s_cbranch_execz .LBB6_9092
.LBB6_10234:                            ;   in Loop: Header=BB6_9081 Depth=3
	v_cmp_ne_u16_sdwa s73, v22, v2 src0_sel:BYTE_0 src1_sel:DWORD
	v_mov_b32_e32 v86, 0
	s_andn2_b32 s23, s23, exec_lo
	s_and_b32 s73, s73, exec_lo
	s_or_b32 s23, s23, s73
	s_or_b32 exec_lo, exec_lo, s16
	s_and_saveexec_b32 s16, s23
	s_cbranch_execnz .LBB6_9093
	s_branch .LBB6_9094
.LBB6_10235:                            ;   in Loop: Header=BB6_9081 Depth=3
	s_or_saveexec_b32 s16, s16
	v_mov_b32_e32 v17, 0x7f800001
	s_xor_b32 exec_lo, exec_lo, s16
	s_cbranch_execz .LBB6_9100
.LBB6_10236:                            ;   in Loop: Header=BB6_9081 Depth=3
	v_cmp_ne_u16_sdwa s73, v46, v2 src0_sel:BYTE_0 src1_sel:DWORD
	v_mov_b32_e32 v17, 0
	s_andn2_b32 s23, s23, exec_lo
	s_and_b32 s73, s73, exec_lo
	s_or_b32 s23, s23, s73
	s_or_b32 exec_lo, exec_lo, s16
	s_and_saveexec_b32 s16, s23
	s_cbranch_execnz .LBB6_9101
	s_branch .LBB6_9102
.LBB6_10237:                            ;   in Loop: Header=BB6_9081 Depth=3
	s_or_saveexec_b32 s16, s16
	v_mov_b32_e32 v86, 0x7f800001
	s_xor_b32 exec_lo, exec_lo, s16
	s_cbranch_execz .LBB6_9106
.LBB6_10238:                            ;   in Loop: Header=BB6_9081 Depth=3
	v_cmp_ne_u16_sdwa s73, v22, v2 src0_sel:BYTE_0 src1_sel:DWORD
	v_mov_b32_e32 v86, 0
	s_andn2_b32 s23, s23, exec_lo
	s_and_b32 s73, s73, exec_lo
	s_or_b32 s23, s23, s73
	s_or_b32 exec_lo, exec_lo, s16
	s_and_saveexec_b32 s16, s23
	s_cbranch_execnz .LBB6_9107
	s_branch .LBB6_9108
.LBB6_10239:                            ;   in Loop: Header=BB6_9081 Depth=3
	s_or_saveexec_b32 s23, s23
	v_mov_b32_e32 v17, 0x7f800001
	s_xor_b32 exec_lo, exec_lo, s23
	s_cbranch_execz .LBB6_9122
.LBB6_10240:                            ;   in Loop: Header=BB6_9081 Depth=3
	v_cmp_ne_u16_sdwa s73, v74, v2 src0_sel:BYTE_0 src1_sel:DWORD
	v_mov_b32_e32 v17, 0
	s_andn2_b32 s16, s16, exec_lo
	s_and_b32 s73, s73, exec_lo
	s_or_b32 s16, s16, s73
	s_or_b32 exec_lo, exec_lo, s23
	s_and_saveexec_b32 s23, s16
	s_cbranch_execnz .LBB6_9123
	s_branch .LBB6_9124
.LBB6_10241:                            ;   in Loop: Header=BB6_9081 Depth=3
	s_or_saveexec_b32 s23, s23
	v_mov_b32_e32 v86, 0x7f800001
	s_xor_b32 exec_lo, exec_lo, s23
	s_cbranch_execz .LBB6_9128
.LBB6_10242:                            ;   in Loop: Header=BB6_9081 Depth=3
	v_cmp_ne_u16_sdwa s73, v25, v2 src0_sel:BYTE_0 src1_sel:DWORD
	v_mov_b32_e32 v86, 0
	s_andn2_b32 s16, s16, exec_lo
	s_and_b32 s73, s73, exec_lo
	s_or_b32 s16, s16, s73
	s_or_b32 exec_lo, exec_lo, s23
	s_and_saveexec_b32 s23, s16
	s_cbranch_execnz .LBB6_9129
	s_branch .LBB6_9130
.LBB6_10243:                            ;   in Loop: Header=BB6_9081 Depth=3
	s_or_saveexec_b32 s23, s23
	v_mov_b32_e32 v17, 0x7f800001
	s_xor_b32 exec_lo, exec_lo, s23
	s_cbranch_execz .LBB6_9136
.LBB6_10244:                            ;   in Loop: Header=BB6_9081 Depth=3
	v_cmp_ne_u16_sdwa s73, v74, v2 src0_sel:BYTE_0 src1_sel:DWORD
	v_mov_b32_e32 v17, 0
	s_andn2_b32 s16, s16, exec_lo
	s_and_b32 s73, s73, exec_lo
	s_or_b32 s16, s16, s73
	s_or_b32 exec_lo, exec_lo, s23
	s_and_saveexec_b32 s23, s16
	s_cbranch_execnz .LBB6_9137
	s_branch .LBB6_9138
.LBB6_10245:                            ;   in Loop: Header=BB6_9081 Depth=3
	s_or_saveexec_b32 s23, s23
	v_mov_b32_e32 v86, 0x7f800001
	s_xor_b32 exec_lo, exec_lo, s23
	s_cbranch_execz .LBB6_9142
.LBB6_10246:                            ;   in Loop: Header=BB6_9081 Depth=3
	v_cmp_ne_u16_sdwa s73, v25, v2 src0_sel:BYTE_0 src1_sel:DWORD
	v_mov_b32_e32 v86, 0
	s_andn2_b32 s16, s16, exec_lo
	s_and_b32 s73, s73, exec_lo
	s_or_b32 s16, s16, s73
	s_or_b32 exec_lo, exec_lo, s23
	s_and_saveexec_b32 s23, s16
	s_cbranch_execnz .LBB6_9143
	s_branch .LBB6_9144
.LBB6_10247:                            ;   in Loop: Header=BB6_9081 Depth=3
	s_or_saveexec_b32 s23, s23
	v_mov_b32_e32 v17, 0x7f800001
	s_xor_b32 exec_lo, exec_lo, s23
	s_cbranch_execz .LBB6_9158
.LBB6_10248:                            ;   in Loop: Header=BB6_9081 Depth=3
	v_cmp_ne_u16_sdwa s73, v113, v2 src0_sel:BYTE_0 src1_sel:DWORD
	v_mov_b32_e32 v17, 0
	s_andn2_b32 s16, s16, exec_lo
	s_and_b32 s73, s73, exec_lo
	s_or_b32 s16, s16, s73
	s_or_b32 exec_lo, exec_lo, s23
	s_and_saveexec_b32 s23, s16
	s_cbranch_execnz .LBB6_9159
	s_branch .LBB6_9160
.LBB6_10249:                            ;   in Loop: Header=BB6_9081 Depth=3
	s_or_saveexec_b32 s23, s23
	v_mov_b32_e32 v86, 0x7f800001
	s_xor_b32 exec_lo, exec_lo, s23
	s_cbranch_execz .LBB6_9164
.LBB6_10250:                            ;   in Loop: Header=BB6_9081 Depth=3
	v_cmp_ne_u16_sdwa s73, v28, v2 src0_sel:BYTE_0 src1_sel:DWORD
	v_mov_b32_e32 v86, 0
	s_andn2_b32 s16, s16, exec_lo
	s_and_b32 s73, s73, exec_lo
	s_or_b32 s16, s16, s73
	s_or_b32 exec_lo, exec_lo, s23
	s_and_saveexec_b32 s23, s16
	s_cbranch_execnz .LBB6_9165
	s_branch .LBB6_9166
.LBB6_10251:                            ;   in Loop: Header=BB6_9081 Depth=3
	s_or_saveexec_b32 s23, s23
	v_mov_b32_e32 v17, 0x7f800001
	s_xor_b32 exec_lo, exec_lo, s23
	s_cbranch_execz .LBB6_9172
.LBB6_10252:                            ;   in Loop: Header=BB6_9081 Depth=3
	v_cmp_ne_u16_sdwa s73, v113, v2 src0_sel:BYTE_0 src1_sel:DWORD
	v_mov_b32_e32 v17, 0
	s_andn2_b32 s16, s16, exec_lo
	s_and_b32 s73, s73, exec_lo
	s_or_b32 s16, s16, s73
	s_or_b32 exec_lo, exec_lo, s23
	s_and_saveexec_b32 s23, s16
	s_cbranch_execnz .LBB6_9173
	s_branch .LBB6_9174
.LBB6_10253:                            ;   in Loop: Header=BB6_9081 Depth=3
	s_or_saveexec_b32 s23, s23
	v_mov_b32_e32 v86, 0x7f800001
	s_xor_b32 exec_lo, exec_lo, s23
	s_cbranch_execz .LBB6_9178
.LBB6_10254:                            ;   in Loop: Header=BB6_9081 Depth=3
	v_cmp_ne_u16_sdwa s73, v28, v2 src0_sel:BYTE_0 src1_sel:DWORD
	v_mov_b32_e32 v86, 0
	s_andn2_b32 s16, s16, exec_lo
	s_and_b32 s73, s73, exec_lo
	s_or_b32 s16, s16, s73
	s_or_b32 exec_lo, exec_lo, s23
	s_and_saveexec_b32 s23, s16
	s_cbranch_execnz .LBB6_9179
	s_branch .LBB6_9180
.LBB6_10255:                            ;   in Loop: Header=BB6_9081 Depth=3
	s_or_saveexec_b32 s23, s23
	v_mov_b32_e32 v17, 0x7f800001
	s_xor_b32 exec_lo, exec_lo, s23
	s_cbranch_execz .LBB6_9194
.LBB6_10256:                            ;   in Loop: Header=BB6_9081 Depth=3
	v_cmp_ne_u16_sdwa s73, v112, v2 src0_sel:BYTE_0 src1_sel:DWORD
	v_mov_b32_e32 v17, 0
	s_andn2_b32 s16, s16, exec_lo
	s_and_b32 s73, s73, exec_lo
	s_or_b32 s16, s16, s73
	s_or_b32 exec_lo, exec_lo, s23
	s_and_saveexec_b32 s23, s16
	s_cbranch_execnz .LBB6_9195
	s_branch .LBB6_9196
.LBB6_10257:                            ;   in Loop: Header=BB6_9081 Depth=3
	s_or_saveexec_b32 s23, s23
	v_mov_b32_e32 v86, 0x7f800001
	s_xor_b32 exec_lo, exec_lo, s23
	s_cbranch_execz .LBB6_9200
.LBB6_10258:                            ;   in Loop: Header=BB6_9081 Depth=3
	v_cmp_ne_u16_sdwa s73, v32, v2 src0_sel:BYTE_0 src1_sel:DWORD
	v_mov_b32_e32 v86, 0
	s_andn2_b32 s16, s16, exec_lo
	s_and_b32 s73, s73, exec_lo
	s_or_b32 s16, s16, s73
	s_or_b32 exec_lo, exec_lo, s23
	s_and_saveexec_b32 s23, s16
	s_cbranch_execnz .LBB6_9201
	s_branch .LBB6_9202
.LBB6_10259:                            ;   in Loop: Header=BB6_9081 Depth=3
	s_or_saveexec_b32 s23, s23
	v_mov_b32_e32 v17, 0x7f800001
	s_xor_b32 exec_lo, exec_lo, s23
	s_cbranch_execz .LBB6_9208
.LBB6_10260:                            ;   in Loop: Header=BB6_9081 Depth=3
	v_cmp_ne_u16_sdwa s73, v112, v2 src0_sel:BYTE_0 src1_sel:DWORD
	v_mov_b32_e32 v17, 0
	s_andn2_b32 s16, s16, exec_lo
	s_and_b32 s73, s73, exec_lo
	s_or_b32 s16, s16, s73
	s_or_b32 exec_lo, exec_lo, s23
	s_and_saveexec_b32 s23, s16
	s_cbranch_execnz .LBB6_9209
	s_branch .LBB6_9210
.LBB6_10261:                            ;   in Loop: Header=BB6_9081 Depth=3
	s_or_saveexec_b32 s23, s23
	v_mov_b32_e32 v86, 0x7f800001
	s_xor_b32 exec_lo, exec_lo, s23
	s_cbranch_execz .LBB6_9214
.LBB6_10262:                            ;   in Loop: Header=BB6_9081 Depth=3
	v_cmp_ne_u16_sdwa s73, v32, v2 src0_sel:BYTE_0 src1_sel:DWORD
	v_mov_b32_e32 v86, 0
	s_andn2_b32 s16, s16, exec_lo
	s_and_b32 s73, s73, exec_lo
	s_or_b32 s16, s16, s73
	s_or_b32 exec_lo, exec_lo, s23
	s_and_saveexec_b32 s23, s16
	s_cbranch_execnz .LBB6_9215
	s_branch .LBB6_9216
.LBB6_10263:                            ;   in Loop: Header=BB6_9081 Depth=3
	s_or_saveexec_b32 s23, s23
	v_mov_b32_e32 v17, 0x7f800001
	s_xor_b32 exec_lo, exec_lo, s23
	s_cbranch_execz .LBB6_9230
.LBB6_10264:                            ;   in Loop: Header=BB6_9081 Depth=3
	v_cmp_ne_u16_sdwa s73, v88, v2 src0_sel:BYTE_0 src1_sel:DWORD
	v_mov_b32_e32 v17, 0
	s_andn2_b32 s16, s16, exec_lo
	s_and_b32 s73, s73, exec_lo
	s_or_b32 s16, s16, s73
	s_or_b32 exec_lo, exec_lo, s23
	s_and_saveexec_b32 s23, s16
	s_cbranch_execnz .LBB6_9231
	s_branch .LBB6_9232
.LBB6_10265:                            ;   in Loop: Header=BB6_9081 Depth=3
	s_or_saveexec_b32 s23, s23
	v_mov_b32_e32 v86, 0x7f800001
	s_xor_b32 exec_lo, exec_lo, s23
	s_cbranch_execz .LBB6_9236
.LBB6_10266:                            ;   in Loop: Header=BB6_9081 Depth=3
	v_cmp_ne_u16_sdwa s73, v35, v2 src0_sel:BYTE_0 src1_sel:DWORD
	v_mov_b32_e32 v86, 0
	s_andn2_b32 s16, s16, exec_lo
	s_and_b32 s73, s73, exec_lo
	s_or_b32 s16, s16, s73
	s_or_b32 exec_lo, exec_lo, s23
	s_and_saveexec_b32 s23, s16
	s_cbranch_execnz .LBB6_9237
	s_branch .LBB6_9238
.LBB6_10267:                            ;   in Loop: Header=BB6_9081 Depth=3
	s_or_saveexec_b32 s23, s23
	v_mov_b32_e32 v17, 0x7f800001
	s_xor_b32 exec_lo, exec_lo, s23
	s_cbranch_execz .LBB6_9244
.LBB6_10268:                            ;   in Loop: Header=BB6_9081 Depth=3
	v_cmp_ne_u16_sdwa s73, v88, v2 src0_sel:BYTE_0 src1_sel:DWORD
	v_mov_b32_e32 v17, 0
	s_andn2_b32 s16, s16, exec_lo
	s_and_b32 s73, s73, exec_lo
	s_or_b32 s16, s16, s73
	s_or_b32 exec_lo, exec_lo, s23
	s_and_saveexec_b32 s23, s16
	s_cbranch_execnz .LBB6_9245
	s_branch .LBB6_9246
.LBB6_10269:                            ;   in Loop: Header=BB6_9081 Depth=3
	s_or_saveexec_b32 s23, s23
	v_mov_b32_e32 v86, 0x7f800001
	s_xor_b32 exec_lo, exec_lo, s23
	s_cbranch_execz .LBB6_9250
.LBB6_10270:                            ;   in Loop: Header=BB6_9081 Depth=3
	v_cmp_ne_u16_sdwa s73, v35, v2 src0_sel:BYTE_0 src1_sel:DWORD
	v_mov_b32_e32 v86, 0
	s_andn2_b32 s16, s16, exec_lo
	s_and_b32 s73, s73, exec_lo
	s_or_b32 s16, s16, s73
	s_or_b32 exec_lo, exec_lo, s23
	s_and_saveexec_b32 s23, s16
	s_cbranch_execnz .LBB6_9251
	s_branch .LBB6_9252
.LBB6_10271:                            ;   in Loop: Header=BB6_9081 Depth=3
	s_or_saveexec_b32 s23, s23
	v_mov_b32_e32 v17, 0x7f800001
	s_xor_b32 exec_lo, exec_lo, s23
	s_cbranch_execz .LBB6_9266
.LBB6_10272:                            ;   in Loop: Header=BB6_9081 Depth=3
	v_cmp_ne_u16_sdwa s73, v126, v2 src0_sel:BYTE_0 src1_sel:DWORD
	v_mov_b32_e32 v17, 0
	s_andn2_b32 s16, s16, exec_lo
	s_and_b32 s73, s73, exec_lo
	s_or_b32 s16, s16, s73
	s_or_b32 exec_lo, exec_lo, s23
	s_and_saveexec_b32 s23, s16
	s_cbranch_execnz .LBB6_9267
	s_branch .LBB6_9268
.LBB6_10273:                            ;   in Loop: Header=BB6_9081 Depth=3
	s_or_saveexec_b32 s23, s23
	v_mov_b32_e32 v86, 0x7f800001
	s_xor_b32 exec_lo, exec_lo, s23
	s_cbranch_execz .LBB6_9272
.LBB6_10274:                            ;   in Loop: Header=BB6_9081 Depth=3
	v_cmp_ne_u16_sdwa s73, v38, v2 src0_sel:BYTE_0 src1_sel:DWORD
	v_mov_b32_e32 v86, 0
	s_andn2_b32 s16, s16, exec_lo
	s_and_b32 s73, s73, exec_lo
	s_or_b32 s16, s16, s73
	s_or_b32 exec_lo, exec_lo, s23
	s_and_saveexec_b32 s23, s16
	s_cbranch_execnz .LBB6_9273
	s_branch .LBB6_9274
.LBB6_10275:                            ;   in Loop: Header=BB6_9081 Depth=3
	s_or_saveexec_b32 s23, s23
	v_mov_b32_e32 v17, 0x7f800001
	s_xor_b32 exec_lo, exec_lo, s23
	s_cbranch_execz .LBB6_9280
.LBB6_10276:                            ;   in Loop: Header=BB6_9081 Depth=3
	v_cmp_ne_u16_sdwa s73, v126, v2 src0_sel:BYTE_0 src1_sel:DWORD
	v_mov_b32_e32 v17, 0
	s_andn2_b32 s16, s16, exec_lo
	s_and_b32 s73, s73, exec_lo
	s_or_b32 s16, s16, s73
	s_or_b32 exec_lo, exec_lo, s23
	s_and_saveexec_b32 s23, s16
	s_cbranch_execnz .LBB6_9281
	s_branch .LBB6_9282
.LBB6_10277:                            ;   in Loop: Header=BB6_9081 Depth=3
	s_or_saveexec_b32 s23, s23
	v_mov_b32_e32 v86, 0x7f800001
	s_xor_b32 exec_lo, exec_lo, s23
	s_cbranch_execz .LBB6_9286
.LBB6_10278:                            ;   in Loop: Header=BB6_9081 Depth=3
	v_cmp_ne_u16_sdwa s73, v38, v2 src0_sel:BYTE_0 src1_sel:DWORD
	v_mov_b32_e32 v86, 0
	s_andn2_b32 s16, s16, exec_lo
	s_and_b32 s73, s73, exec_lo
	s_or_b32 s16, s16, s73
	s_or_b32 exec_lo, exec_lo, s23
	s_and_saveexec_b32 s23, s16
	s_cbranch_execnz .LBB6_9287
	s_branch .LBB6_9288
.LBB6_10279:                            ;   in Loop: Header=BB6_9081 Depth=3
	s_or_saveexec_b32 s23, s23
	v_mov_b32_e32 v17, 0x7f800001
	s_xor_b32 exec_lo, exec_lo, s23
	s_cbranch_execz .LBB6_9302
.LBB6_10280:                            ;   in Loop: Header=BB6_9081 Depth=3
	v_cmp_ne_u16_sdwa s73, v125, v2 src0_sel:BYTE_0 src1_sel:DWORD
	v_mov_b32_e32 v17, 0
	s_andn2_b32 s16, s16, exec_lo
	s_and_b32 s73, s73, exec_lo
	s_or_b32 s16, s16, s73
	s_or_b32 exec_lo, exec_lo, s23
	s_and_saveexec_b32 s23, s16
	s_cbranch_execnz .LBB6_9303
	s_branch .LBB6_9304
.LBB6_10281:                            ;   in Loop: Header=BB6_9081 Depth=3
	s_or_saveexec_b32 s23, s23
	v_mov_b32_e32 v86, 0x7f800001
	s_xor_b32 exec_lo, exec_lo, s23
	s_cbranch_execz .LBB6_9308
.LBB6_10282:                            ;   in Loop: Header=BB6_9081 Depth=3
	v_cmp_ne_u16_sdwa s73, v49, v2 src0_sel:BYTE_0 src1_sel:DWORD
	v_mov_b32_e32 v86, 0
	s_andn2_b32 s16, s16, exec_lo
	s_and_b32 s73, s73, exec_lo
	s_or_b32 s16, s16, s73
	s_or_b32 exec_lo, exec_lo, s23
	s_and_saveexec_b32 s23, s16
	s_cbranch_execnz .LBB6_9309
	s_branch .LBB6_9310
.LBB6_10283:                            ;   in Loop: Header=BB6_9081 Depth=3
	s_or_saveexec_b32 s23, s23
	v_mov_b32_e32 v17, 0x7f800001
	s_xor_b32 exec_lo, exec_lo, s23
	s_cbranch_execz .LBB6_9316
.LBB6_10284:                            ;   in Loop: Header=BB6_9081 Depth=3
	v_cmp_ne_u16_sdwa s73, v125, v2 src0_sel:BYTE_0 src1_sel:DWORD
	v_mov_b32_e32 v17, 0
	s_andn2_b32 s16, s16, exec_lo
	s_and_b32 s73, s73, exec_lo
	s_or_b32 s16, s16, s73
	s_or_b32 exec_lo, exec_lo, s23
	s_and_saveexec_b32 s23, s16
	s_cbranch_execnz .LBB6_9317
	s_branch .LBB6_9318
.LBB6_10285:                            ;   in Loop: Header=BB6_9081 Depth=3
	s_or_saveexec_b32 s23, s23
	v_mov_b32_e32 v86, 0x7f800001
	s_xor_b32 exec_lo, exec_lo, s23
	s_cbranch_execz .LBB6_9322
.LBB6_10286:                            ;   in Loop: Header=BB6_9081 Depth=3
	v_cmp_ne_u16_sdwa s73, v49, v2 src0_sel:BYTE_0 src1_sel:DWORD
	v_mov_b32_e32 v86, 0
	s_andn2_b32 s16, s16, exec_lo
	s_and_b32 s73, s73, exec_lo
	s_or_b32 s16, s16, s73
	s_or_b32 exec_lo, exec_lo, s23
	s_and_saveexec_b32 s23, s16
	s_cbranch_execnz .LBB6_9323
	s_branch .LBB6_9324
.LBB6_10287:                            ;   in Loop: Header=BB6_9081 Depth=3
	s_or_saveexec_b32 s23, s23
	v_mov_b32_e32 v17, 0x7f800001
	s_xor_b32 exec_lo, exec_lo, s23
	s_cbranch_execz .LBB6_9338
.LBB6_10288:                            ;   in Loop: Header=BB6_9081 Depth=3
	v_cmp_ne_u16_sdwa s73, v124, v2 src0_sel:BYTE_0 src1_sel:DWORD
	v_mov_b32_e32 v17, 0
	s_andn2_b32 s16, s16, exec_lo
	s_and_b32 s73, s73, exec_lo
	s_or_b32 s16, s16, s73
	s_or_b32 exec_lo, exec_lo, s23
	s_and_saveexec_b32 s23, s16
	s_cbranch_execnz .LBB6_9339
	s_branch .LBB6_9340
.LBB6_10289:                            ;   in Loop: Header=BB6_9081 Depth=3
	s_or_saveexec_b32 s23, s23
	v_mov_b32_e32 v86, 0x7f800001
	s_xor_b32 exec_lo, exec_lo, s23
	s_cbranch_execz .LBB6_9344
.LBB6_10290:                            ;   in Loop: Header=BB6_9081 Depth=3
	v_cmp_ne_u16_sdwa s73, v52, v2 src0_sel:BYTE_0 src1_sel:DWORD
	v_mov_b32_e32 v86, 0
	s_andn2_b32 s16, s16, exec_lo
	s_and_b32 s73, s73, exec_lo
	s_or_b32 s16, s16, s73
	s_or_b32 exec_lo, exec_lo, s23
	s_and_saveexec_b32 s23, s16
	s_cbranch_execnz .LBB6_9345
	s_branch .LBB6_9346
.LBB6_10291:                            ;   in Loop: Header=BB6_9081 Depth=3
	s_or_saveexec_b32 s23, s23
	v_mov_b32_e32 v17, 0x7f800001
	s_xor_b32 exec_lo, exec_lo, s23
	s_cbranch_execz .LBB6_9352
.LBB6_10292:                            ;   in Loop: Header=BB6_9081 Depth=3
	v_cmp_ne_u16_sdwa s73, v124, v2 src0_sel:BYTE_0 src1_sel:DWORD
	v_mov_b32_e32 v17, 0
	s_andn2_b32 s16, s16, exec_lo
	s_and_b32 s73, s73, exec_lo
	s_or_b32 s16, s16, s73
	s_or_b32 exec_lo, exec_lo, s23
	s_and_saveexec_b32 s23, s16
	s_cbranch_execnz .LBB6_9353
	s_branch .LBB6_9354
.LBB6_10293:                            ;   in Loop: Header=BB6_9081 Depth=3
	s_or_saveexec_b32 s23, s23
	v_mov_b32_e32 v86, 0x7f800001
	s_xor_b32 exec_lo, exec_lo, s23
	s_cbranch_execz .LBB6_9358
.LBB6_10294:                            ;   in Loop: Header=BB6_9081 Depth=3
	v_cmp_ne_u16_sdwa s73, v52, v2 src0_sel:BYTE_0 src1_sel:DWORD
	v_mov_b32_e32 v86, 0
	s_andn2_b32 s16, s16, exec_lo
	s_and_b32 s73, s73, exec_lo
	s_or_b32 s16, s16, s73
	s_or_b32 exec_lo, exec_lo, s23
	s_and_saveexec_b32 s23, s16
	s_cbranch_execnz .LBB6_9359
	s_branch .LBB6_9360
.LBB6_10295:                            ;   in Loop: Header=BB6_9081 Depth=3
	s_or_saveexec_b32 s23, s23
	v_mov_b32_e32 v17, 0x7f800001
	s_xor_b32 exec_lo, exec_lo, s23
	s_cbranch_execz .LBB6_9374
.LBB6_10296:                            ;   in Loop: Header=BB6_9081 Depth=3
	v_cmp_ne_u16_sdwa s73, v99, v2 src0_sel:BYTE_0 src1_sel:DWORD
	v_mov_b32_e32 v17, 0
	s_andn2_b32 s16, s16, exec_lo
	s_and_b32 s73, s73, exec_lo
	s_or_b32 s16, s16, s73
	s_or_b32 exec_lo, exec_lo, s23
	s_and_saveexec_b32 s23, s16
	s_cbranch_execnz .LBB6_9375
	s_branch .LBB6_9376
.LBB6_10297:                            ;   in Loop: Header=BB6_9081 Depth=3
	s_or_saveexec_b32 s23, s23
	v_mov_b32_e32 v86, 0x7f800001
	s_xor_b32 exec_lo, exec_lo, s23
	s_cbranch_execz .LBB6_9380
.LBB6_10298:                            ;   in Loop: Header=BB6_9081 Depth=3
	v_cmp_ne_u16_sdwa s73, v54, v2 src0_sel:BYTE_0 src1_sel:DWORD
	v_mov_b32_e32 v86, 0
	s_andn2_b32 s16, s16, exec_lo
	s_and_b32 s73, s73, exec_lo
	s_or_b32 s16, s16, s73
	s_or_b32 exec_lo, exec_lo, s23
	s_and_saveexec_b32 s23, s16
	s_cbranch_execnz .LBB6_9381
	s_branch .LBB6_9382
.LBB6_10299:                            ;   in Loop: Header=BB6_9081 Depth=3
	s_or_saveexec_b32 s23, s23
	v_mov_b32_e32 v17, 0x7f800001
	s_xor_b32 exec_lo, exec_lo, s23
	s_cbranch_execz .LBB6_9388
.LBB6_10300:                            ;   in Loop: Header=BB6_9081 Depth=3
	v_cmp_ne_u16_sdwa s73, v99, v2 src0_sel:BYTE_0 src1_sel:DWORD
	v_mov_b32_e32 v17, 0
	s_andn2_b32 s16, s16, exec_lo
	s_and_b32 s73, s73, exec_lo
	s_or_b32 s16, s16, s73
	s_or_b32 exec_lo, exec_lo, s23
	s_and_saveexec_b32 s23, s16
	s_cbranch_execnz .LBB6_9389
	s_branch .LBB6_9390
.LBB6_10301:                            ;   in Loop: Header=BB6_9081 Depth=3
	s_or_saveexec_b32 s23, s23
	v_mov_b32_e32 v86, 0x7f800001
	s_xor_b32 exec_lo, exec_lo, s23
	s_cbranch_execz .LBB6_9394
.LBB6_10302:                            ;   in Loop: Header=BB6_9081 Depth=3
	v_cmp_ne_u16_sdwa s73, v54, v2 src0_sel:BYTE_0 src1_sel:DWORD
	v_mov_b32_e32 v86, 0
	s_andn2_b32 s16, s16, exec_lo
	s_and_b32 s73, s73, exec_lo
	s_or_b32 s16, s16, s73
	s_or_b32 exec_lo, exec_lo, s23
	s_and_saveexec_b32 s23, s16
	s_cbranch_execnz .LBB6_9395
	s_branch .LBB6_9396
.LBB6_10303:                            ;   in Loop: Header=BB6_9081 Depth=3
	s_or_saveexec_b32 s23, s23
	v_mov_b32_e32 v17, 0x7f800001
	s_xor_b32 exec_lo, exec_lo, s23
	s_cbranch_execz .LBB6_9410
.LBB6_10304:                            ;   in Loop: Header=BB6_9081 Depth=3
	v_cmp_ne_u16_sdwa s73, v98, v2 src0_sel:BYTE_0 src1_sel:DWORD
	v_mov_b32_e32 v17, 0
	s_andn2_b32 s16, s16, exec_lo
	s_and_b32 s73, s73, exec_lo
	s_or_b32 s16, s16, s73
	s_or_b32 exec_lo, exec_lo, s23
	s_and_saveexec_b32 s23, s16
	s_cbranch_execnz .LBB6_9411
	s_branch .LBB6_9412
.LBB6_10305:                            ;   in Loop: Header=BB6_9081 Depth=3
	s_or_saveexec_b32 s23, s23
	v_mov_b32_e32 v86, 0x7f800001
	s_xor_b32 exec_lo, exec_lo, s23
	s_cbranch_execz .LBB6_9416
.LBB6_10306:                            ;   in Loop: Header=BB6_9081 Depth=3
	v_cmp_ne_u16_sdwa s73, v1, v2 src0_sel:BYTE_0 src1_sel:DWORD
	v_mov_b32_e32 v86, 0
	s_andn2_b32 s16, s16, exec_lo
	s_and_b32 s73, s73, exec_lo
	s_or_b32 s16, s16, s73
	s_or_b32 exec_lo, exec_lo, s23
	s_and_saveexec_b32 s23, s16
	s_cbranch_execnz .LBB6_9417
	s_branch .LBB6_9418
.LBB6_10307:                            ;   in Loop: Header=BB6_9081 Depth=3
	s_or_saveexec_b32 s23, s23
	v_mov_b32_e32 v17, 0x7f800001
	s_xor_b32 exec_lo, exec_lo, s23
	s_cbranch_execz .LBB6_9424
.LBB6_10308:                            ;   in Loop: Header=BB6_9081 Depth=3
	v_cmp_ne_u16_sdwa s73, v98, v2 src0_sel:BYTE_0 src1_sel:DWORD
	v_mov_b32_e32 v17, 0
	s_andn2_b32 s16, s16, exec_lo
	s_and_b32 s73, s73, exec_lo
	s_or_b32 s16, s16, s73
	s_or_b32 exec_lo, exec_lo, s23
	s_and_saveexec_b32 s23, s16
	s_cbranch_execnz .LBB6_9425
	s_branch .LBB6_9426
.LBB6_10309:                            ;   in Loop: Header=BB6_9081 Depth=3
	s_or_saveexec_b32 s23, s23
	v_mov_b32_e32 v86, 0x7f800001
	s_xor_b32 exec_lo, exec_lo, s23
	s_cbranch_execz .LBB6_9430
.LBB6_10310:                            ;   in Loop: Header=BB6_9081 Depth=3
	v_cmp_ne_u16_sdwa s73, v1, v2 src0_sel:BYTE_0 src1_sel:DWORD
	v_mov_b32_e32 v86, 0
	s_andn2_b32 s16, s16, exec_lo
	s_and_b32 s73, s73, exec_lo
	s_or_b32 s16, s16, s73
	s_or_b32 exec_lo, exec_lo, s23
	s_and_saveexec_b32 s23, s16
	s_cbranch_execnz .LBB6_9431
	s_branch .LBB6_9432
.LBB6_10311:                            ;   in Loop: Header=BB6_9081 Depth=3
	s_or_saveexec_b32 s23, s23
	v_mov_b32_e32 v17, 0x7f800001
	s_xor_b32 exec_lo, exec_lo, s23
	s_cbranch_execz .LBB6_9446
.LBB6_10312:                            ;   in Loop: Header=BB6_9081 Depth=3
	v_cmp_ne_u16_sdwa s73, v109, v2 src0_sel:BYTE_0 src1_sel:DWORD
	v_mov_b32_e32 v17, 0
	s_andn2_b32 s16, s16, exec_lo
	s_and_b32 s73, s73, exec_lo
	s_or_b32 s16, s16, s73
	s_or_b32 exec_lo, exec_lo, s23
	s_and_saveexec_b32 s23, s16
	s_cbranch_execnz .LBB6_9447
	s_branch .LBB6_9448
.LBB6_10313:                            ;   in Loop: Header=BB6_9081 Depth=3
	s_or_saveexec_b32 s23, s23
	v_mov_b32_e32 v86, 0x7f800001
	s_xor_b32 exec_lo, exec_lo, s23
	s_cbranch_execz .LBB6_9452
.LBB6_10314:                            ;   in Loop: Header=BB6_9081 Depth=3
	v_cmp_ne_u16_sdwa s73, v85, v2 src0_sel:BYTE_0 src1_sel:DWORD
	v_mov_b32_e32 v86, 0
	s_andn2_b32 s16, s16, exec_lo
	s_and_b32 s73, s73, exec_lo
	s_or_b32 s16, s16, s73
	s_or_b32 exec_lo, exec_lo, s23
	s_and_saveexec_b32 s23, s16
	s_cbranch_execnz .LBB6_9453
	s_branch .LBB6_9454
.LBB6_10315:                            ;   in Loop: Header=BB6_9081 Depth=3
	s_or_saveexec_b32 s23, s23
	v_mov_b32_e32 v17, 0x7f800001
	s_xor_b32 exec_lo, exec_lo, s23
	s_cbranch_execz .LBB6_9460
.LBB6_10316:                            ;   in Loop: Header=BB6_9081 Depth=3
	v_cmp_ne_u16_sdwa s73, v109, v2 src0_sel:BYTE_0 src1_sel:DWORD
	v_mov_b32_e32 v17, 0
	s_andn2_b32 s16, s16, exec_lo
	s_and_b32 s73, s73, exec_lo
	s_or_b32 s16, s16, s73
	s_or_b32 exec_lo, exec_lo, s23
	s_and_saveexec_b32 s23, s16
	s_cbranch_execnz .LBB6_9461
	s_branch .LBB6_9462
.LBB6_10317:                            ;   in Loop: Header=BB6_9081 Depth=3
	s_or_saveexec_b32 s23, s23
	v_mov_b32_e32 v86, 0x7f800001
	s_xor_b32 exec_lo, exec_lo, s23
	s_cbranch_execz .LBB6_9466
.LBB6_10318:                            ;   in Loop: Header=BB6_9081 Depth=3
	v_cmp_ne_u16_sdwa s73, v85, v2 src0_sel:BYTE_0 src1_sel:DWORD
	v_mov_b32_e32 v86, 0
	s_andn2_b32 s16, s16, exec_lo
	s_and_b32 s73, s73, exec_lo
	s_or_b32 s16, s16, s73
	s_or_b32 exec_lo, exec_lo, s23
	s_and_saveexec_b32 s23, s16
	s_cbranch_execnz .LBB6_9467
	s_branch .LBB6_9468
.LBB6_10319:                            ;   in Loop: Header=BB6_9081 Depth=3
	s_or_saveexec_b32 s23, s23
	v_mov_b32_e32 v17, 0x7f800001
	s_xor_b32 exec_lo, exec_lo, s23
	s_cbranch_execz .LBB6_9482
.LBB6_10320:                            ;   in Loop: Header=BB6_9081 Depth=3
	v_cmp_ne_u16_sdwa s73, v123, v2 src0_sel:BYTE_0 src1_sel:DWORD
	v_mov_b32_e32 v17, 0
	s_andn2_b32 s16, s16, exec_lo
	s_and_b32 s73, s73, exec_lo
	s_or_b32 s16, s16, s73
	s_or_b32 exec_lo, exec_lo, s23
	s_and_saveexec_b32 s23, s16
	s_cbranch_execnz .LBB6_9483
	s_branch .LBB6_9484
.LBB6_10321:                            ;   in Loop: Header=BB6_9081 Depth=3
	s_or_saveexec_b32 s23, s23
	v_mov_b32_e32 v86, 0x7f800001
	s_xor_b32 exec_lo, exec_lo, s23
	s_cbranch_execz .LBB6_9488
.LBB6_10322:                            ;   in Loop: Header=BB6_9081 Depth=3
	v_cmp_ne_u16_sdwa s73, v116, v2 src0_sel:BYTE_0 src1_sel:DWORD
	v_mov_b32_e32 v86, 0
	s_andn2_b32 s16, s16, exec_lo
	s_and_b32 s73, s73, exec_lo
	s_or_b32 s16, s16, s73
	s_or_b32 exec_lo, exec_lo, s23
	s_and_saveexec_b32 s23, s16
	s_cbranch_execnz .LBB6_9489
	s_branch .LBB6_9490
.LBB6_10323:                            ;   in Loop: Header=BB6_9081 Depth=3
	s_or_saveexec_b32 s23, s23
	v_mov_b32_e32 v17, 0x7f800001
	s_xor_b32 exec_lo, exec_lo, s23
	s_cbranch_execz .LBB6_9496
.LBB6_10324:                            ;   in Loop: Header=BB6_9081 Depth=3
	v_cmp_ne_u16_sdwa s73, v123, v2 src0_sel:BYTE_0 src1_sel:DWORD
	v_mov_b32_e32 v17, 0
	s_andn2_b32 s16, s16, exec_lo
	s_and_b32 s73, s73, exec_lo
	s_or_b32 s16, s16, s73
	s_or_b32 exec_lo, exec_lo, s23
	s_and_saveexec_b32 s23, s16
	s_cbranch_execnz .LBB6_9497
	s_branch .LBB6_9498
.LBB6_10325:                            ;   in Loop: Header=BB6_9081 Depth=3
	s_or_saveexec_b32 s23, s23
	v_mov_b32_e32 v86, 0x7f800001
	s_xor_b32 exec_lo, exec_lo, s23
	s_cbranch_execz .LBB6_9502
.LBB6_10326:                            ;   in Loop: Header=BB6_9081 Depth=3
	v_cmp_ne_u16_sdwa s73, v116, v2 src0_sel:BYTE_0 src1_sel:DWORD
	v_mov_b32_e32 v86, 0
	s_andn2_b32 s16, s16, exec_lo
	s_and_b32 s73, s73, exec_lo
	s_or_b32 s16, s16, s73
	s_or_b32 exec_lo, exec_lo, s23
	s_and_saveexec_b32 s23, s16
	s_cbranch_execnz .LBB6_9503
	s_branch .LBB6_9504
.LBB6_10327:                            ;   in Loop: Header=BB6_9081 Depth=3
	s_or_saveexec_b32 s23, s23
	v_mov_b32_e32 v17, 0x7f800001
	s_xor_b32 exec_lo, exec_lo, s23
	s_cbranch_execz .LBB6_9518
.LBB6_10328:                            ;   in Loop: Header=BB6_9081 Depth=3
	v_cmp_ne_u16_sdwa s73, v122, v2 src0_sel:BYTE_0 src1_sel:DWORD
	v_mov_b32_e32 v17, 0
	s_andn2_b32 s16, s16, exec_lo
	s_and_b32 s73, s73, exec_lo
	s_or_b32 s16, s16, s73
	s_or_b32 exec_lo, exec_lo, s23
	s_and_saveexec_b32 s23, s16
	s_cbranch_execnz .LBB6_9519
	s_branch .LBB6_9520
.LBB6_10329:                            ;   in Loop: Header=BB6_9081 Depth=3
	s_or_saveexec_b32 s23, s23
	v_mov_b32_e32 v86, 0x7f800001
	s_xor_b32 exec_lo, exec_lo, s23
	s_cbranch_execz .LBB6_9524
.LBB6_10330:                            ;   in Loop: Header=BB6_9081 Depth=3
	v_cmp_ne_u16_sdwa s73, v119, v2 src0_sel:BYTE_0 src1_sel:DWORD
	v_mov_b32_e32 v86, 0
	s_andn2_b32 s16, s16, exec_lo
	s_and_b32 s73, s73, exec_lo
	s_or_b32 s16, s16, s73
	s_or_b32 exec_lo, exec_lo, s23
	s_and_saveexec_b32 s23, s16
	s_cbranch_execnz .LBB6_9525
	s_branch .LBB6_9526
.LBB6_10331:                            ;   in Loop: Header=BB6_9081 Depth=3
	s_or_saveexec_b32 s23, s23
	v_mov_b32_e32 v17, 0x7f800001
	s_xor_b32 exec_lo, exec_lo, s23
	s_cbranch_execz .LBB6_9532
.LBB6_10332:                            ;   in Loop: Header=BB6_9081 Depth=3
	v_cmp_ne_u16_sdwa s73, v122, v2 src0_sel:BYTE_0 src1_sel:DWORD
	v_mov_b32_e32 v17, 0
	s_andn2_b32 s16, s16, exec_lo
	s_and_b32 s73, s73, exec_lo
	s_or_b32 s16, s16, s73
	s_or_b32 exec_lo, exec_lo, s23
	s_and_saveexec_b32 s23, s16
	s_cbranch_execnz .LBB6_9533
	s_branch .LBB6_9534
.LBB6_10333:                            ;   in Loop: Header=BB6_9081 Depth=3
	s_or_saveexec_b32 s23, s23
	v_mov_b32_e32 v86, 0x7f800001
	s_xor_b32 exec_lo, exec_lo, s23
	s_cbranch_execz .LBB6_9538
.LBB6_10334:                            ;   in Loop: Header=BB6_9081 Depth=3
	v_cmp_ne_u16_sdwa s73, v119, v2 src0_sel:BYTE_0 src1_sel:DWORD
	v_mov_b32_e32 v86, 0
	s_andn2_b32 s16, s16, exec_lo
	s_and_b32 s73, s73, exec_lo
	s_or_b32 s16, s16, s73
	s_or_b32 exec_lo, exec_lo, s23
	s_and_saveexec_b32 s23, s16
	s_cbranch_execnz .LBB6_9539
	s_branch .LBB6_9540
.LBB6_10335:                            ;   in Loop: Header=BB6_9081 Depth=3
	s_or_saveexec_b32 s23, s23
	v_mov_b32_e32 v17, 0x7f800001
	s_xor_b32 exec_lo, exec_lo, s23
	s_cbranch_execz .LBB6_9554
.LBB6_10336:                            ;   in Loop: Header=BB6_9081 Depth=3
	v_cmp_ne_u16_sdwa s73, v57, v2 src0_sel:BYTE_0 src1_sel:DWORD
	v_mov_b32_e32 v17, 0
	s_andn2_b32 s16, s16, exec_lo
	s_and_b32 s73, s73, exec_lo
	s_or_b32 s16, s16, s73
	s_or_b32 exec_lo, exec_lo, s23
	s_and_saveexec_b32 s23, s16
	s_cbranch_execnz .LBB6_9555
	s_branch .LBB6_9556
.LBB6_10337:                            ;   in Loop: Header=BB6_9081 Depth=3
	s_or_saveexec_b32 s23, s23
	v_mov_b32_e32 v86, 0x7f800001
	s_xor_b32 exec_lo, exec_lo, s23
	s_cbranch_execz .LBB6_9560
.LBB6_10338:                            ;   in Loop: Header=BB6_9081 Depth=3
	v_cmp_ne_u16_sdwa s73, v42, v2 src0_sel:BYTE_0 src1_sel:DWORD
	v_mov_b32_e32 v86, 0
	s_andn2_b32 s16, s16, exec_lo
	s_and_b32 s73, s73, exec_lo
	s_or_b32 s16, s16, s73
	s_or_b32 exec_lo, exec_lo, s23
	s_and_saveexec_b32 s23, s16
	s_cbranch_execnz .LBB6_9561
	s_branch .LBB6_9562
.LBB6_10339:                            ;   in Loop: Header=BB6_9081 Depth=3
	s_or_saveexec_b32 s23, s23
	v_mov_b32_e32 v17, 0x7f800001
	s_xor_b32 exec_lo, exec_lo, s23
	s_cbranch_execz .LBB6_9568
.LBB6_10340:                            ;   in Loop: Header=BB6_9081 Depth=3
	v_cmp_ne_u16_sdwa s73, v57, v2 src0_sel:BYTE_0 src1_sel:DWORD
	v_mov_b32_e32 v17, 0
	s_andn2_b32 s16, s16, exec_lo
	s_and_b32 s73, s73, exec_lo
	s_or_b32 s16, s16, s73
	s_or_b32 exec_lo, exec_lo, s23
	s_and_saveexec_b32 s23, s16
	s_cbranch_execnz .LBB6_9569
	s_branch .LBB6_9570
.LBB6_10341:                            ;   in Loop: Header=BB6_9081 Depth=3
	s_or_saveexec_b32 s23, s23
	v_mov_b32_e32 v86, 0x7f800001
	s_xor_b32 exec_lo, exec_lo, s23
	s_cbranch_execz .LBB6_9574
.LBB6_10342:                            ;   in Loop: Header=BB6_9081 Depth=3
	v_cmp_ne_u16_sdwa s73, v42, v2 src0_sel:BYTE_0 src1_sel:DWORD
	v_mov_b32_e32 v86, 0
	s_andn2_b32 s16, s16, exec_lo
	s_and_b32 s73, s73, exec_lo
	s_or_b32 s16, s16, s73
	s_or_b32 exec_lo, exec_lo, s23
	s_and_saveexec_b32 s23, s16
	s_cbranch_execnz .LBB6_9575
	s_branch .LBB6_9576
.LBB6_10343:                            ;   in Loop: Header=BB6_9081 Depth=3
	s_or_saveexec_b32 s23, s23
	v_mov_b32_e32 v17, 0x7f800001
	s_xor_b32 exec_lo, exec_lo, s23
	s_cbranch_execz .LBB6_9590
.LBB6_10344:                            ;   in Loop: Header=BB6_9081 Depth=3
	v_cmp_ne_u16_sdwa s73, v108, v2 src0_sel:BYTE_0 src1_sel:DWORD
	v_mov_b32_e32 v17, 0
	s_andn2_b32 s16, s16, exec_lo
	s_and_b32 s73, s73, exec_lo
	s_or_b32 s16, s16, s73
	s_or_b32 exec_lo, exec_lo, s23
	s_and_saveexec_b32 s23, s16
	s_cbranch_execnz .LBB6_9591
	s_branch .LBB6_9592
.LBB6_10345:                            ;   in Loop: Header=BB6_9081 Depth=3
	s_or_saveexec_b32 s23, s23
	v_mov_b32_e32 v86, 0x7f800001
	s_xor_b32 exec_lo, exec_lo, s23
	s_cbranch_execz .LBB6_9596
.LBB6_10346:                            ;   in Loop: Header=BB6_9081 Depth=3
	v_cmp_ne_u16_sdwa s73, v107, v2 src0_sel:BYTE_0 src1_sel:DWORD
	v_mov_b32_e32 v86, 0
	s_andn2_b32 s16, s16, exec_lo
	s_and_b32 s73, s73, exec_lo
	s_or_b32 s16, s16, s73
	s_or_b32 exec_lo, exec_lo, s23
	s_and_saveexec_b32 s23, s16
	s_cbranch_execnz .LBB6_9597
	s_branch .LBB6_9598
.LBB6_10347:                            ;   in Loop: Header=BB6_9081 Depth=3
	s_or_saveexec_b32 s23, s23
	v_mov_b32_e32 v17, 0x7f800001
	s_xor_b32 exec_lo, exec_lo, s23
	s_cbranch_execz .LBB6_9604
.LBB6_10348:                            ;   in Loop: Header=BB6_9081 Depth=3
	v_cmp_ne_u16_sdwa s73, v108, v2 src0_sel:BYTE_0 src1_sel:DWORD
	v_mov_b32_e32 v17, 0
	s_andn2_b32 s16, s16, exec_lo
	s_and_b32 s73, s73, exec_lo
	s_or_b32 s16, s16, s73
	s_or_b32 exec_lo, exec_lo, s23
	s_and_saveexec_b32 s23, s16
	s_cbranch_execnz .LBB6_9605
	s_branch .LBB6_9606
.LBB6_10349:                            ;   in Loop: Header=BB6_9081 Depth=3
	s_or_saveexec_b32 s23, s23
	v_mov_b32_e32 v86, 0x7f800001
	s_xor_b32 exec_lo, exec_lo, s23
	s_cbranch_execz .LBB6_9610
.LBB6_10350:                            ;   in Loop: Header=BB6_9081 Depth=3
	v_cmp_ne_u16_sdwa s73, v107, v2 src0_sel:BYTE_0 src1_sel:DWORD
	v_mov_b32_e32 v86, 0
	s_andn2_b32 s16, s16, exec_lo
	s_and_b32 s73, s73, exec_lo
	s_or_b32 s16, s16, s73
	s_or_b32 exec_lo, exec_lo, s23
	s_and_saveexec_b32 s23, s16
	s_cbranch_execnz .LBB6_9611
	s_branch .LBB6_9612
.LBB6_10351:                            ;   in Loop: Header=BB6_9081 Depth=3
	s_or_saveexec_b32 s23, s23
	v_mov_b32_e32 v17, 0x7f800001
	s_xor_b32 exec_lo, exec_lo, s23
	s_cbranch_execz .LBB6_9626
.LBB6_10352:                            ;   in Loop: Header=BB6_9081 Depth=3
	v_cmp_ne_u16_sdwa s73, v121, v2 src0_sel:BYTE_0 src1_sel:DWORD
	v_mov_b32_e32 v17, 0
	s_andn2_b32 s16, s16, exec_lo
	s_and_b32 s73, s73, exec_lo
	s_or_b32 s16, s16, s73
	s_or_b32 exec_lo, exec_lo, s23
	s_and_saveexec_b32 s23, s16
	s_cbranch_execnz .LBB6_9627
	s_branch .LBB6_9628
.LBB6_10353:                            ;   in Loop: Header=BB6_9081 Depth=3
	s_or_saveexec_b32 s23, s23
	v_mov_b32_e32 v86, 0x7f800001
	s_xor_b32 exec_lo, exec_lo, s23
	s_cbranch_execz .LBB6_9632
.LBB6_10354:                            ;   in Loop: Header=BB6_9081 Depth=3
	v_cmp_ne_u16_sdwa s73, v120, v2 src0_sel:BYTE_0 src1_sel:DWORD
	v_mov_b32_e32 v86, 0
	s_andn2_b32 s16, s16, exec_lo
	s_and_b32 s73, s73, exec_lo
	s_or_b32 s16, s16, s73
	s_or_b32 exec_lo, exec_lo, s23
	s_and_saveexec_b32 s23, s16
	s_cbranch_execnz .LBB6_9633
	s_branch .LBB6_9634
.LBB6_10355:                            ;   in Loop: Header=BB6_9081 Depth=3
	s_or_saveexec_b32 s23, s23
	v_mov_b32_e32 v17, 0x7f800001
	s_xor_b32 exec_lo, exec_lo, s23
	s_cbranch_execz .LBB6_9640
.LBB6_10356:                            ;   in Loop: Header=BB6_9081 Depth=3
	v_cmp_ne_u16_sdwa s73, v121, v2 src0_sel:BYTE_0 src1_sel:DWORD
	v_mov_b32_e32 v17, 0
	s_andn2_b32 s16, s16, exec_lo
	s_and_b32 s73, s73, exec_lo
	s_or_b32 s16, s16, s73
	s_or_b32 exec_lo, exec_lo, s23
	s_and_saveexec_b32 s23, s16
	s_cbranch_execnz .LBB6_9641
	s_branch .LBB6_9642
.LBB6_10357:                            ;   in Loop: Header=BB6_9081 Depth=3
	s_or_saveexec_b32 s23, s23
	v_mov_b32_e32 v86, 0x7f800001
	s_xor_b32 exec_lo, exec_lo, s23
	s_cbranch_execz .LBB6_9646
.LBB6_10358:                            ;   in Loop: Header=BB6_9081 Depth=3
	v_cmp_ne_u16_sdwa s73, v120, v2 src0_sel:BYTE_0 src1_sel:DWORD
	v_mov_b32_e32 v86, 0
	s_andn2_b32 s16, s16, exec_lo
	s_and_b32 s73, s73, exec_lo
	s_or_b32 s16, s16, s73
	s_or_b32 exec_lo, exec_lo, s23
	s_and_saveexec_b32 s23, s16
	s_cbranch_execnz .LBB6_9647
	s_branch .LBB6_9648
.LBB6_10359:                            ;   in Loop: Header=BB6_9081 Depth=3
	s_or_saveexec_b32 s23, s23
	v_mov_b32_e32 v17, 0x7f800001
	s_xor_b32 exec_lo, exec_lo, s23
	s_cbranch_execz .LBB6_9662
.LBB6_10360:                            ;   in Loop: Header=BB6_9081 Depth=3
	v_cmp_ne_u16_sdwa s73, v111, v2 src0_sel:BYTE_0 src1_sel:DWORD
	v_mov_b32_e32 v17, 0
	s_andn2_b32 s16, s16, exec_lo
	s_and_b32 s73, s73, exec_lo
	s_or_b32 s16, s16, s73
	s_or_b32 exec_lo, exec_lo, s23
	s_and_saveexec_b32 s23, s16
	s_cbranch_execnz .LBB6_9663
	s_branch .LBB6_9664
.LBB6_10361:                            ;   in Loop: Header=BB6_9081 Depth=3
	s_or_saveexec_b32 s23, s23
	v_mov_b32_e32 v86, 0x7f800001
	s_xor_b32 exec_lo, exec_lo, s23
	s_cbranch_execz .LBB6_9668
.LBB6_10362:                            ;   in Loop: Header=BB6_9081 Depth=3
	v_cmp_ne_u16_sdwa s73, v110, v2 src0_sel:BYTE_0 src1_sel:DWORD
	v_mov_b32_e32 v86, 0
	s_andn2_b32 s16, s16, exec_lo
	s_and_b32 s73, s73, exec_lo
	s_or_b32 s16, s16, s73
	s_or_b32 exec_lo, exec_lo, s23
	s_and_saveexec_b32 s23, s16
	s_cbranch_execnz .LBB6_9669
	s_branch .LBB6_9670
.LBB6_10363:                            ;   in Loop: Header=BB6_9081 Depth=3
	s_or_saveexec_b32 s23, s23
	v_mov_b32_e32 v17, 0x7f800001
	s_xor_b32 exec_lo, exec_lo, s23
	s_cbranch_execz .LBB6_9676
.LBB6_10364:                            ;   in Loop: Header=BB6_9081 Depth=3
	v_cmp_ne_u16_sdwa s73, v111, v2 src0_sel:BYTE_0 src1_sel:DWORD
	v_mov_b32_e32 v17, 0
	s_andn2_b32 s16, s16, exec_lo
	s_and_b32 s73, s73, exec_lo
	s_or_b32 s16, s16, s73
	s_or_b32 exec_lo, exec_lo, s23
	s_and_saveexec_b32 s23, s16
	s_cbranch_execnz .LBB6_9677
	s_branch .LBB6_9678
.LBB6_10365:                            ;   in Loop: Header=BB6_9081 Depth=3
	s_or_saveexec_b32 s23, s23
	v_mov_b32_e32 v86, 0x7f800001
	s_xor_b32 exec_lo, exec_lo, s23
	s_cbranch_execz .LBB6_9682
.LBB6_10366:                            ;   in Loop: Header=BB6_9081 Depth=3
	v_cmp_ne_u16_sdwa s73, v110, v2 src0_sel:BYTE_0 src1_sel:DWORD
	v_mov_b32_e32 v86, 0
	s_andn2_b32 s16, s16, exec_lo
	s_and_b32 s73, s73, exec_lo
	s_or_b32 s16, s16, s73
	s_or_b32 exec_lo, exec_lo, s23
	s_and_saveexec_b32 s23, s16
	s_cbranch_execnz .LBB6_9683
	s_branch .LBB6_9684
.LBB6_10367:                            ;   in Loop: Header=BB6_9081 Depth=3
	s_or_saveexec_b32 s23, s23
	v_mov_b32_e32 v17, 0x7f800001
	s_xor_b32 exec_lo, exec_lo, s23
	s_cbranch_execz .LBB6_9698
.LBB6_10368:                            ;   in Loop: Header=BB6_9081 Depth=3
	v_cmp_ne_u16_sdwa s73, v56, v2 src0_sel:BYTE_0 src1_sel:DWORD
	v_mov_b32_e32 v17, 0
	s_andn2_b32 s16, s16, exec_lo
	s_and_b32 s73, s73, exec_lo
	s_or_b32 s16, s16, s73
	s_or_b32 exec_lo, exec_lo, s23
	s_and_saveexec_b32 s23, s16
	s_cbranch_execnz .LBB6_9699
	s_branch .LBB6_9700
.LBB6_10369:                            ;   in Loop: Header=BB6_9081 Depth=3
	s_or_saveexec_b32 s23, s23
	v_mov_b32_e32 v86, 0x7f800001
	s_xor_b32 exec_lo, exec_lo, s23
	s_cbranch_execz .LBB6_9704
.LBB6_10370:                            ;   in Loop: Header=BB6_9081 Depth=3
	v_cmp_ne_u16_sdwa s73, v43, v2 src0_sel:BYTE_0 src1_sel:DWORD
	v_mov_b32_e32 v86, 0
	s_andn2_b32 s16, s16, exec_lo
	s_and_b32 s73, s73, exec_lo
	s_or_b32 s16, s16, s73
	s_or_b32 exec_lo, exec_lo, s23
	s_and_saveexec_b32 s23, s16
	s_cbranch_execnz .LBB6_9705
	s_branch .LBB6_9706
.LBB6_10371:                            ;   in Loop: Header=BB6_9081 Depth=3
	s_or_saveexec_b32 s23, s23
	v_mov_b32_e32 v17, 0x7f800001
	s_xor_b32 exec_lo, exec_lo, s23
	s_cbranch_execz .LBB6_9712
.LBB6_10372:                            ;   in Loop: Header=BB6_9081 Depth=3
	v_cmp_ne_u16_sdwa s73, v56, v2 src0_sel:BYTE_0 src1_sel:DWORD
	v_mov_b32_e32 v17, 0
	s_andn2_b32 s16, s16, exec_lo
	s_and_b32 s73, s73, exec_lo
	s_or_b32 s16, s16, s73
	s_or_b32 exec_lo, exec_lo, s23
	s_and_saveexec_b32 s23, s16
	s_cbranch_execnz .LBB6_9713
	s_branch .LBB6_9714
.LBB6_10373:                            ;   in Loop: Header=BB6_9081 Depth=3
	s_or_saveexec_b32 s23, s23
	v_mov_b32_e32 v86, 0x7f800001
	s_xor_b32 exec_lo, exec_lo, s23
	s_cbranch_execz .LBB6_9718
.LBB6_10374:                            ;   in Loop: Header=BB6_9081 Depth=3
	v_cmp_ne_u16_sdwa s73, v43, v2 src0_sel:BYTE_0 src1_sel:DWORD
	v_mov_b32_e32 v86, 0
	s_andn2_b32 s16, s16, exec_lo
	s_and_b32 s73, s73, exec_lo
	s_or_b32 s16, s16, s73
	s_or_b32 exec_lo, exec_lo, s23
	s_and_saveexec_b32 s23, s16
	s_cbranch_execnz .LBB6_9719
	s_branch .LBB6_9720
.LBB6_10375:                            ;   in Loop: Header=BB6_9081 Depth=3
	s_or_saveexec_b32 s23, s23
	v_mov_b32_e32 v17, 0x7f800001
	s_xor_b32 exec_lo, exec_lo, s23
	s_cbranch_execz .LBB6_9734
.LBB6_10376:                            ;   in Loop: Header=BB6_9081 Depth=3
	v_cmp_ne_u16_sdwa s73, v41, v2 src0_sel:BYTE_0 src1_sel:DWORD
	v_mov_b32_e32 v17, 0
	s_andn2_b32 s16, s16, exec_lo
	s_and_b32 s73, s73, exec_lo
	s_or_b32 s16, s16, s73
	s_or_b32 exec_lo, exec_lo, s23
	s_and_saveexec_b32 s23, s16
	s_cbranch_execnz .LBB6_9735
	s_branch .LBB6_9736
.LBB6_10377:                            ;   in Loop: Header=BB6_9081 Depth=3
	s_or_saveexec_b32 s23, s23
	v_mov_b32_e32 v86, 0x7f800001
	s_xor_b32 exec_lo, exec_lo, s23
	s_cbranch_execz .LBB6_9740
.LBB6_10378:                            ;   in Loop: Header=BB6_9081 Depth=3
	v_cmp_ne_u16_sdwa s73, v40, v2 src0_sel:BYTE_0 src1_sel:DWORD
	v_mov_b32_e32 v86, 0
	s_andn2_b32 s16, s16, exec_lo
	s_and_b32 s73, s73, exec_lo
	s_or_b32 s16, s16, s73
	s_or_b32 exec_lo, exec_lo, s23
	s_and_saveexec_b32 s23, s16
	s_cbranch_execnz .LBB6_9741
	s_branch .LBB6_9742
.LBB6_10379:                            ;   in Loop: Header=BB6_9081 Depth=3
	s_or_saveexec_b32 s23, s23
	v_mov_b32_e32 v17, 0x7f800001
	s_xor_b32 exec_lo, exec_lo, s23
	s_cbranch_execz .LBB6_9748
.LBB6_10380:                            ;   in Loop: Header=BB6_9081 Depth=3
	v_cmp_ne_u16_sdwa s73, v41, v2 src0_sel:BYTE_0 src1_sel:DWORD
	v_mov_b32_e32 v17, 0
	s_andn2_b32 s16, s16, exec_lo
	s_and_b32 s73, s73, exec_lo
	s_or_b32 s16, s16, s73
	s_or_b32 exec_lo, exec_lo, s23
	s_and_saveexec_b32 s23, s16
	s_cbranch_execnz .LBB6_9749
	s_branch .LBB6_9750
.LBB6_10381:                            ;   in Loop: Header=BB6_9081 Depth=3
	s_or_saveexec_b32 s23, s23
	v_mov_b32_e32 v86, 0x7f800001
	s_xor_b32 exec_lo, exec_lo, s23
	s_cbranch_execz .LBB6_9754
.LBB6_10382:                            ;   in Loop: Header=BB6_9081 Depth=3
	v_cmp_ne_u16_sdwa s73, v40, v2 src0_sel:BYTE_0 src1_sel:DWORD
	v_mov_b32_e32 v86, 0
	s_andn2_b32 s16, s16, exec_lo
	s_and_b32 s73, s73, exec_lo
	s_or_b32 s16, s16, s73
	s_or_b32 exec_lo, exec_lo, s23
	s_and_saveexec_b32 s23, s16
	s_cbranch_execnz .LBB6_9755
	s_branch .LBB6_9756
.LBB6_10383:                            ;   in Loop: Header=BB6_9081 Depth=3
	s_or_saveexec_b32 s23, s23
	v_mov_b32_e32 v17, 0x7f800001
	s_xor_b32 exec_lo, exec_lo, s23
	s_cbranch_execz .LBB6_9770
.LBB6_10384:                            ;   in Loop: Header=BB6_9081 Depth=3
	v_cmp_ne_u16_sdwa s73, v118, v2 src0_sel:BYTE_0 src1_sel:DWORD
	v_mov_b32_e32 v17, 0
	s_andn2_b32 s16, s16, exec_lo
	s_and_b32 s73, s73, exec_lo
	s_or_b32 s16, s16, s73
	s_or_b32 exec_lo, exec_lo, s23
	s_and_saveexec_b32 s23, s16
	s_cbranch_execnz .LBB6_9771
	s_branch .LBB6_9772
.LBB6_10385:                            ;   in Loop: Header=BB6_9081 Depth=3
	s_or_saveexec_b32 s23, s23
	v_mov_b32_e32 v86, 0x7f800001
	s_xor_b32 exec_lo, exec_lo, s23
	s_cbranch_execz .LBB6_9776
.LBB6_10386:                            ;   in Loop: Header=BB6_9081 Depth=3
	v_cmp_ne_u16_sdwa s73, v117, v2 src0_sel:BYTE_0 src1_sel:DWORD
	v_mov_b32_e32 v86, 0
	s_andn2_b32 s16, s16, exec_lo
	s_and_b32 s73, s73, exec_lo
	s_or_b32 s16, s16, s73
	s_or_b32 exec_lo, exec_lo, s23
	s_and_saveexec_b32 s23, s16
	s_cbranch_execnz .LBB6_9777
	s_branch .LBB6_9778
.LBB6_10387:                            ;   in Loop: Header=BB6_9081 Depth=3
	s_or_saveexec_b32 s23, s23
	v_mov_b32_e32 v17, 0x7f800001
	s_xor_b32 exec_lo, exec_lo, s23
	s_cbranch_execz .LBB6_9784
.LBB6_10388:                            ;   in Loop: Header=BB6_9081 Depth=3
	v_cmp_ne_u16_sdwa s73, v118, v2 src0_sel:BYTE_0 src1_sel:DWORD
	v_mov_b32_e32 v17, 0
	s_andn2_b32 s16, s16, exec_lo
	s_and_b32 s73, s73, exec_lo
	s_or_b32 s16, s16, s73
	s_or_b32 exec_lo, exec_lo, s23
	s_and_saveexec_b32 s23, s16
	s_cbranch_execnz .LBB6_9785
	s_branch .LBB6_9786
.LBB6_10389:                            ;   in Loop: Header=BB6_9081 Depth=3
	s_or_saveexec_b32 s23, s23
	v_mov_b32_e32 v86, 0x7f800001
	s_xor_b32 exec_lo, exec_lo, s23
	s_cbranch_execz .LBB6_9790
.LBB6_10390:                            ;   in Loop: Header=BB6_9081 Depth=3
	v_cmp_ne_u16_sdwa s73, v117, v2 src0_sel:BYTE_0 src1_sel:DWORD
	v_mov_b32_e32 v86, 0
	s_andn2_b32 s16, s16, exec_lo
	s_and_b32 s73, s73, exec_lo
	s_or_b32 s16, s16, s73
	s_or_b32 exec_lo, exec_lo, s23
	s_and_saveexec_b32 s23, s16
	s_cbranch_execnz .LBB6_9791
	s_branch .LBB6_9792
.LBB6_10391:                            ;   in Loop: Header=BB6_9081 Depth=3
	s_or_saveexec_b32 s23, s23
	v_mov_b32_e32 v17, 0x7f800001
	s_xor_b32 exec_lo, exec_lo, s23
	s_cbranch_execz .LBB6_9806
.LBB6_10392:                            ;   in Loop: Header=BB6_9081 Depth=3
	v_cmp_ne_u16_sdwa s73, v115, v2 src0_sel:BYTE_0 src1_sel:DWORD
	v_mov_b32_e32 v17, 0
	s_andn2_b32 s16, s16, exec_lo
	s_and_b32 s73, s73, exec_lo
	s_or_b32 s16, s16, s73
	s_or_b32 exec_lo, exec_lo, s23
	s_and_saveexec_b32 s23, s16
	s_cbranch_execnz .LBB6_9807
	s_branch .LBB6_9808
.LBB6_10393:                            ;   in Loop: Header=BB6_9081 Depth=3
	s_or_saveexec_b32 s23, s23
	v_mov_b32_e32 v86, 0x7f800001
	s_xor_b32 exec_lo, exec_lo, s23
	s_cbranch_execz .LBB6_9812
.LBB6_10394:                            ;   in Loop: Header=BB6_9081 Depth=3
	v_cmp_ne_u16_sdwa s73, v114, v2 src0_sel:BYTE_0 src1_sel:DWORD
	v_mov_b32_e32 v86, 0
	s_andn2_b32 s16, s16, exec_lo
	s_and_b32 s73, s73, exec_lo
	s_or_b32 s16, s16, s73
	s_or_b32 exec_lo, exec_lo, s23
	s_and_saveexec_b32 s23, s16
	s_cbranch_execnz .LBB6_9813
	s_branch .LBB6_9814
.LBB6_10395:                            ;   in Loop: Header=BB6_9081 Depth=3
	s_or_saveexec_b32 s23, s23
	v_mov_b32_e32 v17, 0x7f800001
	s_xor_b32 exec_lo, exec_lo, s23
	s_cbranch_execz .LBB6_9820
.LBB6_10396:                            ;   in Loop: Header=BB6_9081 Depth=3
	v_cmp_ne_u16_sdwa s73, v115, v2 src0_sel:BYTE_0 src1_sel:DWORD
	v_mov_b32_e32 v17, 0
	s_andn2_b32 s16, s16, exec_lo
	s_and_b32 s73, s73, exec_lo
	s_or_b32 s16, s16, s73
	s_or_b32 exec_lo, exec_lo, s23
	s_and_saveexec_b32 s23, s16
	s_cbranch_execnz .LBB6_9821
	s_branch .LBB6_9822
.LBB6_10397:                            ;   in Loop: Header=BB6_9081 Depth=3
	s_or_saveexec_b32 s23, s23
	v_mov_b32_e32 v86, 0x7f800001
	s_xor_b32 exec_lo, exec_lo, s23
	s_cbranch_execz .LBB6_9826
.LBB6_10398:                            ;   in Loop: Header=BB6_9081 Depth=3
	v_cmp_ne_u16_sdwa s73, v114, v2 src0_sel:BYTE_0 src1_sel:DWORD
	v_mov_b32_e32 v86, 0
	s_andn2_b32 s16, s16, exec_lo
	s_and_b32 s73, s73, exec_lo
	s_or_b32 s16, s16, s73
	s_or_b32 exec_lo, exec_lo, s23
	s_and_saveexec_b32 s23, s16
	s_cbranch_execnz .LBB6_9827
	s_branch .LBB6_9828
.LBB6_10399:                            ;   in Loop: Header=BB6_9081 Depth=3
	s_or_saveexec_b32 s23, s23
	v_mov_b32_e32 v17, 0x7f800001
	s_xor_b32 exec_lo, exec_lo, s23
	s_cbranch_execz .LBB6_9842
.LBB6_10400:                            ;   in Loop: Header=BB6_9081 Depth=3
	v_cmp_ne_u16_sdwa s73, v84, v2 src0_sel:BYTE_0 src1_sel:DWORD
	v_mov_b32_e32 v17, 0
	s_andn2_b32 s16, s16, exec_lo
	s_and_b32 s73, s73, exec_lo
	s_or_b32 s16, s16, s73
	s_or_b32 exec_lo, exec_lo, s23
	s_and_saveexec_b32 s23, s16
	s_cbranch_execnz .LBB6_9843
	s_branch .LBB6_9844
.LBB6_10401:                            ;   in Loop: Header=BB6_9081 Depth=3
	s_or_saveexec_b32 s23, s23
	v_mov_b32_e32 v86, 0x7f800001
	s_xor_b32 exec_lo, exec_lo, s23
	s_cbranch_execz .LBB6_9848
.LBB6_10402:                            ;   in Loop: Header=BB6_9081 Depth=3
	v_cmp_ne_u16_sdwa s73, v83, v2 src0_sel:BYTE_0 src1_sel:DWORD
	v_mov_b32_e32 v86, 0
	s_andn2_b32 s16, s16, exec_lo
	s_and_b32 s73, s73, exec_lo
	s_or_b32 s16, s16, s73
	s_or_b32 exec_lo, exec_lo, s23
	s_and_saveexec_b32 s23, s16
	s_cbranch_execnz .LBB6_9849
	s_branch .LBB6_9850
.LBB6_10403:                            ;   in Loop: Header=BB6_9081 Depth=3
	s_or_saveexec_b32 s23, s23
	v_mov_b32_e32 v17, 0x7f800001
	s_xor_b32 exec_lo, exec_lo, s23
	s_cbranch_execz .LBB6_9856
.LBB6_10404:                            ;   in Loop: Header=BB6_9081 Depth=3
	v_cmp_ne_u16_sdwa s73, v84, v2 src0_sel:BYTE_0 src1_sel:DWORD
	v_mov_b32_e32 v17, 0
	s_andn2_b32 s16, s16, exec_lo
	s_and_b32 s73, s73, exec_lo
	s_or_b32 s16, s16, s73
	s_or_b32 exec_lo, exec_lo, s23
	s_and_saveexec_b32 s23, s16
	s_cbranch_execnz .LBB6_9857
	s_branch .LBB6_9858
.LBB6_10405:                            ;   in Loop: Header=BB6_9081 Depth=3
	s_or_saveexec_b32 s23, s23
	v_mov_b32_e32 v84, 0x7f800001
	s_xor_b32 exec_lo, exec_lo, s23
	s_cbranch_execz .LBB6_9862
.LBB6_10406:                            ;   in Loop: Header=BB6_9081 Depth=3
	v_cmp_ne_u16_sdwa s73, v83, v2 src0_sel:BYTE_0 src1_sel:DWORD
	v_mov_b32_e32 v84, 0
	s_andn2_b32 s16, s16, exec_lo
	s_and_b32 s73, s73, exec_lo
	s_or_b32 s16, s16, s73
	s_or_b32 exec_lo, exec_lo, s23
	s_and_saveexec_b32 s23, s16
	s_cbranch_execnz .LBB6_9863
	s_branch .LBB6_9864
.LBB6_10407:                            ;   in Loop: Header=BB6_9081 Depth=3
	s_or_saveexec_b32 s23, s23
	v_mov_b32_e32 v17, 0x7f800001
	s_xor_b32 exec_lo, exec_lo, s23
	s_cbranch_execz .LBB6_9878
.LBB6_10408:                            ;   in Loop: Header=BB6_9081 Depth=3
	v_cmp_ne_u16_sdwa s73, v82, v2 src0_sel:BYTE_0 src1_sel:DWORD
	v_mov_b32_e32 v17, 0
	s_andn2_b32 s16, s16, exec_lo
	s_and_b32 s73, s73, exec_lo
	s_or_b32 s16, s16, s73
	s_or_b32 exec_lo, exec_lo, s23
	s_and_saveexec_b32 s23, s16
	s_cbranch_execnz .LBB6_9879
	s_branch .LBB6_9880
.LBB6_10409:                            ;   in Loop: Header=BB6_9081 Depth=3
	s_or_saveexec_b32 s23, s23
	v_mov_b32_e32 v84, 0x7f800001
	s_xor_b32 exec_lo, exec_lo, s23
	s_cbranch_execz .LBB6_9884
.LBB6_10410:                            ;   in Loop: Header=BB6_9081 Depth=3
	v_cmp_ne_u16_sdwa s73, v55, v2 src0_sel:BYTE_0 src1_sel:DWORD
	v_mov_b32_e32 v84, 0
	s_andn2_b32 s16, s16, exec_lo
	s_and_b32 s73, s73, exec_lo
	s_or_b32 s16, s16, s73
	s_or_b32 exec_lo, exec_lo, s23
	s_and_saveexec_b32 s23, s16
	s_cbranch_execnz .LBB6_9885
	s_branch .LBB6_9886
.LBB6_10411:                            ;   in Loop: Header=BB6_9081 Depth=3
	s_or_saveexec_b32 s23, s23
	v_mov_b32_e32 v17, 0x7f800001
	s_xor_b32 exec_lo, exec_lo, s23
	s_cbranch_execz .LBB6_9892
.LBB6_10412:                            ;   in Loop: Header=BB6_9081 Depth=3
	v_cmp_ne_u16_sdwa s73, v82, v2 src0_sel:BYTE_0 src1_sel:DWORD
	v_mov_b32_e32 v17, 0
	s_andn2_b32 s16, s16, exec_lo
	s_and_b32 s73, s73, exec_lo
	s_or_b32 s16, s16, s73
	s_or_b32 exec_lo, exec_lo, s23
	s_and_saveexec_b32 s23, s16
	s_cbranch_execnz .LBB6_9893
	s_branch .LBB6_9894
.LBB6_10413:                            ;   in Loop: Header=BB6_9081 Depth=3
	s_or_saveexec_b32 s23, s23
	v_mov_b32_e32 v82, 0x7f800001
	s_xor_b32 exec_lo, exec_lo, s23
	s_cbranch_execz .LBB6_9898
.LBB6_10414:                            ;   in Loop: Header=BB6_9081 Depth=3
	v_cmp_ne_u16_sdwa s73, v55, v2 src0_sel:BYTE_0 src1_sel:DWORD
	v_mov_b32_e32 v82, 0
	s_andn2_b32 s16, s16, exec_lo
	s_and_b32 s73, s73, exec_lo
	s_or_b32 s16, s16, s73
	s_or_b32 exec_lo, exec_lo, s23
	s_and_saveexec_b32 s23, s16
	s_cbranch_execnz .LBB6_9899
	s_branch .LBB6_9900
.LBB6_10415:                            ;   in Loop: Header=BB6_9081 Depth=3
	s_or_saveexec_b32 s23, s23
	v_mov_b32_e32 v17, 0x7f800001
	s_xor_b32 exec_lo, exec_lo, s23
	s_cbranch_execz .LBB6_9914
.LBB6_10416:                            ;   in Loop: Header=BB6_9081 Depth=3
	v_cmp_ne_u16_sdwa s73, v53, v2 src0_sel:BYTE_0 src1_sel:DWORD
	v_mov_b32_e32 v17, 0
	s_andn2_b32 s16, s16, exec_lo
	s_and_b32 s73, s73, exec_lo
	s_or_b32 s16, s16, s73
	s_or_b32 exec_lo, exec_lo, s23
	s_and_saveexec_b32 s23, s16
	s_cbranch_execnz .LBB6_9915
	s_branch .LBB6_9916
.LBB6_10417:                            ;   in Loop: Header=BB6_9081 Depth=3
	s_or_saveexec_b32 s23, s23
	v_mov_b32_e32 v82, 0x7f800001
	s_xor_b32 exec_lo, exec_lo, s23
	s_cbranch_execz .LBB6_9920
.LBB6_10418:                            ;   in Loop: Header=BB6_9081 Depth=3
	v_cmp_ne_u16_sdwa s73, v31, v2 src0_sel:BYTE_0 src1_sel:DWORD
	v_mov_b32_e32 v82, 0
	s_andn2_b32 s16, s16, exec_lo
	s_and_b32 s73, s73, exec_lo
	s_or_b32 s16, s16, s73
	s_or_b32 exec_lo, exec_lo, s23
	s_and_saveexec_b32 s23, s16
	s_cbranch_execnz .LBB6_9921
	s_branch .LBB6_9922
.LBB6_10419:                            ;   in Loop: Header=BB6_9081 Depth=3
	s_or_saveexec_b32 s23, s23
	v_mov_b32_e32 v17, 0x7f800001
	s_xor_b32 exec_lo, exec_lo, s23
	s_cbranch_execz .LBB6_9928
.LBB6_10420:                            ;   in Loop: Header=BB6_9081 Depth=3
	v_cmp_ne_u16_sdwa s73, v53, v2 src0_sel:BYTE_0 src1_sel:DWORD
	v_mov_b32_e32 v17, 0
	s_andn2_b32 s16, s16, exec_lo
	s_and_b32 s73, s73, exec_lo
	s_or_b32 s16, s16, s73
	s_or_b32 exec_lo, exec_lo, s23
	s_and_saveexec_b32 s23, s16
	s_cbranch_execnz .LBB6_9929
	s_branch .LBB6_9930
.LBB6_10421:                            ;   in Loop: Header=BB6_9081 Depth=3
	s_or_saveexec_b32 s23, s23
	v_mov_b32_e32 v53, 0x7f800001
	s_xor_b32 exec_lo, exec_lo, s23
	s_cbranch_execz .LBB6_9934
.LBB6_10422:                            ;   in Loop: Header=BB6_9081 Depth=3
	v_cmp_ne_u16_sdwa s73, v31, v2 src0_sel:BYTE_0 src1_sel:DWORD
	v_mov_b32_e32 v53, 0
	s_andn2_b32 s16, s16, exec_lo
	s_and_b32 s73, s73, exec_lo
	s_or_b32 s16, s16, s73
	s_or_b32 exec_lo, exec_lo, s23
	s_and_saveexec_b32 s23, s16
	s_cbranch_execnz .LBB6_9935
	s_branch .LBB6_9936
.LBB6_10423:                            ;   in Loop: Header=BB6_9081 Depth=3
	s_or_saveexec_b32 s23, s23
	v_mov_b32_e32 v17, 0x7f800001
	s_xor_b32 exec_lo, exec_lo, s23
	s_cbranch_execz .LBB6_9950
.LBB6_10424:                            ;   in Loop: Header=BB6_9081 Depth=3
	v_cmp_ne_u16_sdwa s73, v51, v2 src0_sel:BYTE_0 src1_sel:DWORD
	v_mov_b32_e32 v17, 0
	s_andn2_b32 s16, s16, exec_lo
	s_and_b32 s73, s73, exec_lo
	s_or_b32 s16, s16, s73
	s_or_b32 exec_lo, exec_lo, s23
	s_and_saveexec_b32 s23, s16
	s_cbranch_execnz .LBB6_9951
	s_branch .LBB6_9952
.LBB6_10425:                            ;   in Loop: Header=BB6_9081 Depth=3
	s_or_saveexec_b32 s23, s23
	v_mov_b32_e32 v53, 0x7f800001
	s_xor_b32 exec_lo, exec_lo, s23
	s_cbranch_execz .LBB6_9956
.LBB6_10426:                            ;   in Loop: Header=BB6_9081 Depth=3
	v_cmp_ne_u16_sdwa s73, v50, v2 src0_sel:BYTE_0 src1_sel:DWORD
	v_mov_b32_e32 v53, 0
	s_andn2_b32 s16, s16, exec_lo
	s_and_b32 s73, s73, exec_lo
	s_or_b32 s16, s16, s73
	s_or_b32 exec_lo, exec_lo, s23
	s_and_saveexec_b32 s23, s16
	s_cbranch_execnz .LBB6_9957
	s_branch .LBB6_9958
.LBB6_10427:                            ;   in Loop: Header=BB6_9081 Depth=3
	s_or_saveexec_b32 s23, s23
	v_mov_b32_e32 v17, 0x7f800001
	s_xor_b32 exec_lo, exec_lo, s23
	s_cbranch_execz .LBB6_9964
.LBB6_10428:                            ;   in Loop: Header=BB6_9081 Depth=3
	v_cmp_ne_u16_sdwa s73, v51, v2 src0_sel:BYTE_0 src1_sel:DWORD
	v_mov_b32_e32 v17, 0
	s_andn2_b32 s16, s16, exec_lo
	s_and_b32 s73, s73, exec_lo
	s_or_b32 s16, s16, s73
	s_or_b32 exec_lo, exec_lo, s23
	s_and_saveexec_b32 s23, s16
	s_cbranch_execnz .LBB6_9965
	s_branch .LBB6_9966
.LBB6_10429:                            ;   in Loop: Header=BB6_9081 Depth=3
	s_or_saveexec_b32 s23, s23
	v_mov_b32_e32 v51, 0x7f800001
	s_xor_b32 exec_lo, exec_lo, s23
	s_cbranch_execz .LBB6_9970
.LBB6_10430:                            ;   in Loop: Header=BB6_9081 Depth=3
	v_cmp_ne_u16_sdwa s73, v50, v2 src0_sel:BYTE_0 src1_sel:DWORD
	v_mov_b32_e32 v51, 0
	s_andn2_b32 s16, s16, exec_lo
	s_and_b32 s73, s73, exec_lo
	s_or_b32 s16, s16, s73
	s_or_b32 exec_lo, exec_lo, s23
	s_and_saveexec_b32 s23, s16
	s_cbranch_execnz .LBB6_9971
	s_branch .LBB6_9972
.LBB6_10431:                            ;   in Loop: Header=BB6_9081 Depth=3
	s_or_saveexec_b32 s23, s23
	v_mov_b32_e32 v17, 0x7f800001
	s_xor_b32 exec_lo, exec_lo, s23
	s_cbranch_execz .LBB6_9986
.LBB6_10432:                            ;   in Loop: Header=BB6_9081 Depth=3
	v_cmp_ne_u16_sdwa s73, v48, v2 src0_sel:BYTE_0 src1_sel:DWORD
	v_mov_b32_e32 v17, 0
	s_andn2_b32 s16, s16, exec_lo
	s_and_b32 s73, s73, exec_lo
	s_or_b32 s16, s16, s73
	s_or_b32 exec_lo, exec_lo, s23
	s_and_saveexec_b32 s23, s16
	s_cbranch_execnz .LBB6_9987
	s_branch .LBB6_9988
.LBB6_10433:                            ;   in Loop: Header=BB6_9081 Depth=3
	s_or_saveexec_b32 s23, s23
	v_mov_b32_e32 v51, 0x7f800001
	s_xor_b32 exec_lo, exec_lo, s23
	s_cbranch_execz .LBB6_9992
.LBB6_10434:                            ;   in Loop: Header=BB6_9081 Depth=3
	v_cmp_ne_u16_sdwa s73, v39, v2 src0_sel:BYTE_0 src1_sel:DWORD
	v_mov_b32_e32 v51, 0
	s_andn2_b32 s16, s16, exec_lo
	s_and_b32 s73, s73, exec_lo
	s_or_b32 s16, s16, s73
	s_or_b32 exec_lo, exec_lo, s23
	s_and_saveexec_b32 s23, s16
	s_cbranch_execnz .LBB6_9993
	s_branch .LBB6_9994
.LBB6_10435:                            ;   in Loop: Header=BB6_9081 Depth=3
	s_or_saveexec_b32 s23, s23
	v_mov_b32_e32 v17, 0x7f800001
	s_xor_b32 exec_lo, exec_lo, s23
	s_cbranch_execz .LBB6_10000
.LBB6_10436:                            ;   in Loop: Header=BB6_9081 Depth=3
	v_cmp_ne_u16_sdwa s73, v48, v2 src0_sel:BYTE_0 src1_sel:DWORD
	v_mov_b32_e32 v17, 0
	s_andn2_b32 s16, s16, exec_lo
	s_and_b32 s73, s73, exec_lo
	s_or_b32 s16, s16, s73
	s_or_b32 exec_lo, exec_lo, s23
	s_and_saveexec_b32 s23, s16
	s_cbranch_execnz .LBB6_10001
	s_branch .LBB6_10002
.LBB6_10437:                            ;   in Loop: Header=BB6_9081 Depth=3
	s_or_saveexec_b32 s23, s23
	v_mov_b32_e32 v48, 0x7f800001
	s_xor_b32 exec_lo, exec_lo, s23
	s_cbranch_execz .LBB6_10006
.LBB6_10438:                            ;   in Loop: Header=BB6_9081 Depth=3
	v_cmp_ne_u16_sdwa s73, v39, v2 src0_sel:BYTE_0 src1_sel:DWORD
	v_mov_b32_e32 v48, 0
	s_andn2_b32 s16, s16, exec_lo
	s_and_b32 s73, s73, exec_lo
	s_or_b32 s16, s16, s73
	s_or_b32 exec_lo, exec_lo, s23
	s_and_saveexec_b32 s23, s16
	s_cbranch_execnz .LBB6_10007
	s_branch .LBB6_10008
.LBB6_10439:                            ;   in Loop: Header=BB6_9081 Depth=3
	s_or_saveexec_b32 s23, s23
	v_mov_b32_e32 v17, 0x7f800001
	s_xor_b32 exec_lo, exec_lo, s23
	s_cbranch_execz .LBB6_10022
.LBB6_10440:                            ;   in Loop: Header=BB6_9081 Depth=3
	v_cmp_ne_u16_sdwa s73, v37, v2 src0_sel:BYTE_0 src1_sel:DWORD
	v_mov_b32_e32 v17, 0
	s_andn2_b32 s16, s16, exec_lo
	s_and_b32 s73, s73, exec_lo
	s_or_b32 s16, s16, s73
	s_or_b32 exec_lo, exec_lo, s23
	s_and_saveexec_b32 s23, s16
	s_cbranch_execnz .LBB6_10023
	s_branch .LBB6_10024
.LBB6_10441:                            ;   in Loop: Header=BB6_9081 Depth=3
	s_or_saveexec_b32 s23, s23
	v_mov_b32_e32 v48, 0x7f800001
	s_xor_b32 exec_lo, exec_lo, s23
	s_cbranch_execz .LBB6_10028
.LBB6_10442:                            ;   in Loop: Header=BB6_9081 Depth=3
	v_cmp_ne_u16_sdwa s73, v36, v2 src0_sel:BYTE_0 src1_sel:DWORD
	v_mov_b32_e32 v48, 0
	s_andn2_b32 s16, s16, exec_lo
	s_and_b32 s73, s73, exec_lo
	s_or_b32 s16, s16, s73
	s_or_b32 exec_lo, exec_lo, s23
	s_and_saveexec_b32 s23, s16
	s_cbranch_execnz .LBB6_10029
	s_branch .LBB6_10030
.LBB6_10443:                            ;   in Loop: Header=BB6_9081 Depth=3
	s_or_saveexec_b32 s23, s23
	v_mov_b32_e32 v17, 0x7f800001
	s_xor_b32 exec_lo, exec_lo, s23
	s_cbranch_execz .LBB6_10036
.LBB6_10444:                            ;   in Loop: Header=BB6_9081 Depth=3
	v_cmp_ne_u16_sdwa s73, v37, v2 src0_sel:BYTE_0 src1_sel:DWORD
	v_mov_b32_e32 v17, 0
	s_andn2_b32 s16, s16, exec_lo
	s_and_b32 s73, s73, exec_lo
	s_or_b32 s16, s16, s73
	s_or_b32 exec_lo, exec_lo, s23
	s_and_saveexec_b32 s23, s16
	s_cbranch_execnz .LBB6_10037
	s_branch .LBB6_10038
.LBB6_10445:                            ;   in Loop: Header=BB6_9081 Depth=3
	s_or_saveexec_b32 s23, s23
	v_mov_b32_e32 v37, 0x7f800001
	s_xor_b32 exec_lo, exec_lo, s23
	s_cbranch_execz .LBB6_10042
.LBB6_10446:                            ;   in Loop: Header=BB6_9081 Depth=3
	v_cmp_ne_u16_sdwa s73, v36, v2 src0_sel:BYTE_0 src1_sel:DWORD
	v_mov_b32_e32 v37, 0
	s_andn2_b32 s16, s16, exec_lo
	s_and_b32 s73, s73, exec_lo
	s_or_b32 s16, s16, s73
	s_or_b32 exec_lo, exec_lo, s23
	s_and_saveexec_b32 s23, s16
	s_cbranch_execnz .LBB6_10043
	s_branch .LBB6_10044
.LBB6_10447:                            ;   in Loop: Header=BB6_9081 Depth=3
	s_or_saveexec_b32 s23, s23
	v_mov_b32_e32 v17, 0x7f800001
	s_xor_b32 exec_lo, exec_lo, s23
	s_cbranch_execz .LBB6_10058
.LBB6_10448:                            ;   in Loop: Header=BB6_9081 Depth=3
	v_cmp_ne_u16_sdwa s73, v34, v2 src0_sel:BYTE_0 src1_sel:DWORD
	v_mov_b32_e32 v17, 0
	s_andn2_b32 s16, s16, exec_lo
	s_and_b32 s73, s73, exec_lo
	s_or_b32 s16, s16, s73
	s_or_b32 exec_lo, exec_lo, s23
	s_and_saveexec_b32 s23, s16
	s_cbranch_execnz .LBB6_10059
	s_branch .LBB6_10060
.LBB6_10449:                            ;   in Loop: Header=BB6_9081 Depth=3
	s_or_saveexec_b32 s23, s23
	v_mov_b32_e32 v37, 0x7f800001
	s_xor_b32 exec_lo, exec_lo, s23
	s_cbranch_execz .LBB6_10064
.LBB6_10450:                            ;   in Loop: Header=BB6_9081 Depth=3
	v_cmp_ne_u16_sdwa s73, v33, v2 src0_sel:BYTE_0 src1_sel:DWORD
	v_mov_b32_e32 v37, 0
	s_andn2_b32 s16, s16, exec_lo
	s_and_b32 s73, s73, exec_lo
	s_or_b32 s16, s16, s73
	s_or_b32 exec_lo, exec_lo, s23
	s_and_saveexec_b32 s23, s16
	s_cbranch_execnz .LBB6_10065
	s_branch .LBB6_10066
.LBB6_10451:                            ;   in Loop: Header=BB6_9081 Depth=3
	s_or_saveexec_b32 s23, s23
	v_mov_b32_e32 v17, 0x7f800001
	s_xor_b32 exec_lo, exec_lo, s23
	s_cbranch_execz .LBB6_10072
.LBB6_10452:                            ;   in Loop: Header=BB6_9081 Depth=3
	v_cmp_ne_u16_sdwa s73, v34, v2 src0_sel:BYTE_0 src1_sel:DWORD
	v_mov_b32_e32 v17, 0
	s_andn2_b32 s16, s16, exec_lo
	s_and_b32 s73, s73, exec_lo
	s_or_b32 s16, s16, s73
	s_or_b32 exec_lo, exec_lo, s23
	s_and_saveexec_b32 s23, s16
	s_cbranch_execnz .LBB6_10073
	s_branch .LBB6_10074
.LBB6_10453:                            ;   in Loop: Header=BB6_9081 Depth=3
	s_or_saveexec_b32 s23, s23
	v_mov_b32_e32 v34, 0x7f800001
	s_xor_b32 exec_lo, exec_lo, s23
	s_cbranch_execz .LBB6_10078
.LBB6_10454:                            ;   in Loop: Header=BB6_9081 Depth=3
	v_cmp_ne_u16_sdwa s73, v33, v2 src0_sel:BYTE_0 src1_sel:DWORD
	v_mov_b32_e32 v34, 0
	s_andn2_b32 s16, s16, exec_lo
	s_and_b32 s73, s73, exec_lo
	s_or_b32 s16, s16, s73
	s_or_b32 exec_lo, exec_lo, s23
	s_and_saveexec_b32 s23, s16
	s_cbranch_execnz .LBB6_10079
	s_branch .LBB6_10080
.LBB6_10455:                            ;   in Loop: Header=BB6_9081 Depth=3
	s_or_saveexec_b32 s23, s23
	v_mov_b32_e32 v17, 0x7f800001
	s_xor_b32 exec_lo, exec_lo, s23
	s_cbranch_execz .LBB6_10094
.LBB6_10456:                            ;   in Loop: Header=BB6_9081 Depth=3
	v_cmp_ne_u16_sdwa s73, v30, v2 src0_sel:BYTE_0 src1_sel:DWORD
	v_mov_b32_e32 v17, 0
	s_andn2_b32 s16, s16, exec_lo
	s_and_b32 s73, s73, exec_lo
	s_or_b32 s16, s16, s73
	s_or_b32 exec_lo, exec_lo, s23
	s_and_saveexec_b32 s23, s16
	s_cbranch_execnz .LBB6_10095
	s_branch .LBB6_10096
.LBB6_10457:                            ;   in Loop: Header=BB6_9081 Depth=3
	s_or_saveexec_b32 s23, s23
	v_mov_b32_e32 v34, 0x7f800001
	s_xor_b32 exec_lo, exec_lo, s23
	s_cbranch_execz .LBB6_10100
.LBB6_10458:                            ;   in Loop: Header=BB6_9081 Depth=3
	v_cmp_ne_u16_sdwa s73, v29, v2 src0_sel:BYTE_0 src1_sel:DWORD
	v_mov_b32_e32 v34, 0
	s_andn2_b32 s16, s16, exec_lo
	s_and_b32 s73, s73, exec_lo
	s_or_b32 s16, s16, s73
	s_or_b32 exec_lo, exec_lo, s23
	s_and_saveexec_b32 s23, s16
	s_cbranch_execnz .LBB6_10101
	s_branch .LBB6_10102
.LBB6_10459:                            ;   in Loop: Header=BB6_9081 Depth=3
	s_or_saveexec_b32 s23, s23
	v_mov_b32_e32 v17, 0x7f800001
	s_xor_b32 exec_lo, exec_lo, s23
	s_cbranch_execz .LBB6_10108
.LBB6_10460:                            ;   in Loop: Header=BB6_9081 Depth=3
	v_cmp_ne_u16_sdwa s73, v30, v2 src0_sel:BYTE_0 src1_sel:DWORD
	v_mov_b32_e32 v17, 0
	s_andn2_b32 s16, s16, exec_lo
	s_and_b32 s73, s73, exec_lo
	s_or_b32 s16, s16, s73
	s_or_b32 exec_lo, exec_lo, s23
	s_and_saveexec_b32 s23, s16
	s_cbranch_execnz .LBB6_10109
	s_branch .LBB6_10110
.LBB6_10461:                            ;   in Loop: Header=BB6_9081 Depth=3
	s_or_saveexec_b32 s23, s23
	v_mov_b32_e32 v30, 0x7f800001
	s_xor_b32 exec_lo, exec_lo, s23
	s_cbranch_execz .LBB6_10114
.LBB6_10462:                            ;   in Loop: Header=BB6_9081 Depth=3
	v_cmp_ne_u16_sdwa s73, v29, v2 src0_sel:BYTE_0 src1_sel:DWORD
	v_mov_b32_e32 v30, 0
	s_andn2_b32 s16, s16, exec_lo
	s_and_b32 s73, s73, exec_lo
	s_or_b32 s16, s16, s73
	s_or_b32 exec_lo, exec_lo, s23
	s_and_saveexec_b32 s23, s16
	s_cbranch_execnz .LBB6_10115
	s_branch .LBB6_10116
.LBB6_10463:                            ;   in Loop: Header=BB6_9081 Depth=3
	s_or_saveexec_b32 s23, s23
	v_mov_b32_e32 v17, 0x7f800001
	s_xor_b32 exec_lo, exec_lo, s23
	s_cbranch_execz .LBB6_10130
.LBB6_10464:                            ;   in Loop: Header=BB6_9081 Depth=3
	v_cmp_ne_u16_sdwa s73, v27, v2 src0_sel:BYTE_0 src1_sel:DWORD
	v_mov_b32_e32 v17, 0
	s_andn2_b32 s16, s16, exec_lo
	s_and_b32 s73, s73, exec_lo
	s_or_b32 s16, s16, s73
	s_or_b32 exec_lo, exec_lo, s23
	s_and_saveexec_b32 s23, s16
	s_cbranch_execnz .LBB6_10131
	s_branch .LBB6_10132
.LBB6_10465:                            ;   in Loop: Header=BB6_9081 Depth=3
	s_or_saveexec_b32 s23, s23
	v_mov_b32_e32 v30, 0x7f800001
	s_xor_b32 exec_lo, exec_lo, s23
	s_cbranch_execz .LBB6_10136
.LBB6_10466:                            ;   in Loop: Header=BB6_9081 Depth=3
	v_cmp_ne_u16_sdwa s73, v26, v2 src0_sel:BYTE_0 src1_sel:DWORD
	v_mov_b32_e32 v30, 0
	s_andn2_b32 s16, s16, exec_lo
	s_and_b32 s73, s73, exec_lo
	s_or_b32 s16, s16, s73
	s_or_b32 exec_lo, exec_lo, s23
	s_and_saveexec_b32 s23, s16
	s_cbranch_execnz .LBB6_10137
	s_branch .LBB6_10138
.LBB6_10467:                            ;   in Loop: Header=BB6_9081 Depth=3
	s_or_saveexec_b32 s23, s23
	v_mov_b32_e32 v17, 0x7f800001
	s_xor_b32 exec_lo, exec_lo, s23
	s_cbranch_execz .LBB6_10144
.LBB6_10468:                            ;   in Loop: Header=BB6_9081 Depth=3
	v_cmp_ne_u16_sdwa s73, v27, v2 src0_sel:BYTE_0 src1_sel:DWORD
	v_mov_b32_e32 v17, 0
	s_andn2_b32 s16, s16, exec_lo
	s_and_b32 s73, s73, exec_lo
	s_or_b32 s16, s16, s73
	s_or_b32 exec_lo, exec_lo, s23
	s_and_saveexec_b32 s23, s16
	s_cbranch_execnz .LBB6_10145
	s_branch .LBB6_10146
.LBB6_10469:                            ;   in Loop: Header=BB6_9081 Depth=3
	s_or_saveexec_b32 s23, s23
	v_mov_b32_e32 v27, 0x7f800001
	s_xor_b32 exec_lo, exec_lo, s23
	s_cbranch_execz .LBB6_10150
.LBB6_10470:                            ;   in Loop: Header=BB6_9081 Depth=3
	v_cmp_ne_u16_sdwa s73, v26, v2 src0_sel:BYTE_0 src1_sel:DWORD
	v_mov_b32_e32 v27, 0
	s_andn2_b32 s16, s16, exec_lo
	s_and_b32 s73, s73, exec_lo
	s_or_b32 s16, s16, s73
	s_or_b32 exec_lo, exec_lo, s23
	s_and_saveexec_b32 s23, s16
	s_cbranch_execnz .LBB6_10151
	s_branch .LBB6_10152
.LBB6_10471:                            ;   in Loop: Header=BB6_9081 Depth=3
	s_or_saveexec_b32 s23, s23
	v_mov_b32_e32 v17, 0x7f800001
	s_xor_b32 exec_lo, exec_lo, s23
	s_cbranch_execz .LBB6_10166
.LBB6_10472:                            ;   in Loop: Header=BB6_9081 Depth=3
	v_cmp_ne_u16_sdwa s73, v24, v2 src0_sel:BYTE_0 src1_sel:DWORD
	v_mov_b32_e32 v17, 0
	s_andn2_b32 s16, s16, exec_lo
	s_and_b32 s73, s73, exec_lo
	s_or_b32 s16, s16, s73
	s_or_b32 exec_lo, exec_lo, s23
	s_and_saveexec_b32 s23, s16
	s_cbranch_execnz .LBB6_10167
	s_branch .LBB6_10168
.LBB6_10473:                            ;   in Loop: Header=BB6_9081 Depth=3
	s_or_saveexec_b32 s23, s23
	v_mov_b32_e32 v27, 0x7f800001
	s_xor_b32 exec_lo, exec_lo, s23
	s_cbranch_execz .LBB6_10172
.LBB6_10474:                            ;   in Loop: Header=BB6_9081 Depth=3
	v_cmp_ne_u16_sdwa s73, v23, v2 src0_sel:BYTE_0 src1_sel:DWORD
	v_mov_b32_e32 v27, 0
	s_andn2_b32 s16, s16, exec_lo
	s_and_b32 s73, s73, exec_lo
	s_or_b32 s16, s16, s73
	s_or_b32 exec_lo, exec_lo, s23
	s_and_saveexec_b32 s23, s16
	s_cbranch_execnz .LBB6_10173
	s_branch .LBB6_10174
.LBB6_10475:                            ;   in Loop: Header=BB6_9081 Depth=3
	s_or_saveexec_b32 s23, s23
	v_mov_b32_e32 v17, 0x7f800001
	s_xor_b32 exec_lo, exec_lo, s23
	s_cbranch_execz .LBB6_10180
.LBB6_10476:                            ;   in Loop: Header=BB6_9081 Depth=3
	v_cmp_ne_u16_sdwa s73, v24, v2 src0_sel:BYTE_0 src1_sel:DWORD
	v_mov_b32_e32 v17, 0
	s_andn2_b32 s16, s16, exec_lo
	s_and_b32 s73, s73, exec_lo
	s_or_b32 s16, s16, s73
	s_or_b32 exec_lo, exec_lo, s23
	s_and_saveexec_b32 s23, s16
	s_cbranch_execnz .LBB6_10181
	s_branch .LBB6_10182
.LBB6_10477:                            ;   in Loop: Header=BB6_9081 Depth=3
	s_or_saveexec_b32 s23, s23
	v_mov_b32_e32 v24, 0x7f800001
	s_xor_b32 exec_lo, exec_lo, s23
	s_cbranch_execz .LBB6_10186
.LBB6_10478:                            ;   in Loop: Header=BB6_9081 Depth=3
	v_cmp_ne_u16_sdwa s73, v23, v2 src0_sel:BYTE_0 src1_sel:DWORD
	v_mov_b32_e32 v24, 0
	s_andn2_b32 s16, s16, exec_lo
	s_and_b32 s73, s73, exec_lo
	s_or_b32 s16, s16, s73
	s_or_b32 exec_lo, exec_lo, s23
	s_and_saveexec_b32 s23, s16
	s_cbranch_execnz .LBB6_10187
	s_branch .LBB6_10188
.LBB6_10479:                            ;   in Loop: Header=BB6_9081 Depth=3
	s_or_saveexec_b32 s23, s23
	v_mov_b32_e32 v17, 0x7f800001
	s_xor_b32 exec_lo, exec_lo, s23
	s_cbranch_execz .LBB6_10202
.LBB6_10480:                            ;   in Loop: Header=BB6_9081 Depth=3
	v_cmp_ne_u16_sdwa s73, v21, v2 src0_sel:BYTE_0 src1_sel:DWORD
	v_mov_b32_e32 v17, 0
	s_andn2_b32 s16, s16, exec_lo
	s_and_b32 s73, s73, exec_lo
	s_or_b32 s16, s16, s73
	s_or_b32 exec_lo, exec_lo, s23
	s_and_saveexec_b32 s23, s16
	s_cbranch_execnz .LBB6_10203
	s_branch .LBB6_10204
.LBB6_10481:                            ;   in Loop: Header=BB6_9081 Depth=3
	s_or_saveexec_b32 s23, s23
	v_mov_b32_e32 v24, 0x7f800001
	s_xor_b32 exec_lo, exec_lo, s23
	s_cbranch_execz .LBB6_10208
.LBB6_10482:                            ;   in Loop: Header=BB6_9081 Depth=3
	v_cmp_ne_u16_sdwa s73, v20, v2 src0_sel:BYTE_0 src1_sel:DWORD
	v_mov_b32_e32 v24, 0
	s_andn2_b32 s16, s16, exec_lo
	s_and_b32 s73, s73, exec_lo
	s_or_b32 s16, s16, s73
	s_or_b32 exec_lo, exec_lo, s23
	s_and_saveexec_b32 s23, s16
	s_cbranch_execnz .LBB6_10209
	s_branch .LBB6_10210
.LBB6_10483:                            ;   in Loop: Header=BB6_9081 Depth=3
	s_or_saveexec_b32 s23, s23
	v_mov_b32_e32 v17, 0x7f800001
	s_xor_b32 exec_lo, exec_lo, s23
	s_cbranch_execz .LBB6_10216
.LBB6_10484:                            ;   in Loop: Header=BB6_9081 Depth=3
	v_cmp_ne_u16_sdwa s73, v21, v2 src0_sel:BYTE_0 src1_sel:DWORD
	v_mov_b32_e32 v17, 0
	s_andn2_b32 s16, s16, exec_lo
	s_and_b32 s73, s73, exec_lo
	s_or_b32 s16, s16, s73
	s_or_b32 exec_lo, exec_lo, s23
	s_and_saveexec_b32 s23, s16
	s_cbranch_execnz .LBB6_10217
	s_branch .LBB6_10218
.LBB6_10485:                            ;   in Loop: Header=BB6_9081 Depth=3
	s_or_saveexec_b32 s23, s23
	v_mov_b32_e32 v21, 0x7f800001
	s_xor_b32 exec_lo, exec_lo, s23
	s_cbranch_execz .LBB6_10222
.LBB6_10486:                            ;   in Loop: Header=BB6_9081 Depth=3
	v_cmp_ne_u16_sdwa s73, v20, v2 src0_sel:BYTE_0 src1_sel:DWORD
	v_mov_b32_e32 v21, 0
	s_andn2_b32 s16, s16, exec_lo
	s_and_b32 s73, s73, exec_lo
	s_or_b32 s16, s16, s73
	s_or_b32 exec_lo, exec_lo, s23
	s_and_saveexec_b32 s23, s16
	s_cbranch_execnz .LBB6_10223
	s_branch .LBB6_10224
.LBB6_10487:                            ;   in Loop: Header=BB6_5463 Depth=2
	s_or_b32 exec_lo, exec_lo, s18
	buffer_load_dword v9, off, s[0:3], s33 offset:244 ; 4-byte Folded Reload
.LBB6_10488:                            ;   in Loop: Header=BB6_5463 Depth=2
	s_or_b32 exec_lo, exec_lo, s17
	v_lshlrev_b32_e32 v1, 10, v19
	v_cmp_ne_u32_e32 vcc_lo, v5, v1
	s_and_b32 exec_lo, exec_lo, vcc_lo
	s_cbranch_execz .LBB6_10538
; %bb.10489:                            ;   in Loop: Header=BB6_5463 Depth=2
	s_waitcnt vmcnt(0)
	v_lshlrev_b32_e32 v8, 5, v9
	v_lshlrev_b32_e32 v9, 5, v18
	v_sub_nc_u32_e32 v8, v16, v8
	v_sub_nc_u32_e32 v8, v8, v9
	v_add_nc_u32_e32 v8, v1, v8
	v_sub_nc_u32_e32 v1, v5, v8
	v_cmp_lt_i32_e32 vcc_lo, 0, v1
	s_and_b32 exec_lo, exec_lo, vcc_lo
	s_cbranch_execz .LBB6_10538
; %bb.10490:                            ;   in Loop: Header=BB6_5463 Depth=2
	s_trap 2
	ds_read_b128 v[9:12], v0
	v_add_nc_u32_e32 v4, v8, v4
	s_bitcmp1_b32 s72, 0
	s_mov_b32 s23, 0
	s_cselect_b32 s73, -1, 0
	v_ashrrev_i32_e32 v5, 31, v4
	s_waitcnt lgkmcnt(0)
	v_add_co_u32 v8, vcc_lo, v9, v4
	v_add_co_ci_u32_e64 v9, null, v10, v5, vcc_lo
	v_add_co_u32 v10, vcc_lo, v11, v4
	v_add_co_ci_u32_e64 v11, null, v12, v5, vcc_lo
	v_mov_b32_e32 v13, v9
	v_mov_b32_e32 v12, v8
	;; [unrolled: 1-line block ×4, first 2 shown]
.LBB6_10491:                            ;   Parent Loop BB6_47 Depth=1
                                        ;     Parent Loop BB6_5463 Depth=2
                                        ; =>    This Loop Header: Depth=3
                                        ;         Child Loop BB6_10528 Depth 4
	flat_load_ubyte v5, v[14:15] slc
	flat_load_ubyte v16, v[12:13] slc
	s_mov_b32 s16, -1
	s_waitcnt vmcnt(1) lgkmcnt(1)
	v_and_b32_e32 v4, 7, v5
	v_bfe_u32 v19, v5, 3, 4
	v_lshlrev_b32_e32 v20, 24, v5
	s_waitcnt vmcnt(0) lgkmcnt(0)
	v_cmp_gt_i16_sdwa s17, v16, v61 src0_sel:BYTE_0 src1_sel:DWORD
	v_ffbh_u32_e32 v17, v4
	v_cmp_eq_u32_e32 vcc_lo, 0, v19
	v_min_u32_e32 v17, 32, v17
	v_subrev_nc_u32_e32 v18, 28, v17
	v_sub_nc_u32_e32 v17, 29, v17
	v_lshlrev_b32_e32 v18, v18, v5
	v_cndmask_b32_e32 v17, v19, v17, vcc_lo
	v_and_b32_e32 v18, 7, v18
	v_lshl_add_u32 v17, v17, 23, 0x3b800000
	v_cndmask_b32_e32 v4, v4, v18, vcc_lo
	v_and_b32_e32 v18, 0x80000000, v20
	s_and_b32 vcc_lo, exec_lo, s73
	v_lshlrev_b32_e32 v4, 20, v4
	v_or3_b32 v4, v18, v17, v4
                                        ; implicit-def: $vgpr17
	s_cbranch_vccz .LBB6_10505
; %bb.10492:                            ;   in Loop: Header=BB6_10491 Depth=3
	s_mov_b32 s16, 0
	s_and_saveexec_b32 s18, s17
	s_xor_b32 s17, exec_lo, s18
	s_cbranch_execz .LBB6_10530
; %bb.10493:                            ;   in Loop: Header=BB6_10491 Depth=3
	v_cmp_eq_u16_sdwa s19, v16, v62 src0_sel:BYTE_0 src1_sel:DWORD
	s_mov_b32 s16, -1
	s_and_saveexec_b32 s18, s19
; %bb.10494:                            ;   in Loop: Header=BB6_10491 Depth=3
	s_xor_b32 s16, exec_lo, -1
; %bb.10495:                            ;   in Loop: Header=BB6_10491 Depth=3
	s_or_b32 exec_lo, exec_lo, s18
	s_and_b32 s16, s16, exec_lo
	s_or_saveexec_b32 s17, s17
	v_mov_b32_e32 v17, 0x7f800001
	s_xor_b32 exec_lo, exec_lo, s17
	s_cbranch_execnz .LBB6_10531
.LBB6_10496:                            ;   in Loop: Header=BB6_10491 Depth=3
	s_or_b32 exec_lo, exec_lo, s17
	s_and_saveexec_b32 s17, s16
	s_cbranch_execz .LBB6_10498
.LBB6_10497:                            ;   in Loop: Header=BB6_10491 Depth=3
	v_and_b32_e32 v17, 7, v16
	v_lshrrev_b16 v19, 3, v16
	v_lshlrev_b32_e32 v21, 24, v16
	v_ffbh_u32_e32 v18, v17
	v_and_b32_e32 v19, 15, v19
	v_min_u32_e32 v18, 32, v18
	v_cmp_eq_u32_e32 vcc_lo, 0, v19
	v_subrev_nc_u32_e32 v20, 28, v18
	v_sub_nc_u32_e32 v18, 29, v18
	v_lshlrev_b32_e32 v20, v20, v16
	v_cndmask_b32_e32 v18, v19, v18, vcc_lo
	v_and_b32_e32 v19, 0x80000000, v21
	v_and_b32_e32 v20, 7, v20
	v_lshl_add_u32 v18, v18, 23, 0x3b800000
	v_cndmask_b32_e32 v17, v17, v20, vcc_lo
	v_lshlrev_b32_e32 v17, 20, v17
	v_or3_b32 v17, v19, v18, v17
.LBB6_10498:                            ;   in Loop: Header=BB6_10491 Depth=3
	s_or_b32 exec_lo, exec_lo, s17
	v_cmp_gt_i16_sdwa s17, v5, v61 src0_sel:BYTE_0 src1_sel:DWORD
	s_mov_b32 s16, 0
	s_and_saveexec_b32 s18, s17
	s_xor_b32 s17, exec_lo, s18
	s_cbranch_execz .LBB6_10532
; %bb.10499:                            ;   in Loop: Header=BB6_10491 Depth=3
	v_cmp_eq_u16_sdwa s19, v5, v62 src0_sel:BYTE_0 src1_sel:DWORD
	s_mov_b32 s16, -1
	s_and_saveexec_b32 s18, s19
; %bb.10500:                            ;   in Loop: Header=BB6_10491 Depth=3
	s_xor_b32 s16, exec_lo, -1
; %bb.10501:                            ;   in Loop: Header=BB6_10491 Depth=3
	s_or_b32 exec_lo, exec_lo, s18
	s_and_b32 s16, s16, exec_lo
	s_or_saveexec_b32 s17, s17
	v_mov_b32_e32 v18, 0x7f800001
	s_xor_b32 exec_lo, exec_lo, s17
	s_cbranch_execnz .LBB6_10533
.LBB6_10502:                            ;   in Loop: Header=BB6_10491 Depth=3
	s_or_b32 exec_lo, exec_lo, s17
	s_and_saveexec_b32 s17, s16
.LBB6_10503:                            ;   in Loop: Header=BB6_10491 Depth=3
	v_mov_b32_e32 v18, v4
.LBB6_10504:                            ;   in Loop: Header=BB6_10491 Depth=3
	s_or_b32 exec_lo, exec_lo, s17
	v_max_f32_e32 v18, v18, v18
	v_max_f32_e32 v17, v17, v17
	s_mov_b32 s16, 0
	v_max_f32_e32 v17, v17, v18
.LBB6_10505:                            ;   in Loop: Header=BB6_10491 Depth=3
	s_and_b32 vcc_lo, exec_lo, s16
	s_cbranch_vccz .LBB6_10519
; %bb.10506:                            ;   in Loop: Header=BB6_10491 Depth=3
	v_cmp_gt_i16_sdwa s17, v16, v61 src0_sel:BYTE_0 src1_sel:DWORD
	s_mov_b32 s16, 0
	s_and_saveexec_b32 s18, s17
	s_xor_b32 s17, exec_lo, s18
	s_cbranch_execz .LBB6_10534
; %bb.10507:                            ;   in Loop: Header=BB6_10491 Depth=3
	v_cmp_eq_u16_sdwa s19, v16, v62 src0_sel:BYTE_0 src1_sel:DWORD
	s_mov_b32 s16, -1
	s_and_saveexec_b32 s18, s19
; %bb.10508:                            ;   in Loop: Header=BB6_10491 Depth=3
	s_xor_b32 s16, exec_lo, -1
; %bb.10509:                            ;   in Loop: Header=BB6_10491 Depth=3
	s_or_b32 exec_lo, exec_lo, s18
	s_and_b32 s16, s16, exec_lo
	s_or_saveexec_b32 s17, s17
	v_mov_b32_e32 v17, 0x7f800001
	s_xor_b32 exec_lo, exec_lo, s17
	s_cbranch_execnz .LBB6_10535
.LBB6_10510:                            ;   in Loop: Header=BB6_10491 Depth=3
	s_or_b32 exec_lo, exec_lo, s17
	s_and_saveexec_b32 s17, s16
	s_cbranch_execz .LBB6_10512
.LBB6_10511:                            ;   in Loop: Header=BB6_10491 Depth=3
	v_and_b32_e32 v17, 7, v16
	v_lshrrev_b16 v19, 3, v16
	v_ffbh_u32_e32 v18, v17
	v_and_b32_e32 v19, 15, v19
	v_min_u32_e32 v18, 32, v18
	v_cmp_eq_u32_e32 vcc_lo, 0, v19
	v_subrev_nc_u32_e32 v20, 28, v18
	v_sub_nc_u32_e32 v18, 29, v18
	v_lshlrev_b32_e32 v20, v20, v16
	v_lshlrev_b32_e32 v16, 24, v16
	v_cndmask_b32_e32 v18, v19, v18, vcc_lo
	v_and_b32_e32 v20, 7, v20
	v_and_b32_e32 v16, 0x80000000, v16
	v_lshl_add_u32 v18, v18, 23, 0x3b800000
	v_cndmask_b32_e32 v17, v17, v20, vcc_lo
	v_lshlrev_b32_e32 v17, 20, v17
	v_or3_b32 v17, v16, v18, v17
.LBB6_10512:                            ;   in Loop: Header=BB6_10491 Depth=3
	s_or_b32 exec_lo, exec_lo, s17
	v_cmp_gt_i16_sdwa s17, v5, v61 src0_sel:BYTE_0 src1_sel:DWORD
	s_mov_b32 s16, 0
	s_and_saveexec_b32 s18, s17
	s_xor_b32 s17, exec_lo, s18
	s_cbranch_execz .LBB6_10536
; %bb.10513:                            ;   in Loop: Header=BB6_10491 Depth=3
	v_cmp_eq_u16_sdwa s19, v5, v62 src0_sel:BYTE_0 src1_sel:DWORD
	s_mov_b32 s16, -1
	s_and_saveexec_b32 s18, s19
; %bb.10514:                            ;   in Loop: Header=BB6_10491 Depth=3
	s_xor_b32 s16, exec_lo, -1
; %bb.10515:                            ;   in Loop: Header=BB6_10491 Depth=3
	s_or_b32 exec_lo, exec_lo, s18
	s_and_b32 s16, s16, exec_lo
                                        ; implicit-def: $vgpr5
	s_or_saveexec_b32 s17, s17
	v_mov_b32_e32 v16, 0x7f800001
	s_xor_b32 exec_lo, exec_lo, s17
	s_cbranch_execnz .LBB6_10537
.LBB6_10516:                            ;   in Loop: Header=BB6_10491 Depth=3
	s_or_b32 exec_lo, exec_lo, s17
	s_and_saveexec_b32 s17, s16
.LBB6_10517:                            ;   in Loop: Header=BB6_10491 Depth=3
	v_mov_b32_e32 v16, v4
.LBB6_10518:                            ;   in Loop: Header=BB6_10491 Depth=3
	s_or_b32 exec_lo, exec_lo, s17
	v_max_f32_e32 v4, v16, v16
	v_max_f32_e32 v5, v17, v17
	v_min_f32_e32 v17, v5, v4
.LBB6_10519:                            ;   in Loop: Header=BB6_10491 Depth=3
	v_and_b32_e32 v4, 0x7f800000, v17
	v_cmp_ne_u32_e32 vcc_lo, 0x7f800000, v4
	v_mov_b32_e32 v4, 0x80
	s_and_saveexec_b32 s17, vcc_lo
	s_cbranch_execz .LBB6_10527
; %bb.10520:                            ;   in Loop: Header=BB6_10491 Depth=3
	v_mov_b32_e32 v4, 0
	s_mov_b32 s18, exec_lo
	v_cmpx_ne_u32_e32 0, v17
	s_cbranch_execz .LBB6_10526
; %bb.10521:                            ;   in Loop: Header=BB6_10491 Depth=3
	v_bfe_u32 v4, v17, 23, 8
	v_and_b32_e32 v5, 0x7fffff, v17
	v_sub_nc_u32_e32 v16, 0x78, v4
	v_cmp_gt_u32_e32 vcc_lo, 0x79, v4
	v_or_b32_e32 v18, 0x800000, v5
	v_cndmask_b32_e32 v16, 0, v16, vcc_lo
	v_cmp_eq_u32_e32 vcc_lo, 0, v4
	v_add_nc_u32_e32 v4, 0xffffff89, v4
	v_cndmask_b32_e64 v16, v16, 0x77, vcc_lo
	v_cndmask_b32_e32 v5, v18, v5, vcc_lo
	v_cndmask_b32_e64 v4, v4, 0xffffff8a, vcc_lo
	v_lshl_add_u32 v18, 0x100000, v16, -1
	v_lshrrev_b32_e32 v19, v16, v5
	v_lshlrev_b32_e64 v21, v16, 0x80000
	v_add_nc_u32_e32 v16, v16, v4
	v_and_b32_e32 v5, v18, v5
	v_bfe_u32 v20, v19, 20, 1
	v_cmp_eq_u32_e64 s16, v5, v21
	v_add_nc_u32_e32 v18, -1, v20
	v_cndmask_b32_e64 v5, 0, v18, s16
	v_lshrrev_b32_e32 v18, 23, v19
	s_mov_b32 s16, exec_lo
	v_add_nc_u32_e32 v5, v5, v19
	v_xor_b32_e32 v18, 1, v18
	v_and_b32_e32 v4, 0xfffff, v5
	v_add_nc_u32_e32 v5, v4, v19
                                        ; implicit-def: $vgpr4
	v_cmpx_ne_u32_e64 v16, v18
	s_xor_b32 s16, exec_lo, s16
; %bb.10522:                            ;   in Loop: Header=BB6_10491 Depth=3
	v_cmp_lt_u32_e32 vcc_lo, 0xffffff, v5
	v_sub_nc_u32_e32 v4, v16, v18
	v_cndmask_b32_e64 v16, 0, 1, vcc_lo
	v_add_co_ci_u32_e64 v4, null, 0, v4, vcc_lo
	v_lshrrev_b32_e32 v5, v16, v5
; %bb.10523:                            ;   in Loop: Header=BB6_10491 Depth=3
	s_andn2_saveexec_b32 s16, s16
; %bb.10524:                            ;   in Loop: Header=BB6_10491 Depth=3
	v_bfe_u32 v4, v5, 23, 1
; %bb.10525:                            ;   in Loop: Header=BB6_10491 Depth=3
	s_or_b32 exec_lo, exec_lo, s16
	v_lshrrev_b32_e32 v5, 20, v5
	v_cmp_gt_i32_e32 vcc_lo, 16, v4
	v_min_i32_e32 v16, 15, v4
	v_and_b32_sdwa v17, v17, v62 dst_sel:DWORD dst_unused:UNUSED_PAD src0_sel:BYTE_3 src1_sel:DWORD
	v_cndmask_b32_e32 v5, 7, v5, vcc_lo
	v_lshlrev_b32_e32 v16, 3, v16
	v_and_b32_e32 v18, 7, v5
	v_or_b32_e32 v4, v4, v5
	v_or3_b32 v5, v16, v17, v18
	v_cmp_ne_u32_e32 vcc_lo, 0, v4
	v_cndmask_b32_e32 v4, 0, v5, vcc_lo
.LBB6_10526:                            ;   in Loop: Header=BB6_10491 Depth=3
	s_or_b32 exec_lo, exec_lo, s18
.LBB6_10527:                            ;   in Loop: Header=BB6_10491 Depth=3
	s_or_b32 exec_lo, exec_lo, s17
	s_mov_b64 s[18:19], 0
	s_mov_b32 s74, -1
	.p2align	6
.LBB6_10528:                            ;   Parent Loop BB6_47 Depth=1
                                        ;     Parent Loop BB6_5463 Depth=2
                                        ;       Parent Loop BB6_10491 Depth=3
                                        ; =>      This Inner Loop Header: Depth=4
	s_cmp_eq_u32 s18, 1
	s_cselect_b32 vcc_lo, -1, 0
	s_cmp_eq_u32 s18, 0
	v_cndmask_b32_e32 v16, v8, v10, vcc_lo
	v_cndmask_b32_e32 v17, v9, v11, vcc_lo
	s_mov_b64 s[18:19], 1
	v_add_co_u32 v5, s16, v16, 32
	v_add_co_ci_u32_e64 v18, null, 0, v17, s16
	s_cselect_b32 s16, -1, 0
	v_cndmask_b32_e32 v10, v10, v5, vcc_lo
	v_cndmask_b32_e64 v8, v8, v5, s16
	v_cndmask_b32_e32 v11, v11, v18, vcc_lo
	v_cndmask_b32_e64 v9, v9, v18, s16
	s_and_b32 s17, exec_lo, s74
	s_mov_b32 s74, 0
	s_mov_b32 vcc_lo, s17
	flat_store_byte v[16:17], v4 glc slc
	s_cbranch_vccnz .LBB6_10528
; %bb.10529:                            ;   in Loop: Header=BB6_10491 Depth=3
	v_add_co_u32 v12, vcc_lo, v12, v93
	v_sub_nc_u32_e32 v1, v1, v58
	v_add_co_ci_u32_e64 v13, null, v13, v94, vcc_lo
	v_add_co_u32 v14, vcc_lo, v14, v93
	v_add_co_ci_u32_e64 v15, null, v15, v94, vcc_lo
	v_add_co_u32 v8, vcc_lo, v8, v79
	v_add_co_ci_u32_e64 v9, null, v9, v90, vcc_lo
	v_cmp_gt_i32_e32 vcc_lo, 1, v1
	v_add_co_u32 v10, s16, v10, v79
	v_add_co_ci_u32_e64 v11, null, v11, v90, s16
	s_or_b32 s23, vcc_lo, s23
	s_andn2_b32 exec_lo, exec_lo, s23
	s_cbranch_execnz .LBB6_10491
	s_branch .LBB6_10538
.LBB6_10530:                            ;   in Loop: Header=BB6_10491 Depth=3
	s_or_saveexec_b32 s17, s17
	v_mov_b32_e32 v17, 0x7f800001
	s_xor_b32 exec_lo, exec_lo, s17
	s_cbranch_execz .LBB6_10496
.LBB6_10531:                            ;   in Loop: Header=BB6_10491 Depth=3
	v_cmp_ne_u16_sdwa s18, v16, v2 src0_sel:BYTE_0 src1_sel:DWORD
	v_mov_b32_e32 v17, 0
	s_andn2_b32 s16, s16, exec_lo
	s_and_b32 s18, s18, exec_lo
	s_or_b32 s16, s16, s18
	s_or_b32 exec_lo, exec_lo, s17
	s_and_saveexec_b32 s17, s16
	s_cbranch_execnz .LBB6_10497
	s_branch .LBB6_10498
.LBB6_10532:                            ;   in Loop: Header=BB6_10491 Depth=3
	s_or_saveexec_b32 s17, s17
	v_mov_b32_e32 v18, 0x7f800001
	s_xor_b32 exec_lo, exec_lo, s17
	s_cbranch_execz .LBB6_10502
.LBB6_10533:                            ;   in Loop: Header=BB6_10491 Depth=3
	v_cmp_ne_u16_sdwa s18, v5, v2 src0_sel:BYTE_0 src1_sel:DWORD
	v_mov_b32_e32 v18, 0
	s_andn2_b32 s16, s16, exec_lo
	s_and_b32 s18, s18, exec_lo
	s_or_b32 s16, s16, s18
	s_or_b32 exec_lo, exec_lo, s17
	s_and_saveexec_b32 s17, s16
	s_cbranch_execnz .LBB6_10503
	s_branch .LBB6_10504
.LBB6_10534:                            ;   in Loop: Header=BB6_10491 Depth=3
	s_or_saveexec_b32 s17, s17
	v_mov_b32_e32 v17, 0x7f800001
	s_xor_b32 exec_lo, exec_lo, s17
	s_cbranch_execz .LBB6_10510
.LBB6_10535:                            ;   in Loop: Header=BB6_10491 Depth=3
	v_cmp_ne_u16_sdwa s18, v16, v2 src0_sel:BYTE_0 src1_sel:DWORD
	v_mov_b32_e32 v17, 0
	s_andn2_b32 s16, s16, exec_lo
	s_and_b32 s18, s18, exec_lo
	s_or_b32 s16, s16, s18
	s_or_b32 exec_lo, exec_lo, s17
	s_and_saveexec_b32 s17, s16
	s_cbranch_execnz .LBB6_10511
	s_branch .LBB6_10512
.LBB6_10536:                            ;   in Loop: Header=BB6_10491 Depth=3
	s_or_saveexec_b32 s17, s17
	v_mov_b32_e32 v16, 0x7f800001
	s_xor_b32 exec_lo, exec_lo, s17
	s_cbranch_execz .LBB6_10516
.LBB6_10537:                            ;   in Loop: Header=BB6_10491 Depth=3
	v_cmp_ne_u16_sdwa s18, v5, v2 src0_sel:BYTE_0 src1_sel:DWORD
	v_mov_b32_e32 v16, 0
	s_andn2_b32 s16, s16, exec_lo
	s_and_b32 s18, s18, exec_lo
	s_or_b32 s16, s16, s18
	s_or_b32 exec_lo, exec_lo, s17
	s_and_saveexec_b32 s17, s16
	s_cbranch_execnz .LBB6_10517
	s_branch .LBB6_10518
.LBB6_10538:                            ;   in Loop: Header=BB6_5463 Depth=2
	s_or_b32 exec_lo, exec_lo, s22
	buffer_load_dword v5, off, s[0:3], s33 offset:216 ; 4-byte Folded Reload
	s_mov_b32 s16, 0
.LBB6_10539:                            ;   in Loop: Header=BB6_5463 Depth=2
	s_and_b32 vcc_lo, exec_lo, s16
	s_cbranch_vccnz .LBB6_10540
; %bb.16215:                            ;   in Loop: Header=BB6_5463 Depth=2
	s_getpc_b64 s[34:35]
.Lpost_getpc48:
	s_add_u32 s34, s34, (.LBB6_15538-.Lpost_getpc48)&4294967295
	s_addc_u32 s35, s35, (.LBB6_15538-.Lpost_getpc48)>>32
	s_setpc_b64 s[34:35]
.LBB6_10540:                            ;   in Loop: Header=BB6_5463 Depth=2
	s_mov_b32 s16, -1
	s_and_saveexec_b32 s17, s14
	s_cbranch_execz .LBB6_10542
; %bb.10541:                            ;   in Loop: Header=BB6_5463 Depth=2
	ds_read_b32 v1, v0 offset:720
	s_waitcnt lgkmcnt(0)
	v_and_b32_e32 v1, 15, v1
	v_cmp_eq_u32_e32 vcc_lo, 0, v1
	s_orn2_b32 s16, vcc_lo, exec_lo
.LBB6_10542:                            ;   in Loop: Header=BB6_5463 Depth=2
	s_or_b32 exec_lo, exec_lo, s17
	s_and_saveexec_b32 s17, s12
	s_cbranch_execz .LBB6_10544
; %bb.10543:                            ;   in Loop: Header=BB6_5463 Depth=2
	ds_read_b32 v1, v0 offset:784
	s_waitcnt lgkmcnt(0)
	v_and_b32_e32 v1, 15, v1
	v_cmp_eq_u32_e32 vcc_lo, 0, v1
	s_and_b32 s18, s16, vcc_lo
	s_andn2_b32 s16, s16, exec_lo
	s_and_b32 s18, s18, exec_lo
	s_or_b32 s16, s16, s18
.LBB6_10544:                            ;   in Loop: Header=BB6_5463 Depth=2
	s_or_b32 exec_lo, exec_lo, s17
	s_xor_b32 s16, s16, -1
	v_mov_b32_e32 v4, 0
	v_cndmask_b32_e64 v1, 0, 1, s16
	v_mov_b32_e32 v14, v0
	s_mov_b32 s16, -1
	v_cmp_ne_u32_e32 vcc_lo, 0, v1
	s_cbranch_vccz .LBB6_10546
; %bb.10545:                            ;   in Loop: Header=BB6_5463 Depth=2
	s_and_saveexec_b32 s17, s16
	s_cbranch_execnz .LBB6_14077
; %bb.16167:                            ;   in Loop: Header=BB6_5463 Depth=2
	s_getpc_b64 s[34:35]
.Lpost_getpc24:
	s_add_u32 s34, s34, (.LBB6_15537-.Lpost_getpc24)&4294967295
	s_addc_u32 s35, s35, (.LBB6_15537-.Lpost_getpc24)>>32
	s_setpc_b64 s[34:35]
.LBB6_10546:                            ;   in Loop: Header=BB6_5463 Depth=2
	buffer_load_dword v4, off, s[0:3], s33 offset:216 ; 4-byte Folded Reload
	s_mov_b32 s17, exec_lo
	s_waitcnt vmcnt(0)
	v_ashrrev_i32_e32 v1, 31, v4
	v_lshrrev_b32_e32 v1, 21, v1
	v_add_nc_u32_e32 v1, v4, v1
	v_ashrrev_i32_e32 v41, 11, v1
	v_lshrrev_b32_e32 v1, 5, v0
	v_sub_nc_u32_e32 v40, v41, v1
	v_cmpx_lt_i32_e32 0, v40
	s_cbranch_execz .LBB6_13366
; %bb.10547:                            ;   in Loop: Header=BB6_5463 Depth=2
	s_trap 2
	buffer_load_dword v1, off, s[0:3], s33 offset:212 ; 4-byte Folded Reload
	ds_read_b64 v[4:5], v0
	s_bitcmp1_b32 s72, 0
	s_mov_b32 s18, 0
	s_cselect_b32 s19, -1, 0
	s_waitcnt vmcnt(0)
	v_add_co_u32 v114, vcc_lo, v101, v1
	v_add_co_ci_u32_e64 v115, null, 0, v102, vcc_lo
	s_waitcnt lgkmcnt(0)
	v_add_co_u32 v116, vcc_lo, v4, v1
	v_add_co_ci_u32_e64 v117, null, 0, v5, vcc_lo
	s_clause 0x1
	buffer_load_dword v4, off, s[0:3], s33 offset:220
	buffer_load_dword v5, off, s[0:3], s33 offset:224
	s_waitcnt vmcnt(1)
	v_add_co_u32 v118, vcc_lo, v4, v1
	s_waitcnt vmcnt(0)
	v_add_co_ci_u32_e64 v119, null, 0, v5, vcc_lo
	s_branch .LBB6_10551
.LBB6_10548:                            ;   in Loop: Header=BB6_10551 Depth=3
	s_or_b32 exec_lo, exec_lo, s16
	v_lshrrev_b32_e32 v15, 20, v60
	v_min_i32_e32 v86, 15, v74
	v_cmp_gt_i32_e32 vcc_lo, 16, v74
	v_and_b32_sdwa v11, v46, v62 dst_sel:DWORD dst_unused:UNUSED_PAD src0_sel:BYTE_3 src1_sel:DWORD
	v_lshlrev_b32_e32 v86, 3, v86
	v_cndmask_b32_e32 v15, 7, v15, vcc_lo
	v_and_b32_e32 v86, 0xf8, v86
	v_or_b32_e32 v87, v74, v15
	v_and_b32_e32 v15, 7, v15
	v_cmp_ne_u32_e32 vcc_lo, 0, v87
	v_or3_b32 v11, v11, v86, v15
	v_lshlrev_b32_e32 v11, 8, v11
	v_cndmask_b32_e32 v11, 0, v11, vcc_lo
.LBB6_10549:                            ;   in Loop: Header=BB6_10551 Depth=3
	s_or_b32 exec_lo, exec_lo, s23
.LBB6_10550:                            ;   in Loop: Header=BB6_10551 Depth=3
	s_or_b32 exec_lo, exec_lo, s22
	v_or_b32_sdwa v15, v37, v120 dst_sel:WORD_1 dst_unused:UNUSED_PAD src0_sel:DWORD src1_sel:DWORD
	v_or_b32_sdwa v1, v1, v31 dst_sel:WORD_1 dst_unused:UNUSED_PAD src0_sel:DWORD src1_sel:DWORD
	;; [unrolled: 1-line block ×3, first 2 shown]
	v_sub_nc_u32_e32 v40, v40, v47
	v_add_co_u32 v114, vcc_lo, v114, v78
	v_or3_b32 v37, v111, v48, v15
	v_or_b32_sdwa v15, v38, v122 dst_sel:WORD_1 dst_unused:UNUSED_PAD src0_sel:DWORD src1_sel:DWORD
	v_or3_b32 v36, v43, v42, v36
	v_add_co_ci_u32_e64 v115, null, 0, v115, vcc_lo
	v_add_co_u32 v116, vcc_lo, v116, v78
	v_or3_b32 v38, v121, v49, v15
	v_or_b32_sdwa v15, v39, v53 dst_sel:WORD_1 dst_unused:UNUSED_PAD src0_sel:DWORD src1_sel:DWORD
	v_add_co_ci_u32_e64 v117, null, 0, v117, vcc_lo
	v_cmp_gt_i32_e32 vcc_lo, 1, v40
	v_or3_b32 v39, v52, v50, v15
	v_or_b32_sdwa v15, v17, v83 dst_sel:WORD_1 dst_unused:UNUSED_PAD src0_sel:DWORD src1_sel:DWORD
	v_or_b32_sdwa v17, v16, v35 dst_sel:WORD_1 dst_unused:UNUSED_PAD src0_sel:DWORD src1_sel:DWORD
	s_or_b32 s18, vcc_lo, s18
	global_store_dwordx4 v[118:119], v[36:39], off glc slc
	v_or3_b32 v16, v82, v20, v15
	v_or3_b32 v15, v27, v5, v17
	;; [unrolled: 1-line block ×3, first 2 shown]
	v_or_b32_sdwa v1, v19, v124 dst_sel:WORD_1 dst_unused:UNUSED_PAD src0_sel:DWORD src1_sel:DWORD
	v_or_b32_sdwa v5, v24, v30 dst_sel:WORD_1 dst_unused:UNUSED_PAD src0_sel:DWORD src1_sel:DWORD
	v_or3_b32 v18, v22, v18, v1
	v_or_b32_sdwa v1, v25, v55 dst_sel:WORD_1 dst_unused:UNUSED_PAD src0_sel:DWORD src1_sel:DWORD
	v_or3_b32 v19, v123, v51, v5
	v_or3_b32 v20, v54, v32, v1
	v_or_b32_sdwa v1, v26, v33 dst_sel:WORD_1 dst_unused:UNUSED_PAD src0_sel:DWORD src1_sel:DWORD
	v_or3_b32 v21, v29, v28, v1
	v_or_b32_sdwa v1, v4, v85 dst_sel:WORD_1 dst_unused:UNUSED_PAD src0_sel:DWORD src1_sel:DWORD
	v_or_b32_sdwa v4, v8, v108 dst_sel:WORD_1 dst_unused:UNUSED_PAD src0_sel:DWORD src1_sel:DWORD
	v_or3_b32 v22, v84, v34, v1
	v_or_b32_sdwa v1, v9, v109 dst_sel:WORD_1 dst_unused:UNUSED_PAD src0_sel:DWORD src1_sel:DWORD
	v_or3_b32 v8, v107, v23, v4
	v_or3_b32 v9, v57, v12, v1
	v_or_b32_sdwa v1, v10, v99 dst_sel:WORD_1 dst_unused:UNUSED_PAD src0_sel:DWORD src1_sel:DWORD
	v_or3_b32 v10, v98, v13, v1
	v_or_b32_sdwa v1, v11, v113 dst_sel:WORD_1 dst_unused:UNUSED_PAD src0_sel:DWORD src1_sel:DWORD
	v_or3_b32 v11, v112, v14, v1
	global_store_dwordx4 v[118:119], v[19:22], off offset:512 glc slc
	global_store_dwordx4 v[118:119], v[15:18], off offset:1024 glc slc
	;; [unrolled: 1-line block ×3, first 2 shown]
	v_add_co_u32 v118, s16, v118, v78
	v_add_co_ci_u32_e64 v119, null, 0, v119, s16
	s_andn2_b32 exec_lo, exec_lo, s18
	s_cbranch_execz .LBB6_13365
.LBB6_10551:                            ;   Parent Loop BB6_47 Depth=1
                                        ;     Parent Loop BB6_5463 Depth=2
                                        ; =>    This Inner Loop Header: Depth=3
	s_clause 0x3
	global_load_dwordx4 v[48:51], v[114:115], off slc
	global_load_dwordx4 v[32:35], v[114:115], off offset:512 slc
	global_load_dwordx4 v[20:23], v[114:115], off offset:1024 slc
	;; [unrolled: 1-line block ×3, first 2 shown]
	s_clause 0x3
	global_load_dwordx4 v[36:39], v[116:117], off slc
	global_load_dwordx4 v[24:27], v[116:117], off offset:512 slc
	global_load_dwordx4 v[16:19], v[116:117], off offset:1024 slc
	;; [unrolled: 1-line block ×3, first 2 shown]
	s_and_b32 vcc_lo, exec_lo, s19
	s_mov_b32 s16, -1
                                        ; implicit-def: $vgpr1
	s_waitcnt vmcnt(7)
	v_cmp_gt_i16_sdwa s22, v48, v61 src0_sel:BYTE_0 src1_sel:DWORD
	s_cbranch_vccz .LBB6_10565
; %bb.10552:                            ;   in Loop: Header=BB6_10551 Depth=3
	s_mov_b32 s16, 0
	s_and_saveexec_b32 s23, s22
	s_xor_b32 s22, exec_lo, s23
	s_cbranch_execz .LBB6_12853
; %bb.10553:                            ;   in Loop: Header=BB6_10551 Depth=3
	v_cmp_eq_u16_sdwa s73, v48, v62 src0_sel:BYTE_0 src1_sel:DWORD
	s_mov_b32 s16, -1
	s_and_saveexec_b32 s23, s73
; %bb.10554:                            ;   in Loop: Header=BB6_10551 Depth=3
	s_xor_b32 s16, exec_lo, -1
; %bb.10555:                            ;   in Loop: Header=BB6_10551 Depth=3
	s_or_b32 exec_lo, exec_lo, s23
	s_and_b32 s16, s16, exec_lo
	s_or_saveexec_b32 s22, s22
	v_mov_b32_e32 v1, 0x7f800001
	s_xor_b32 exec_lo, exec_lo, s22
	s_cbranch_execnz .LBB6_12854
.LBB6_10556:                            ;   in Loop: Header=BB6_10551 Depth=3
	s_or_b32 exec_lo, exec_lo, s22
	s_and_saveexec_b32 s22, s16
	s_cbranch_execz .LBB6_10558
.LBB6_10557:                            ;   in Loop: Header=BB6_10551 Depth=3
	v_and_b32_e32 v1, 7, v48
	v_bfe_u32 v28, v48, 3, 4
	v_lshlrev_b32_e32 v29, 24, v48
	v_ffbh_u32_e32 v4, v1
	v_cmp_eq_u32_e32 vcc_lo, 0, v28
	v_min_u32_e32 v4, 32, v4
	v_subrev_nc_u32_e32 v5, 28, v4
	v_sub_nc_u32_e32 v4, 29, v4
	v_lshlrev_b32_e32 v5, v5, v48
	v_cndmask_b32_e32 v4, v28, v4, vcc_lo
	v_and_b32_e32 v5, 7, v5
	v_lshl_add_u32 v4, v4, 23, 0x3b800000
	v_cndmask_b32_e32 v1, v1, v5, vcc_lo
	v_and_b32_e32 v5, 0x80000000, v29
	v_lshlrev_b32_e32 v1, 20, v1
	v_or3_b32 v1, v5, v4, v1
.LBB6_10558:                            ;   in Loop: Header=BB6_10551 Depth=3
	s_or_b32 exec_lo, exec_lo, s22
	s_waitcnt vmcnt(3)
	v_cmp_gt_i16_sdwa s22, v36, v61 src0_sel:BYTE_0 src1_sel:DWORD
	s_mov_b32 s16, 0
	s_and_saveexec_b32 s23, s22
	s_xor_b32 s22, exec_lo, s23
	s_cbranch_execz .LBB6_12855
; %bb.10559:                            ;   in Loop: Header=BB6_10551 Depth=3
	v_cmp_eq_u16_sdwa s73, v36, v62 src0_sel:BYTE_0 src1_sel:DWORD
	s_mov_b32 s16, -1
	s_and_saveexec_b32 s23, s73
; %bb.10560:                            ;   in Loop: Header=BB6_10551 Depth=3
	s_xor_b32 s16, exec_lo, -1
; %bb.10561:                            ;   in Loop: Header=BB6_10551 Depth=3
	s_or_b32 exec_lo, exec_lo, s23
	s_and_b32 s16, s16, exec_lo
	s_or_saveexec_b32 s22, s22
	v_mov_b32_e32 v4, 0x7f800001
	s_xor_b32 exec_lo, exec_lo, s22
	s_cbranch_execnz .LBB6_12856
.LBB6_10562:                            ;   in Loop: Header=BB6_10551 Depth=3
	s_or_b32 exec_lo, exec_lo, s22
	s_and_saveexec_b32 s22, s16
	s_cbranch_execz .LBB6_10564
.LBB6_10563:                            ;   in Loop: Header=BB6_10551 Depth=3
	v_and_b32_e32 v4, 7, v36
	v_bfe_u32 v29, v36, 3, 4
	v_lshlrev_b32_e32 v30, 24, v36
	v_ffbh_u32_e32 v5, v4
	v_cmp_eq_u32_e32 vcc_lo, 0, v29
	v_min_u32_e32 v5, 32, v5
	v_subrev_nc_u32_e32 v28, 28, v5
	v_sub_nc_u32_e32 v5, 29, v5
	v_lshlrev_b32_e32 v28, v28, v36
	v_cndmask_b32_e32 v5, v29, v5, vcc_lo
	v_and_b32_e32 v28, 7, v28
	v_lshl_add_u32 v5, v5, 23, 0x3b800000
	v_cndmask_b32_e32 v4, v4, v28, vcc_lo
	v_and_b32_e32 v28, 0x80000000, v30
	v_lshlrev_b32_e32 v4, 20, v4
	v_or3_b32 v4, v28, v5, v4
.LBB6_10564:                            ;   in Loop: Header=BB6_10551 Depth=3
	s_or_b32 exec_lo, exec_lo, s22
	v_max_f32_e32 v4, v4, v4
	v_max_f32_e32 v1, v1, v1
	s_mov_b32 s16, 0
	v_max_f32_e32 v1, v1, v4
.LBB6_10565:                            ;   in Loop: Header=BB6_10551 Depth=3
	s_and_b32 vcc_lo, exec_lo, s16
	s_cbranch_vccz .LBB6_10579
; %bb.10566:                            ;   in Loop: Header=BB6_10551 Depth=3
	v_cmp_gt_i16_sdwa s22, v48, v61 src0_sel:BYTE_0 src1_sel:DWORD
	s_mov_b32 s16, 0
	s_and_saveexec_b32 s23, s22
	s_xor_b32 s22, exec_lo, s23
	s_cbranch_execz .LBB6_12857
; %bb.10567:                            ;   in Loop: Header=BB6_10551 Depth=3
	v_cmp_eq_u16_sdwa s73, v48, v62 src0_sel:BYTE_0 src1_sel:DWORD
	s_mov_b32 s16, -1
	s_and_saveexec_b32 s23, s73
; %bb.10568:                            ;   in Loop: Header=BB6_10551 Depth=3
	s_xor_b32 s16, exec_lo, -1
; %bb.10569:                            ;   in Loop: Header=BB6_10551 Depth=3
	s_or_b32 exec_lo, exec_lo, s23
	s_and_b32 s16, s16, exec_lo
	s_or_saveexec_b32 s22, s22
	v_mov_b32_e32 v1, 0x7f800001
	s_xor_b32 exec_lo, exec_lo, s22
	s_cbranch_execnz .LBB6_12858
.LBB6_10570:                            ;   in Loop: Header=BB6_10551 Depth=3
	s_or_b32 exec_lo, exec_lo, s22
	s_and_saveexec_b32 s22, s16
	s_cbranch_execz .LBB6_10572
.LBB6_10571:                            ;   in Loop: Header=BB6_10551 Depth=3
	v_and_b32_e32 v1, 7, v48
	v_bfe_u32 v28, v48, 3, 4
	v_lshlrev_b32_e32 v29, 24, v48
	v_ffbh_u32_e32 v4, v1
	v_cmp_eq_u32_e32 vcc_lo, 0, v28
	v_min_u32_e32 v4, 32, v4
	v_subrev_nc_u32_e32 v5, 28, v4
	v_sub_nc_u32_e32 v4, 29, v4
	v_lshlrev_b32_e32 v5, v5, v48
	v_cndmask_b32_e32 v4, v28, v4, vcc_lo
	v_and_b32_e32 v5, 7, v5
	v_lshl_add_u32 v4, v4, 23, 0x3b800000
	v_cndmask_b32_e32 v1, v1, v5, vcc_lo
	v_and_b32_e32 v5, 0x80000000, v29
	v_lshlrev_b32_e32 v1, 20, v1
	v_or3_b32 v1, v5, v4, v1
.LBB6_10572:                            ;   in Loop: Header=BB6_10551 Depth=3
	s_or_b32 exec_lo, exec_lo, s22
	s_waitcnt vmcnt(3)
	v_cmp_gt_i16_sdwa s22, v36, v61 src0_sel:BYTE_0 src1_sel:DWORD
	s_mov_b32 s16, 0
	s_and_saveexec_b32 s23, s22
	s_xor_b32 s22, exec_lo, s23
	s_cbranch_execz .LBB6_12859
; %bb.10573:                            ;   in Loop: Header=BB6_10551 Depth=3
	v_cmp_eq_u16_sdwa s73, v36, v62 src0_sel:BYTE_0 src1_sel:DWORD
	s_mov_b32 s16, -1
	s_and_saveexec_b32 s23, s73
; %bb.10574:                            ;   in Loop: Header=BB6_10551 Depth=3
	s_xor_b32 s16, exec_lo, -1
; %bb.10575:                            ;   in Loop: Header=BB6_10551 Depth=3
	s_or_b32 exec_lo, exec_lo, s23
	s_and_b32 s16, s16, exec_lo
	s_or_saveexec_b32 s22, s22
	v_mov_b32_e32 v4, 0x7f800001
	s_xor_b32 exec_lo, exec_lo, s22
	s_cbranch_execnz .LBB6_12860
.LBB6_10576:                            ;   in Loop: Header=BB6_10551 Depth=3
	s_or_b32 exec_lo, exec_lo, s22
	s_and_saveexec_b32 s22, s16
	s_cbranch_execz .LBB6_10578
.LBB6_10577:                            ;   in Loop: Header=BB6_10551 Depth=3
	v_and_b32_e32 v4, 7, v36
	v_bfe_u32 v29, v36, 3, 4
	v_lshlrev_b32_e32 v30, 24, v36
	v_ffbh_u32_e32 v5, v4
	v_cmp_eq_u32_e32 vcc_lo, 0, v29
	v_min_u32_e32 v5, 32, v5
	v_subrev_nc_u32_e32 v28, 28, v5
	v_sub_nc_u32_e32 v5, 29, v5
	v_lshlrev_b32_e32 v28, v28, v36
	v_cndmask_b32_e32 v5, v29, v5, vcc_lo
	v_and_b32_e32 v28, 7, v28
	v_lshl_add_u32 v5, v5, 23, 0x3b800000
	v_cndmask_b32_e32 v4, v4, v28, vcc_lo
	v_and_b32_e32 v28, 0x80000000, v30
	v_lshlrev_b32_e32 v4, 20, v4
	v_or3_b32 v4, v28, v5, v4
.LBB6_10578:                            ;   in Loop: Header=BB6_10551 Depth=3
	s_or_b32 exec_lo, exec_lo, s22
	v_max_f32_e32 v4, v4, v4
	v_max_f32_e32 v1, v1, v1
	v_min_f32_e32 v1, v1, v4
.LBB6_10579:                            ;   in Loop: Header=BB6_10551 Depth=3
	v_and_b32_e32 v4, 0x7f800000, v1
	v_mov_b32_e32 v42, 0x80
	s_mov_b32 s22, exec_lo
	v_cmpx_ne_u32_e32 0x7f800000, v4
	s_cbranch_execz .LBB6_10587
; %bb.10580:                            ;   in Loop: Header=BB6_10551 Depth=3
	v_mov_b32_e32 v42, 0
	s_mov_b32 s23, exec_lo
	v_cmpx_ne_u32_e32 0, v1
	s_cbranch_execz .LBB6_10586
; %bb.10581:                            ;   in Loop: Header=BB6_10551 Depth=3
	v_bfe_u32 v4, v1, 23, 8
	v_and_b32_e32 v5, 0x7fffff, v1
	v_sub_nc_u32_e32 v28, 0x78, v4
	v_cmp_gt_u32_e32 vcc_lo, 0x79, v4
	v_or_b32_e32 v29, 0x800000, v5
	v_cndmask_b32_e32 v28, 0, v28, vcc_lo
	v_cmp_eq_u32_e32 vcc_lo, 0, v4
	v_add_nc_u32_e32 v4, 0xffffff89, v4
	v_cndmask_b32_e64 v28, v28, 0x77, vcc_lo
	v_cndmask_b32_e32 v5, v29, v5, vcc_lo
	v_cndmask_b32_e64 v4, v4, 0xffffff8a, vcc_lo
	v_lshl_add_u32 v29, 0x100000, v28, -1
	v_lshrrev_b32_e32 v30, v28, v5
	v_lshlrev_b32_e64 v52, v28, 0x80000
	v_add_nc_u32_e32 v28, v28, v4
	v_and_b32_e32 v5, v29, v5
	v_bfe_u32 v31, v30, 20, 1
	v_cmp_eq_u32_e64 s16, v5, v52
	v_add_nc_u32_e32 v29, -1, v31
	v_cndmask_b32_e64 v5, 0, v29, s16
	v_lshrrev_b32_e32 v29, 23, v30
	s_mov_b32 s16, exec_lo
	v_add_nc_u32_e32 v5, v5, v30
	v_xor_b32_e32 v29, 1, v29
	v_and_b32_e32 v4, 0xfffff, v5
	v_add_nc_u32_e32 v5, v4, v30
                                        ; implicit-def: $vgpr4
	v_cmpx_ne_u32_e64 v28, v29
	s_xor_b32 s16, exec_lo, s16
; %bb.10582:                            ;   in Loop: Header=BB6_10551 Depth=3
	v_cmp_lt_u32_e32 vcc_lo, 0xffffff, v5
	v_sub_nc_u32_e32 v4, v28, v29
	v_cndmask_b32_e64 v28, 0, 1, vcc_lo
	v_add_co_ci_u32_e64 v4, null, 0, v4, vcc_lo
	v_lshrrev_b32_e32 v5, v28, v5
; %bb.10583:                            ;   in Loop: Header=BB6_10551 Depth=3
	s_andn2_saveexec_b32 s16, s16
; %bb.10584:                            ;   in Loop: Header=BB6_10551 Depth=3
	v_bfe_u32 v4, v5, 23, 1
; %bb.10585:                            ;   in Loop: Header=BB6_10551 Depth=3
	s_or_b32 exec_lo, exec_lo, s16
	v_lshrrev_b32_e32 v5, 20, v5
	v_min_i32_e32 v28, 15, v4
	v_cmp_gt_i32_e32 vcc_lo, 16, v4
	v_and_b32_sdwa v1, v1, v62 dst_sel:DWORD dst_unused:UNUSED_PAD src0_sel:BYTE_3 src1_sel:DWORD
	v_lshlrev_b32_e32 v28, 3, v28
	v_cndmask_b32_e32 v5, 7, v5, vcc_lo
	v_and_b32_e32 v28, 0xf8, v28
	v_and_b32_e32 v29, 7, v5
	v_or_b32_e32 v4, v4, v5
	v_or3_b32 v1, v28, v1, v29
	v_cmp_ne_u32_e32 vcc_lo, 0, v4
	v_cndmask_b32_e32 v42, 0, v1, vcc_lo
.LBB6_10586:                            ;   in Loop: Header=BB6_10551 Depth=3
	s_or_b32 exec_lo, exec_lo, s23
.LBB6_10587:                            ;   in Loop: Header=BB6_10551 Depth=3
	s_or_b32 exec_lo, exec_lo, s22
	v_cmp_gt_i16_sdwa s22, v48, v61 src0_sel:BYTE_1 src1_sel:DWORD
	s_and_b32 vcc_lo, exec_lo, s19
	s_mov_b32 s16, -1
                                        ; implicit-def: $vgpr1
	s_cbranch_vccz .LBB6_10601
; %bb.10588:                            ;   in Loop: Header=BB6_10551 Depth=3
	s_mov_b32 s16, 0
	s_and_saveexec_b32 s23, s22
	s_xor_b32 s22, exec_lo, s23
	s_cbranch_execz .LBB6_12861
; %bb.10589:                            ;   in Loop: Header=BB6_10551 Depth=3
	v_cmp_eq_u16_sdwa s73, v48, v62 src0_sel:BYTE_1 src1_sel:DWORD
	s_mov_b32 s16, -1
	s_and_saveexec_b32 s23, s73
; %bb.10590:                            ;   in Loop: Header=BB6_10551 Depth=3
	s_xor_b32 s16, exec_lo, -1
; %bb.10591:                            ;   in Loop: Header=BB6_10551 Depth=3
	s_or_b32 exec_lo, exec_lo, s23
	s_and_b32 s16, s16, exec_lo
	s_or_saveexec_b32 s22, s22
	v_mov_b32_e32 v1, 0x7f800001
	s_xor_b32 exec_lo, exec_lo, s22
	s_cbranch_execnz .LBB6_12862
.LBB6_10592:                            ;   in Loop: Header=BB6_10551 Depth=3
	s_or_b32 exec_lo, exec_lo, s22
	s_and_saveexec_b32 s22, s16
	s_cbranch_execz .LBB6_10594
.LBB6_10593:                            ;   in Loop: Header=BB6_10551 Depth=3
	v_and_b32_sdwa v1, v63, v48 dst_sel:DWORD dst_unused:UNUSED_PAD src0_sel:DWORD src1_sel:BYTE_1
	v_and_b32_e32 v4, 7, v1
	v_bfe_u32 v29, v1, 3, 4
	v_ffbh_u32_e32 v5, v4
	v_cmp_eq_u32_e32 vcc_lo, 0, v29
	v_min_u32_e32 v5, 32, v5
	v_subrev_nc_u32_e32 v28, 28, v5
	v_sub_nc_u32_e32 v5, 29, v5
	v_lshlrev_b32_e32 v1, v28, v1
	v_lshlrev_b32_e32 v28, 16, v48
	v_cndmask_b32_e32 v5, v29, v5, vcc_lo
	v_and_b32_e32 v1, 7, v1
	v_lshl_add_u32 v5, v5, 23, 0x3b800000
	v_cndmask_b32_e32 v1, v4, v1, vcc_lo
	v_and_b32_e32 v4, 0x80000000, v28
	v_lshlrev_b32_e32 v1, 20, v1
	v_or3_b32 v1, v4, v5, v1
.LBB6_10594:                            ;   in Loop: Header=BB6_10551 Depth=3
	s_or_b32 exec_lo, exec_lo, s22
	s_waitcnt vmcnt(3)
	v_cmp_gt_i16_sdwa s22, v36, v61 src0_sel:BYTE_1 src1_sel:DWORD
	s_mov_b32 s16, 0
	s_and_saveexec_b32 s23, s22
	s_xor_b32 s22, exec_lo, s23
	s_cbranch_execz .LBB6_12863
; %bb.10595:                            ;   in Loop: Header=BB6_10551 Depth=3
	v_cmp_eq_u16_sdwa s73, v36, v62 src0_sel:BYTE_1 src1_sel:DWORD
	s_mov_b32 s16, -1
	s_and_saveexec_b32 s23, s73
; %bb.10596:                            ;   in Loop: Header=BB6_10551 Depth=3
	s_xor_b32 s16, exec_lo, -1
; %bb.10597:                            ;   in Loop: Header=BB6_10551 Depth=3
	s_or_b32 exec_lo, exec_lo, s23
	s_and_b32 s16, s16, exec_lo
	s_or_saveexec_b32 s22, s22
	v_mov_b32_e32 v4, 0x7f800001
	s_xor_b32 exec_lo, exec_lo, s22
	s_cbranch_execnz .LBB6_12864
.LBB6_10598:                            ;   in Loop: Header=BB6_10551 Depth=3
	s_or_b32 exec_lo, exec_lo, s22
	s_and_saveexec_b32 s22, s16
	s_cbranch_execz .LBB6_10600
.LBB6_10599:                            ;   in Loop: Header=BB6_10551 Depth=3
	v_and_b32_sdwa v4, v63, v36 dst_sel:DWORD dst_unused:UNUSED_PAD src0_sel:DWORD src1_sel:BYTE_1
	v_and_b32_e32 v5, 7, v4
	v_bfe_u32 v30, v4, 3, 4
	v_ffbh_u32_e32 v28, v5
	v_cmp_eq_u32_e32 vcc_lo, 0, v30
	v_min_u32_e32 v28, 32, v28
	v_subrev_nc_u32_e32 v29, 28, v28
	v_sub_nc_u32_e32 v28, 29, v28
	v_lshlrev_b32_e32 v4, v29, v4
	v_lshlrev_b32_e32 v29, 16, v36
	v_cndmask_b32_e32 v28, v30, v28, vcc_lo
	v_and_b32_e32 v4, 7, v4
	v_lshl_add_u32 v28, v28, 23, 0x3b800000
	v_cndmask_b32_e32 v4, v5, v4, vcc_lo
	v_and_b32_e32 v5, 0x80000000, v29
	v_lshlrev_b32_e32 v4, 20, v4
	v_or3_b32 v4, v5, v28, v4
.LBB6_10600:                            ;   in Loop: Header=BB6_10551 Depth=3
	s_or_b32 exec_lo, exec_lo, s22
	v_max_f32_e32 v4, v4, v4
	v_max_f32_e32 v1, v1, v1
	s_mov_b32 s16, 0
	v_max_f32_e32 v1, v1, v4
.LBB6_10601:                            ;   in Loop: Header=BB6_10551 Depth=3
	s_and_b32 vcc_lo, exec_lo, s16
	s_cbranch_vccz .LBB6_10615
; %bb.10602:                            ;   in Loop: Header=BB6_10551 Depth=3
	v_cmp_gt_i16_sdwa s22, v48, v61 src0_sel:BYTE_1 src1_sel:DWORD
	s_mov_b32 s16, 0
	s_and_saveexec_b32 s23, s22
	s_xor_b32 s22, exec_lo, s23
	s_cbranch_execz .LBB6_12865
; %bb.10603:                            ;   in Loop: Header=BB6_10551 Depth=3
	v_cmp_eq_u16_sdwa s73, v48, v62 src0_sel:BYTE_1 src1_sel:DWORD
	s_mov_b32 s16, -1
	s_and_saveexec_b32 s23, s73
; %bb.10604:                            ;   in Loop: Header=BB6_10551 Depth=3
	s_xor_b32 s16, exec_lo, -1
; %bb.10605:                            ;   in Loop: Header=BB6_10551 Depth=3
	s_or_b32 exec_lo, exec_lo, s23
	s_and_b32 s16, s16, exec_lo
	s_or_saveexec_b32 s22, s22
	v_mov_b32_e32 v1, 0x7f800001
	s_xor_b32 exec_lo, exec_lo, s22
	s_cbranch_execnz .LBB6_12866
.LBB6_10606:                            ;   in Loop: Header=BB6_10551 Depth=3
	s_or_b32 exec_lo, exec_lo, s22
	s_and_saveexec_b32 s22, s16
	s_cbranch_execz .LBB6_10608
.LBB6_10607:                            ;   in Loop: Header=BB6_10551 Depth=3
	v_and_b32_sdwa v1, v63, v48 dst_sel:DWORD dst_unused:UNUSED_PAD src0_sel:DWORD src1_sel:BYTE_1
	v_and_b32_e32 v4, 7, v1
	v_bfe_u32 v29, v1, 3, 4
	v_ffbh_u32_e32 v5, v4
	v_cmp_eq_u32_e32 vcc_lo, 0, v29
	v_min_u32_e32 v5, 32, v5
	v_subrev_nc_u32_e32 v28, 28, v5
	v_sub_nc_u32_e32 v5, 29, v5
	v_lshlrev_b32_e32 v1, v28, v1
	v_lshlrev_b32_e32 v28, 16, v48
	v_cndmask_b32_e32 v5, v29, v5, vcc_lo
	v_and_b32_e32 v1, 7, v1
	v_lshl_add_u32 v5, v5, 23, 0x3b800000
	v_cndmask_b32_e32 v1, v4, v1, vcc_lo
	v_and_b32_e32 v4, 0x80000000, v28
	v_lshlrev_b32_e32 v1, 20, v1
	v_or3_b32 v1, v4, v5, v1
.LBB6_10608:                            ;   in Loop: Header=BB6_10551 Depth=3
	s_or_b32 exec_lo, exec_lo, s22
	s_waitcnt vmcnt(3)
	v_cmp_gt_i16_sdwa s22, v36, v61 src0_sel:BYTE_1 src1_sel:DWORD
	s_mov_b32 s16, 0
	s_and_saveexec_b32 s23, s22
	s_xor_b32 s22, exec_lo, s23
	s_cbranch_execz .LBB6_12867
; %bb.10609:                            ;   in Loop: Header=BB6_10551 Depth=3
	v_cmp_eq_u16_sdwa s73, v36, v62 src0_sel:BYTE_1 src1_sel:DWORD
	s_mov_b32 s16, -1
	s_and_saveexec_b32 s23, s73
; %bb.10610:                            ;   in Loop: Header=BB6_10551 Depth=3
	s_xor_b32 s16, exec_lo, -1
; %bb.10611:                            ;   in Loop: Header=BB6_10551 Depth=3
	s_or_b32 exec_lo, exec_lo, s23
	s_and_b32 s16, s16, exec_lo
	s_or_saveexec_b32 s22, s22
	v_mov_b32_e32 v4, 0x7f800001
	s_xor_b32 exec_lo, exec_lo, s22
	s_cbranch_execnz .LBB6_12868
.LBB6_10612:                            ;   in Loop: Header=BB6_10551 Depth=3
	s_or_b32 exec_lo, exec_lo, s22
	s_and_saveexec_b32 s22, s16
	s_cbranch_execz .LBB6_10614
.LBB6_10613:                            ;   in Loop: Header=BB6_10551 Depth=3
	v_and_b32_sdwa v4, v63, v36 dst_sel:DWORD dst_unused:UNUSED_PAD src0_sel:DWORD src1_sel:BYTE_1
	v_and_b32_e32 v5, 7, v4
	v_bfe_u32 v30, v4, 3, 4
	v_ffbh_u32_e32 v28, v5
	v_cmp_eq_u32_e32 vcc_lo, 0, v30
	v_min_u32_e32 v28, 32, v28
	v_subrev_nc_u32_e32 v29, 28, v28
	v_sub_nc_u32_e32 v28, 29, v28
	v_lshlrev_b32_e32 v4, v29, v4
	v_lshlrev_b32_e32 v29, 16, v36
	v_cndmask_b32_e32 v28, v30, v28, vcc_lo
	v_and_b32_e32 v4, 7, v4
	v_lshl_add_u32 v28, v28, 23, 0x3b800000
	v_cndmask_b32_e32 v4, v5, v4, vcc_lo
	v_and_b32_e32 v5, 0x80000000, v29
	v_lshlrev_b32_e32 v4, 20, v4
	v_or3_b32 v4, v5, v28, v4
.LBB6_10614:                            ;   in Loop: Header=BB6_10551 Depth=3
	s_or_b32 exec_lo, exec_lo, s22
	v_max_f32_e32 v4, v4, v4
	v_max_f32_e32 v1, v1, v1
	v_min_f32_e32 v1, v1, v4
.LBB6_10615:                            ;   in Loop: Header=BB6_10551 Depth=3
	v_and_b32_e32 v4, 0x7f800000, v1
	v_mov_b32_e32 v43, 0x8000
	s_mov_b32 s22, exec_lo
	v_cmpx_ne_u32_e32 0x7f800000, v4
	s_cbranch_execz .LBB6_10623
; %bb.10616:                            ;   in Loop: Header=BB6_10551 Depth=3
	v_mov_b32_e32 v43, 0
	s_mov_b32 s23, exec_lo
	v_cmpx_ne_u32_e32 0, v1
	s_cbranch_execz .LBB6_10622
; %bb.10617:                            ;   in Loop: Header=BB6_10551 Depth=3
	v_bfe_u32 v4, v1, 23, 8
	v_and_b32_e32 v5, 0x7fffff, v1
	v_sub_nc_u32_e32 v28, 0x78, v4
	v_cmp_gt_u32_e32 vcc_lo, 0x79, v4
	v_or_b32_e32 v29, 0x800000, v5
	v_cndmask_b32_e32 v28, 0, v28, vcc_lo
	v_cmp_eq_u32_e32 vcc_lo, 0, v4
	v_add_nc_u32_e32 v4, 0xffffff89, v4
	v_cndmask_b32_e64 v28, v28, 0x77, vcc_lo
	v_cndmask_b32_e32 v5, v29, v5, vcc_lo
	v_cndmask_b32_e64 v4, v4, 0xffffff8a, vcc_lo
	v_lshl_add_u32 v29, 0x100000, v28, -1
	v_lshrrev_b32_e32 v30, v28, v5
	v_lshlrev_b32_e64 v52, v28, 0x80000
	v_add_nc_u32_e32 v28, v28, v4
	v_and_b32_e32 v5, v29, v5
	v_bfe_u32 v31, v30, 20, 1
	v_cmp_eq_u32_e64 s16, v5, v52
	v_add_nc_u32_e32 v29, -1, v31
	v_cndmask_b32_e64 v5, 0, v29, s16
	v_lshrrev_b32_e32 v29, 23, v30
	s_mov_b32 s16, exec_lo
	v_add_nc_u32_e32 v5, v5, v30
	v_xor_b32_e32 v29, 1, v29
	v_and_b32_e32 v4, 0xfffff, v5
	v_add_nc_u32_e32 v5, v4, v30
                                        ; implicit-def: $vgpr4
	v_cmpx_ne_u32_e64 v28, v29
	s_xor_b32 s16, exec_lo, s16
; %bb.10618:                            ;   in Loop: Header=BB6_10551 Depth=3
	v_cmp_lt_u32_e32 vcc_lo, 0xffffff, v5
	v_sub_nc_u32_e32 v4, v28, v29
	v_cndmask_b32_e64 v28, 0, 1, vcc_lo
	v_add_co_ci_u32_e64 v4, null, 0, v4, vcc_lo
	v_lshrrev_b32_e32 v5, v28, v5
; %bb.10619:                            ;   in Loop: Header=BB6_10551 Depth=3
	s_andn2_saveexec_b32 s16, s16
; %bb.10620:                            ;   in Loop: Header=BB6_10551 Depth=3
	v_bfe_u32 v4, v5, 23, 1
; %bb.10621:                            ;   in Loop: Header=BB6_10551 Depth=3
	s_or_b32 exec_lo, exec_lo, s16
	v_lshrrev_b32_e32 v5, 20, v5
	v_min_i32_e32 v28, 15, v4
	v_cmp_gt_i32_e32 vcc_lo, 16, v4
	v_and_b32_sdwa v1, v1, v62 dst_sel:DWORD dst_unused:UNUSED_PAD src0_sel:BYTE_3 src1_sel:DWORD
	v_lshlrev_b32_e32 v28, 3, v28
	v_cndmask_b32_e32 v5, 7, v5, vcc_lo
	v_and_b32_e32 v28, 0xf8, v28
	v_and_b32_e32 v29, 7, v5
	v_or_b32_e32 v4, v4, v5
	v_or3_b32 v1, v1, v28, v29
	v_cmp_ne_u32_e32 vcc_lo, 0, v4
	v_lshlrev_b32_e32 v1, 8, v1
	v_cndmask_b32_e32 v43, 0, v1, vcc_lo
.LBB6_10622:                            ;   in Loop: Header=BB6_10551 Depth=3
	s_or_b32 exec_lo, exec_lo, s23
.LBB6_10623:                            ;   in Loop: Header=BB6_10551 Depth=3
	s_or_b32 exec_lo, exec_lo, s22
	v_and_b32_sdwa v1, v48, v72 dst_sel:DWORD dst_unused:UNUSED_PAD src0_sel:WORD_1 src1_sel:DWORD
	s_and_b32 vcc_lo, exec_lo, s19
	s_mov_b32 s22, -1
                                        ; implicit-def: $vgpr4
	v_cmp_lt_i16_e64 s16, 0x7f, v1
	s_cbranch_vccz .LBB6_10637
; %bb.10624:                            ;   in Loop: Header=BB6_10551 Depth=3
	s_mov_b32 s22, 0
	s_and_saveexec_b32 s23, s16
	s_xor_b32 s16, exec_lo, s23
	s_cbranch_execz .LBB6_12869
; %bb.10625:                            ;   in Loop: Header=BB6_10551 Depth=3
	s_mov_b32 s22, -1
	s_mov_b32 s23, exec_lo
	v_cmpx_eq_u16_e32 0x80, v1
; %bb.10626:                            ;   in Loop: Header=BB6_10551 Depth=3
	s_xor_b32 s22, exec_lo, -1
; %bb.10627:                            ;   in Loop: Header=BB6_10551 Depth=3
	s_or_b32 exec_lo, exec_lo, s23
	s_and_b32 s22, s22, exec_lo
	s_or_saveexec_b32 s16, s16
	v_mov_b32_e32 v4, 0x7f800001
	s_xor_b32 exec_lo, exec_lo, s16
	s_cbranch_execnz .LBB6_12870
.LBB6_10628:                            ;   in Loop: Header=BB6_10551 Depth=3
	s_or_b32 exec_lo, exec_lo, s16
	s_and_saveexec_b32 s16, s22
	s_cbranch_execz .LBB6_10630
.LBB6_10629:                            ;   in Loop: Header=BB6_10551 Depth=3
	v_bfe_u32 v4, v48, 16, 3
	v_bfe_u32 v29, v48, 19, 4
	v_lshlrev_b32_sdwa v30, v73, v48 dst_sel:DWORD dst_unused:UNUSED_PAD src0_sel:DWORD src1_sel:WORD_1
	v_ffbh_u32_e32 v5, v4
	v_cmp_eq_u32_e32 vcc_lo, 0, v29
	v_min_u32_e32 v5, 32, v5
	v_subrev_nc_u32_e32 v28, 28, v5
	v_sub_nc_u32_e32 v5, 29, v5
	v_lshlrev_b32_sdwa v28, v28, v48 dst_sel:DWORD dst_unused:UNUSED_PAD src0_sel:DWORD src1_sel:WORD_1
	v_cndmask_b32_e32 v5, v29, v5, vcc_lo
	v_and_b32_e32 v28, 7, v28
	v_lshl_add_u32 v5, v5, 23, 0x3b800000
	v_cndmask_b32_e32 v4, v4, v28, vcc_lo
	v_and_b32_e32 v28, 0x80000000, v30
	v_lshlrev_b32_e32 v4, 20, v4
	v_or3_b32 v4, v28, v5, v4
.LBB6_10630:                            ;   in Loop: Header=BB6_10551 Depth=3
	s_or_b32 exec_lo, exec_lo, s16
	s_waitcnt vmcnt(3)
	v_and_b32_sdwa v28, v36, v72 dst_sel:DWORD dst_unused:UNUSED_PAD src0_sel:WORD_1 src1_sel:DWORD
	s_mov_b32 s16, 0
	s_mov_b32 s22, exec_lo
	v_cmpx_lt_i16_e32 0x7f, v28
	s_xor_b32 s22, exec_lo, s22
	s_cbranch_execz .LBB6_12871
; %bb.10631:                            ;   in Loop: Header=BB6_10551 Depth=3
	s_mov_b32 s16, -1
	s_mov_b32 s23, exec_lo
	v_cmpx_eq_u16_e32 0x80, v28
; %bb.10632:                            ;   in Loop: Header=BB6_10551 Depth=3
	s_xor_b32 s16, exec_lo, -1
; %bb.10633:                            ;   in Loop: Header=BB6_10551 Depth=3
	s_or_b32 exec_lo, exec_lo, s23
	s_and_b32 s16, s16, exec_lo
                                        ; implicit-def: $vgpr28
	s_or_saveexec_b32 s22, s22
	v_mov_b32_e32 v5, 0x7f800001
	s_xor_b32 exec_lo, exec_lo, s22
	s_cbranch_execnz .LBB6_12872
.LBB6_10634:                            ;   in Loop: Header=BB6_10551 Depth=3
	s_or_b32 exec_lo, exec_lo, s22
	s_and_saveexec_b32 s22, s16
	s_cbranch_execz .LBB6_10636
.LBB6_10635:                            ;   in Loop: Header=BB6_10551 Depth=3
	v_bfe_u32 v5, v36, 16, 3
	v_bfe_u32 v30, v36, 19, 4
	v_lshlrev_b32_sdwa v31, v73, v36 dst_sel:DWORD dst_unused:UNUSED_PAD src0_sel:DWORD src1_sel:WORD_1
	v_ffbh_u32_e32 v28, v5
	v_cmp_eq_u32_e32 vcc_lo, 0, v30
	v_min_u32_e32 v28, 32, v28
	v_subrev_nc_u32_e32 v29, 28, v28
	v_sub_nc_u32_e32 v28, 29, v28
	v_lshlrev_b32_sdwa v29, v29, v36 dst_sel:DWORD dst_unused:UNUSED_PAD src0_sel:DWORD src1_sel:WORD_1
	v_cndmask_b32_e32 v28, v30, v28, vcc_lo
	v_and_b32_e32 v29, 7, v29
	v_lshl_add_u32 v28, v28, 23, 0x3b800000
	v_cndmask_b32_e32 v5, v5, v29, vcc_lo
	v_and_b32_e32 v29, 0x80000000, v31
	v_lshlrev_b32_e32 v5, 20, v5
	v_or3_b32 v5, v29, v28, v5
.LBB6_10636:                            ;   in Loop: Header=BB6_10551 Depth=3
	s_or_b32 exec_lo, exec_lo, s22
	v_max_f32_e32 v5, v5, v5
	v_max_f32_e32 v4, v4, v4
	s_mov_b32 s22, 0
	v_max_f32_e32 v4, v4, v5
.LBB6_10637:                            ;   in Loop: Header=BB6_10551 Depth=3
	s_and_b32 vcc_lo, exec_lo, s22
	s_cbranch_vccz .LBB6_10651
; %bb.10638:                            ;   in Loop: Header=BB6_10551 Depth=3
	s_mov_b32 s16, 0
	s_mov_b32 s22, exec_lo
	v_cmpx_lt_i16_e32 0x7f, v1
	s_xor_b32 s22, exec_lo, s22
	s_cbranch_execz .LBB6_12873
; %bb.10639:                            ;   in Loop: Header=BB6_10551 Depth=3
	s_mov_b32 s16, -1
	s_mov_b32 s23, exec_lo
	v_cmpx_eq_u16_e32 0x80, v1
; %bb.10640:                            ;   in Loop: Header=BB6_10551 Depth=3
	s_xor_b32 s16, exec_lo, -1
; %bb.10641:                            ;   in Loop: Header=BB6_10551 Depth=3
	s_or_b32 exec_lo, exec_lo, s23
	s_and_b32 s16, s16, exec_lo
                                        ; implicit-def: $vgpr1
	s_or_saveexec_b32 s22, s22
	v_mov_b32_e32 v4, 0x7f800001
	s_xor_b32 exec_lo, exec_lo, s22
	s_cbranch_execnz .LBB6_12874
.LBB6_10642:                            ;   in Loop: Header=BB6_10551 Depth=3
	s_or_b32 exec_lo, exec_lo, s22
	s_and_saveexec_b32 s22, s16
	s_cbranch_execz .LBB6_10644
.LBB6_10643:                            ;   in Loop: Header=BB6_10551 Depth=3
	v_bfe_u32 v1, v48, 16, 3
	v_bfe_u32 v28, v48, 19, 4
	v_lshlrev_b32_sdwa v29, v73, v48 dst_sel:DWORD dst_unused:UNUSED_PAD src0_sel:DWORD src1_sel:WORD_1
	v_ffbh_u32_e32 v4, v1
	v_cmp_eq_u32_e32 vcc_lo, 0, v28
	v_min_u32_e32 v4, 32, v4
	v_subrev_nc_u32_e32 v5, 28, v4
	v_sub_nc_u32_e32 v4, 29, v4
	v_lshlrev_b32_sdwa v5, v5, v48 dst_sel:DWORD dst_unused:UNUSED_PAD src0_sel:DWORD src1_sel:WORD_1
	v_cndmask_b32_e32 v4, v28, v4, vcc_lo
	v_and_b32_e32 v5, 7, v5
	v_lshl_add_u32 v4, v4, 23, 0x3b800000
	v_cndmask_b32_e32 v1, v1, v5, vcc_lo
	v_and_b32_e32 v5, 0x80000000, v29
	v_lshlrev_b32_e32 v1, 20, v1
	v_or3_b32 v4, v5, v4, v1
.LBB6_10644:                            ;   in Loop: Header=BB6_10551 Depth=3
	s_or_b32 exec_lo, exec_lo, s22
	s_waitcnt vmcnt(3)
	v_and_b32_sdwa v5, v36, v72 dst_sel:DWORD dst_unused:UNUSED_PAD src0_sel:WORD_1 src1_sel:DWORD
	s_mov_b32 s16, 0
	s_mov_b32 s22, exec_lo
	v_cmpx_lt_i16_e32 0x7f, v5
	s_xor_b32 s22, exec_lo, s22
	s_cbranch_execz .LBB6_12875
; %bb.10645:                            ;   in Loop: Header=BB6_10551 Depth=3
	s_mov_b32 s16, -1
	s_mov_b32 s23, exec_lo
	v_cmpx_eq_u16_e32 0x80, v5
; %bb.10646:                            ;   in Loop: Header=BB6_10551 Depth=3
	s_xor_b32 s16, exec_lo, -1
; %bb.10647:                            ;   in Loop: Header=BB6_10551 Depth=3
	s_or_b32 exec_lo, exec_lo, s23
	s_and_b32 s16, s16, exec_lo
                                        ; implicit-def: $vgpr5
	s_or_saveexec_b32 s22, s22
	v_mov_b32_e32 v1, 0x7f800001
	s_xor_b32 exec_lo, exec_lo, s22
	s_cbranch_execnz .LBB6_12876
.LBB6_10648:                            ;   in Loop: Header=BB6_10551 Depth=3
	s_or_b32 exec_lo, exec_lo, s22
	s_and_saveexec_b32 s22, s16
	s_cbranch_execz .LBB6_10650
.LBB6_10649:                            ;   in Loop: Header=BB6_10551 Depth=3
	v_bfe_u32 v1, v36, 16, 3
	v_bfe_u32 v29, v36, 19, 4
	v_lshlrev_b32_sdwa v30, v73, v36 dst_sel:DWORD dst_unused:UNUSED_PAD src0_sel:DWORD src1_sel:WORD_1
	v_ffbh_u32_e32 v5, v1
	v_cmp_eq_u32_e32 vcc_lo, 0, v29
	v_min_u32_e32 v5, 32, v5
	v_subrev_nc_u32_e32 v28, 28, v5
	v_sub_nc_u32_e32 v5, 29, v5
	v_lshlrev_b32_sdwa v28, v28, v36 dst_sel:DWORD dst_unused:UNUSED_PAD src0_sel:DWORD src1_sel:WORD_1
	v_cndmask_b32_e32 v5, v29, v5, vcc_lo
	v_and_b32_e32 v28, 7, v28
	v_lshl_add_u32 v5, v5, 23, 0x3b800000
	v_cndmask_b32_e32 v1, v1, v28, vcc_lo
	v_and_b32_e32 v28, 0x80000000, v30
	v_lshlrev_b32_e32 v1, 20, v1
	v_or3_b32 v1, v28, v5, v1
.LBB6_10650:                            ;   in Loop: Header=BB6_10551 Depth=3
	s_or_b32 exec_lo, exec_lo, s22
	v_max_f32_e32 v1, v1, v1
	v_max_f32_e32 v4, v4, v4
	v_min_f32_e32 v4, v4, v1
.LBB6_10651:                            ;   in Loop: Header=BB6_10551 Depth=3
	v_and_b32_e32 v1, 0x7f800000, v4
	v_mov_b32_e32 v110, 0x80
	s_mov_b32 s22, exec_lo
	v_cmpx_ne_u32_e32 0x7f800000, v1
	s_cbranch_execz .LBB6_10659
; %bb.10652:                            ;   in Loop: Header=BB6_10551 Depth=3
	v_mov_b32_e32 v110, 0
	s_mov_b32 s23, exec_lo
	v_cmpx_ne_u32_e32 0, v4
	s_cbranch_execz .LBB6_10658
; %bb.10653:                            ;   in Loop: Header=BB6_10551 Depth=3
	v_bfe_u32 v1, v4, 23, 8
	v_and_b32_e32 v5, 0x7fffff, v4
	v_sub_nc_u32_e32 v28, 0x78, v1
	v_cmp_gt_u32_e32 vcc_lo, 0x79, v1
	v_or_b32_e32 v29, 0x800000, v5
	v_cndmask_b32_e32 v28, 0, v28, vcc_lo
	v_cmp_eq_u32_e32 vcc_lo, 0, v1
	v_add_nc_u32_e32 v1, 0xffffff89, v1
	v_cndmask_b32_e64 v28, v28, 0x77, vcc_lo
	v_cndmask_b32_e32 v5, v29, v5, vcc_lo
	v_cndmask_b32_e64 v1, v1, 0xffffff8a, vcc_lo
	v_lshl_add_u32 v29, 0x100000, v28, -1
	v_lshrrev_b32_e32 v30, v28, v5
	v_lshlrev_b32_e64 v52, v28, 0x80000
	v_add_nc_u32_e32 v28, v28, v1
	v_and_b32_e32 v5, v29, v5
	v_bfe_u32 v31, v30, 20, 1
	v_cmp_eq_u32_e64 s16, v5, v52
	v_add_nc_u32_e32 v29, -1, v31
	v_cndmask_b32_e64 v5, 0, v29, s16
	v_lshrrev_b32_e32 v29, 23, v30
	s_mov_b32 s16, exec_lo
	v_add_nc_u32_e32 v5, v5, v30
	v_xor_b32_e32 v29, 1, v29
	v_and_b32_e32 v1, 0xfffff, v5
	v_add_nc_u32_e32 v5, v1, v30
                                        ; implicit-def: $vgpr1
	v_cmpx_ne_u32_e64 v28, v29
	s_xor_b32 s16, exec_lo, s16
; %bb.10654:                            ;   in Loop: Header=BB6_10551 Depth=3
	v_cmp_lt_u32_e32 vcc_lo, 0xffffff, v5
	v_sub_nc_u32_e32 v1, v28, v29
	v_cndmask_b32_e64 v28, 0, 1, vcc_lo
	v_add_co_ci_u32_e64 v1, null, 0, v1, vcc_lo
	v_lshrrev_b32_e32 v5, v28, v5
; %bb.10655:                            ;   in Loop: Header=BB6_10551 Depth=3
	s_andn2_saveexec_b32 s16, s16
; %bb.10656:                            ;   in Loop: Header=BB6_10551 Depth=3
	v_bfe_u32 v1, v5, 23, 1
; %bb.10657:                            ;   in Loop: Header=BB6_10551 Depth=3
	s_or_b32 exec_lo, exec_lo, s16
	v_lshrrev_b32_e32 v5, 20, v5
	v_min_i32_e32 v28, 15, v1
	v_cmp_gt_i32_e32 vcc_lo, 16, v1
	v_and_b32_sdwa v4, v4, v62 dst_sel:DWORD dst_unused:UNUSED_PAD src0_sel:BYTE_3 src1_sel:DWORD
	v_lshlrev_b32_e32 v28, 3, v28
	v_cndmask_b32_e32 v5, 7, v5, vcc_lo
	v_and_b32_e32 v28, 0xf8, v28
	v_and_b32_e32 v29, 7, v5
	v_or_b32_e32 v1, v1, v5
	v_or3_b32 v4, v28, v4, v29
	v_cmp_ne_u32_e32 vcc_lo, 0, v1
	v_cndmask_b32_e32 v110, 0, v4, vcc_lo
.LBB6_10658:                            ;   in Loop: Header=BB6_10551 Depth=3
	s_or_b32 exec_lo, exec_lo, s23
.LBB6_10659:                            ;   in Loop: Header=BB6_10551 Depth=3
	s_or_b32 exec_lo, exec_lo, s22
	v_cmp_gt_i16_sdwa s22, v48, v61 src0_sel:BYTE_3 src1_sel:DWORD
	s_and_b32 vcc_lo, exec_lo, s19
	s_mov_b32 s16, -1
                                        ; implicit-def: $vgpr1
	s_cbranch_vccz .LBB6_10673
; %bb.10660:                            ;   in Loop: Header=BB6_10551 Depth=3
	s_mov_b32 s16, 0
	s_and_saveexec_b32 s23, s22
	s_xor_b32 s22, exec_lo, s23
	s_cbranch_execz .LBB6_12877
; %bb.10661:                            ;   in Loop: Header=BB6_10551 Depth=3
	v_cmp_eq_u16_sdwa s73, v48, v62 src0_sel:BYTE_3 src1_sel:DWORD
	s_mov_b32 s16, -1
	s_and_saveexec_b32 s23, s73
; %bb.10662:                            ;   in Loop: Header=BB6_10551 Depth=3
	s_xor_b32 s16, exec_lo, -1
; %bb.10663:                            ;   in Loop: Header=BB6_10551 Depth=3
	s_or_b32 exec_lo, exec_lo, s23
	s_and_b32 s16, s16, exec_lo
	s_or_saveexec_b32 s22, s22
	v_mov_b32_e32 v1, 0x7f800001
	s_xor_b32 exec_lo, exec_lo, s22
	s_cbranch_execnz .LBB6_12878
.LBB6_10664:                            ;   in Loop: Header=BB6_10551 Depth=3
	s_or_b32 exec_lo, exec_lo, s22
	s_and_saveexec_b32 s22, s16
	s_cbranch_execz .LBB6_10666
.LBB6_10665:                            ;   in Loop: Header=BB6_10551 Depth=3
	v_bfe_u32 v1, v48, 24, 3
	v_bfe_u32 v28, v48, 27, 4
	v_ffbh_u32_e32 v4, v1
	v_cmp_eq_u32_e32 vcc_lo, 0, v28
	v_min_u32_e32 v4, 32, v4
	v_subrev_nc_u32_e32 v5, 28, v4
	v_sub_nc_u32_e32 v4, 29, v4
	v_lshlrev_b32_sdwa v5, v5, v48 dst_sel:DWORD dst_unused:UNUSED_PAD src0_sel:DWORD src1_sel:BYTE_3
	v_cndmask_b32_e32 v4, v28, v4, vcc_lo
	v_and_b32_e32 v5, 7, v5
	v_lshl_add_u32 v4, v4, 23, 0x3b800000
	v_cndmask_b32_e32 v1, v1, v5, vcc_lo
	v_and_b32_e32 v5, 0x80000000, v48
	v_lshlrev_b32_e32 v1, 20, v1
	v_or3_b32 v1, v5, v4, v1
.LBB6_10666:                            ;   in Loop: Header=BB6_10551 Depth=3
	s_or_b32 exec_lo, exec_lo, s22
	s_waitcnt vmcnt(3)
	v_cmp_gt_i16_sdwa s22, v36, v61 src0_sel:BYTE_3 src1_sel:DWORD
	s_mov_b32 s16, 0
	s_and_saveexec_b32 s23, s22
	s_xor_b32 s22, exec_lo, s23
	s_cbranch_execz .LBB6_12879
; %bb.10667:                            ;   in Loop: Header=BB6_10551 Depth=3
	v_cmp_eq_u16_sdwa s73, v36, v62 src0_sel:BYTE_3 src1_sel:DWORD
	s_mov_b32 s16, -1
	s_and_saveexec_b32 s23, s73
; %bb.10668:                            ;   in Loop: Header=BB6_10551 Depth=3
	s_xor_b32 s16, exec_lo, -1
; %bb.10669:                            ;   in Loop: Header=BB6_10551 Depth=3
	s_or_b32 exec_lo, exec_lo, s23
	s_and_b32 s16, s16, exec_lo
	s_or_saveexec_b32 s22, s22
	v_mov_b32_e32 v4, 0x7f800001
	s_xor_b32 exec_lo, exec_lo, s22
	s_cbranch_execnz .LBB6_12880
.LBB6_10670:                            ;   in Loop: Header=BB6_10551 Depth=3
	s_or_b32 exec_lo, exec_lo, s22
	s_and_saveexec_b32 s22, s16
	s_cbranch_execz .LBB6_10672
.LBB6_10671:                            ;   in Loop: Header=BB6_10551 Depth=3
	v_bfe_u32 v4, v36, 24, 3
	v_bfe_u32 v29, v36, 27, 4
	v_ffbh_u32_e32 v5, v4
	v_cmp_eq_u32_e32 vcc_lo, 0, v29
	v_min_u32_e32 v5, 32, v5
	v_subrev_nc_u32_e32 v28, 28, v5
	v_sub_nc_u32_e32 v5, 29, v5
	v_lshlrev_b32_sdwa v28, v28, v36 dst_sel:DWORD dst_unused:UNUSED_PAD src0_sel:DWORD src1_sel:BYTE_3
	v_cndmask_b32_e32 v5, v29, v5, vcc_lo
	v_and_b32_e32 v28, 7, v28
	v_lshl_add_u32 v5, v5, 23, 0x3b800000
	v_cndmask_b32_e32 v4, v4, v28, vcc_lo
	v_and_b32_e32 v28, 0x80000000, v36
	v_lshlrev_b32_e32 v4, 20, v4
	v_or3_b32 v4, v28, v5, v4
.LBB6_10672:                            ;   in Loop: Header=BB6_10551 Depth=3
	s_or_b32 exec_lo, exec_lo, s22
	v_max_f32_e32 v4, v4, v4
	v_max_f32_e32 v1, v1, v1
	s_mov_b32 s16, 0
	v_max_f32_e32 v1, v1, v4
.LBB6_10673:                            ;   in Loop: Header=BB6_10551 Depth=3
	s_and_b32 vcc_lo, exec_lo, s16
	s_cbranch_vccz .LBB6_10687
; %bb.10674:                            ;   in Loop: Header=BB6_10551 Depth=3
	v_cmp_gt_i16_sdwa s22, v48, v61 src0_sel:BYTE_3 src1_sel:DWORD
	s_mov_b32 s16, 0
	s_and_saveexec_b32 s23, s22
	s_xor_b32 s22, exec_lo, s23
	s_cbranch_execz .LBB6_12881
; %bb.10675:                            ;   in Loop: Header=BB6_10551 Depth=3
	v_cmp_eq_u16_sdwa s73, v48, v62 src0_sel:BYTE_3 src1_sel:DWORD
	s_mov_b32 s16, -1
	s_and_saveexec_b32 s23, s73
; %bb.10676:                            ;   in Loop: Header=BB6_10551 Depth=3
	s_xor_b32 s16, exec_lo, -1
; %bb.10677:                            ;   in Loop: Header=BB6_10551 Depth=3
	s_or_b32 exec_lo, exec_lo, s23
	s_and_b32 s16, s16, exec_lo
	s_or_saveexec_b32 s22, s22
	v_mov_b32_e32 v1, 0x7f800001
	s_xor_b32 exec_lo, exec_lo, s22
	s_cbranch_execnz .LBB6_12882
.LBB6_10678:                            ;   in Loop: Header=BB6_10551 Depth=3
	s_or_b32 exec_lo, exec_lo, s22
	s_and_saveexec_b32 s22, s16
	s_cbranch_execz .LBB6_10680
.LBB6_10679:                            ;   in Loop: Header=BB6_10551 Depth=3
	v_bfe_u32 v1, v48, 24, 3
	v_bfe_u32 v28, v48, 27, 4
	v_ffbh_u32_e32 v4, v1
	v_cmp_eq_u32_e32 vcc_lo, 0, v28
	v_min_u32_e32 v4, 32, v4
	v_subrev_nc_u32_e32 v5, 28, v4
	v_sub_nc_u32_e32 v4, 29, v4
	v_lshlrev_b32_sdwa v5, v5, v48 dst_sel:DWORD dst_unused:UNUSED_PAD src0_sel:DWORD src1_sel:BYTE_3
	v_cndmask_b32_e32 v4, v28, v4, vcc_lo
	v_and_b32_e32 v5, 7, v5
	v_lshl_add_u32 v4, v4, 23, 0x3b800000
	v_cndmask_b32_e32 v1, v1, v5, vcc_lo
	v_and_b32_e32 v5, 0x80000000, v48
	v_lshlrev_b32_e32 v1, 20, v1
	v_or3_b32 v1, v5, v4, v1
.LBB6_10680:                            ;   in Loop: Header=BB6_10551 Depth=3
	s_or_b32 exec_lo, exec_lo, s22
	s_waitcnt vmcnt(3)
	v_cmp_gt_i16_sdwa s22, v36, v61 src0_sel:BYTE_3 src1_sel:DWORD
	s_mov_b32 s16, 0
	s_and_saveexec_b32 s23, s22
	s_xor_b32 s22, exec_lo, s23
	s_cbranch_execz .LBB6_12883
; %bb.10681:                            ;   in Loop: Header=BB6_10551 Depth=3
	v_cmp_eq_u16_sdwa s73, v36, v62 src0_sel:BYTE_3 src1_sel:DWORD
	s_mov_b32 s16, -1
	s_and_saveexec_b32 s23, s73
; %bb.10682:                            ;   in Loop: Header=BB6_10551 Depth=3
	s_xor_b32 s16, exec_lo, -1
; %bb.10683:                            ;   in Loop: Header=BB6_10551 Depth=3
	s_or_b32 exec_lo, exec_lo, s23
	s_and_b32 s16, s16, exec_lo
	s_or_saveexec_b32 s22, s22
	v_mov_b32_e32 v4, 0x7f800001
	s_xor_b32 exec_lo, exec_lo, s22
	s_cbranch_execnz .LBB6_12884
.LBB6_10684:                            ;   in Loop: Header=BB6_10551 Depth=3
	s_or_b32 exec_lo, exec_lo, s22
	s_and_saveexec_b32 s22, s16
	s_cbranch_execz .LBB6_10686
.LBB6_10685:                            ;   in Loop: Header=BB6_10551 Depth=3
	v_bfe_u32 v4, v36, 24, 3
	v_bfe_u32 v29, v36, 27, 4
	v_ffbh_u32_e32 v5, v4
	v_cmp_eq_u32_e32 vcc_lo, 0, v29
	v_min_u32_e32 v5, 32, v5
	v_subrev_nc_u32_e32 v28, 28, v5
	v_sub_nc_u32_e32 v5, 29, v5
	v_lshlrev_b32_sdwa v28, v28, v36 dst_sel:DWORD dst_unused:UNUSED_PAD src0_sel:DWORD src1_sel:BYTE_3
	v_cndmask_b32_e32 v5, v29, v5, vcc_lo
	v_and_b32_e32 v28, 7, v28
	v_lshl_add_u32 v5, v5, 23, 0x3b800000
	v_cndmask_b32_e32 v4, v4, v28, vcc_lo
	v_and_b32_e32 v28, 0x80000000, v36
	v_lshlrev_b32_e32 v4, 20, v4
	v_or3_b32 v4, v28, v5, v4
.LBB6_10686:                            ;   in Loop: Header=BB6_10551 Depth=3
	s_or_b32 exec_lo, exec_lo, s22
	v_max_f32_e32 v4, v4, v4
	v_max_f32_e32 v1, v1, v1
	v_min_f32_e32 v1, v1, v4
.LBB6_10687:                            ;   in Loop: Header=BB6_10551 Depth=3
	v_and_b32_e32 v4, 0x7f800000, v1
	s_waitcnt vmcnt(3)
	v_mov_b32_e32 v36, 0x8000
	s_mov_b32 s22, exec_lo
	v_cmpx_ne_u32_e32 0x7f800000, v4
	s_cbranch_execz .LBB6_10695
; %bb.10688:                            ;   in Loop: Header=BB6_10551 Depth=3
	v_mov_b32_e32 v36, 0
	s_mov_b32 s23, exec_lo
	v_cmpx_ne_u32_e32 0, v1
	s_cbranch_execz .LBB6_10694
; %bb.10689:                            ;   in Loop: Header=BB6_10551 Depth=3
	v_bfe_u32 v4, v1, 23, 8
	v_and_b32_e32 v5, 0x7fffff, v1
	v_sub_nc_u32_e32 v28, 0x78, v4
	v_cmp_gt_u32_e32 vcc_lo, 0x79, v4
	v_or_b32_e32 v29, 0x800000, v5
	v_cndmask_b32_e32 v28, 0, v28, vcc_lo
	v_cmp_eq_u32_e32 vcc_lo, 0, v4
	v_add_nc_u32_e32 v4, 0xffffff89, v4
	v_cndmask_b32_e64 v28, v28, 0x77, vcc_lo
	v_cndmask_b32_e32 v5, v29, v5, vcc_lo
	v_cndmask_b32_e64 v4, v4, 0xffffff8a, vcc_lo
	v_lshl_add_u32 v29, 0x100000, v28, -1
	v_lshrrev_b32_e32 v30, v28, v5
	v_lshlrev_b32_e64 v36, v28, 0x80000
	v_add_nc_u32_e32 v28, v28, v4
	v_and_b32_e32 v5, v29, v5
	v_bfe_u32 v31, v30, 20, 1
	v_cmp_eq_u32_e64 s16, v5, v36
	v_add_nc_u32_e32 v29, -1, v31
	v_cndmask_b32_e64 v5, 0, v29, s16
	v_lshrrev_b32_e32 v29, 23, v30
	s_mov_b32 s16, exec_lo
	v_add_nc_u32_e32 v5, v5, v30
	v_xor_b32_e32 v29, 1, v29
	v_and_b32_e32 v4, 0xfffff, v5
	v_add_nc_u32_e32 v5, v4, v30
                                        ; implicit-def: $vgpr4
	v_cmpx_ne_u32_e64 v28, v29
	s_xor_b32 s16, exec_lo, s16
; %bb.10690:                            ;   in Loop: Header=BB6_10551 Depth=3
	v_cmp_lt_u32_e32 vcc_lo, 0xffffff, v5
	v_sub_nc_u32_e32 v4, v28, v29
	v_cndmask_b32_e64 v28, 0, 1, vcc_lo
	v_add_co_ci_u32_e64 v4, null, 0, v4, vcc_lo
	v_lshrrev_b32_e32 v5, v28, v5
; %bb.10691:                            ;   in Loop: Header=BB6_10551 Depth=3
	s_andn2_saveexec_b32 s16, s16
; %bb.10692:                            ;   in Loop: Header=BB6_10551 Depth=3
	v_bfe_u32 v4, v5, 23, 1
; %bb.10693:                            ;   in Loop: Header=BB6_10551 Depth=3
	s_or_b32 exec_lo, exec_lo, s16
	v_lshrrev_b32_e32 v5, 20, v5
	v_min_i32_e32 v28, 15, v4
	v_cmp_gt_i32_e32 vcc_lo, 16, v4
	v_and_b32_sdwa v1, v1, v62 dst_sel:DWORD dst_unused:UNUSED_PAD src0_sel:BYTE_3 src1_sel:DWORD
	v_lshlrev_b32_e32 v28, 3, v28
	v_cndmask_b32_e32 v5, 7, v5, vcc_lo
	v_and_b32_e32 v28, 0xf8, v28
	v_and_b32_e32 v29, 7, v5
	v_or_b32_e32 v4, v4, v5
	v_or3_b32 v1, v1, v28, v29
	v_cmp_ne_u32_e32 vcc_lo, 0, v4
	v_lshlrev_b32_e32 v1, 8, v1
	v_cndmask_b32_e32 v36, 0, v1, vcc_lo
.LBB6_10694:                            ;   in Loop: Header=BB6_10551 Depth=3
	s_or_b32 exec_lo, exec_lo, s23
.LBB6_10695:                            ;   in Loop: Header=BB6_10551 Depth=3
	s_or_b32 exec_lo, exec_lo, s22
	v_cmp_gt_i16_sdwa s22, v49, v61 src0_sel:BYTE_0 src1_sel:DWORD
	s_and_b32 vcc_lo, exec_lo, s19
	s_mov_b32 s16, -1
                                        ; implicit-def: $vgpr1
	s_cbranch_vccz .LBB6_10709
; %bb.10696:                            ;   in Loop: Header=BB6_10551 Depth=3
	s_mov_b32 s16, 0
	s_and_saveexec_b32 s23, s22
	s_xor_b32 s22, exec_lo, s23
	s_cbranch_execz .LBB6_12885
; %bb.10697:                            ;   in Loop: Header=BB6_10551 Depth=3
	v_cmp_eq_u16_sdwa s73, v49, v62 src0_sel:BYTE_0 src1_sel:DWORD
	s_mov_b32 s16, -1
	s_and_saveexec_b32 s23, s73
; %bb.10698:                            ;   in Loop: Header=BB6_10551 Depth=3
	s_xor_b32 s16, exec_lo, -1
; %bb.10699:                            ;   in Loop: Header=BB6_10551 Depth=3
	s_or_b32 exec_lo, exec_lo, s23
	s_and_b32 s16, s16, exec_lo
	s_or_saveexec_b32 s22, s22
	v_mov_b32_e32 v1, 0x7f800001
	s_xor_b32 exec_lo, exec_lo, s22
	s_cbranch_execnz .LBB6_12886
.LBB6_10700:                            ;   in Loop: Header=BB6_10551 Depth=3
	s_or_b32 exec_lo, exec_lo, s22
	s_and_saveexec_b32 s22, s16
	s_cbranch_execz .LBB6_10702
.LBB6_10701:                            ;   in Loop: Header=BB6_10551 Depth=3
	v_and_b32_e32 v1, 7, v49
	v_bfe_u32 v28, v49, 3, 4
	v_lshlrev_b32_e32 v29, 24, v49
	v_ffbh_u32_e32 v4, v1
	v_cmp_eq_u32_e32 vcc_lo, 0, v28
	v_min_u32_e32 v4, 32, v4
	v_subrev_nc_u32_e32 v5, 28, v4
	v_sub_nc_u32_e32 v4, 29, v4
	v_lshlrev_b32_e32 v5, v5, v49
	v_cndmask_b32_e32 v4, v28, v4, vcc_lo
	v_and_b32_e32 v5, 7, v5
	v_lshl_add_u32 v4, v4, 23, 0x3b800000
	v_cndmask_b32_e32 v1, v1, v5, vcc_lo
	v_and_b32_e32 v5, 0x80000000, v29
	v_lshlrev_b32_e32 v1, 20, v1
	v_or3_b32 v1, v5, v4, v1
.LBB6_10702:                            ;   in Loop: Header=BB6_10551 Depth=3
	s_or_b32 exec_lo, exec_lo, s22
	v_cmp_gt_i16_sdwa s22, v37, v61 src0_sel:BYTE_0 src1_sel:DWORD
	s_mov_b32 s16, 0
	s_and_saveexec_b32 s23, s22
	s_xor_b32 s22, exec_lo, s23
	s_cbranch_execz .LBB6_12887
; %bb.10703:                            ;   in Loop: Header=BB6_10551 Depth=3
	v_cmp_eq_u16_sdwa s73, v37, v62 src0_sel:BYTE_0 src1_sel:DWORD
	s_mov_b32 s16, -1
	s_and_saveexec_b32 s23, s73
; %bb.10704:                            ;   in Loop: Header=BB6_10551 Depth=3
	s_xor_b32 s16, exec_lo, -1
; %bb.10705:                            ;   in Loop: Header=BB6_10551 Depth=3
	s_or_b32 exec_lo, exec_lo, s23
	s_and_b32 s16, s16, exec_lo
	s_or_saveexec_b32 s22, s22
	v_mov_b32_e32 v4, 0x7f800001
	s_xor_b32 exec_lo, exec_lo, s22
	s_cbranch_execnz .LBB6_12888
.LBB6_10706:                            ;   in Loop: Header=BB6_10551 Depth=3
	s_or_b32 exec_lo, exec_lo, s22
	s_and_saveexec_b32 s22, s16
	s_cbranch_execz .LBB6_10708
.LBB6_10707:                            ;   in Loop: Header=BB6_10551 Depth=3
	v_and_b32_e32 v4, 7, v37
	v_bfe_u32 v29, v37, 3, 4
	v_lshlrev_b32_e32 v30, 24, v37
	v_ffbh_u32_e32 v5, v4
	v_cmp_eq_u32_e32 vcc_lo, 0, v29
	v_min_u32_e32 v5, 32, v5
	v_subrev_nc_u32_e32 v28, 28, v5
	v_sub_nc_u32_e32 v5, 29, v5
	v_lshlrev_b32_e32 v28, v28, v37
	v_cndmask_b32_e32 v5, v29, v5, vcc_lo
	v_and_b32_e32 v28, 7, v28
	v_lshl_add_u32 v5, v5, 23, 0x3b800000
	v_cndmask_b32_e32 v4, v4, v28, vcc_lo
	v_and_b32_e32 v28, 0x80000000, v30
	v_lshlrev_b32_e32 v4, 20, v4
	v_or3_b32 v4, v28, v5, v4
.LBB6_10708:                            ;   in Loop: Header=BB6_10551 Depth=3
	s_or_b32 exec_lo, exec_lo, s22
	v_max_f32_e32 v4, v4, v4
	v_max_f32_e32 v1, v1, v1
	s_mov_b32 s16, 0
	v_max_f32_e32 v1, v1, v4
.LBB6_10709:                            ;   in Loop: Header=BB6_10551 Depth=3
	s_and_b32 vcc_lo, exec_lo, s16
	s_cbranch_vccz .LBB6_10723
; %bb.10710:                            ;   in Loop: Header=BB6_10551 Depth=3
	v_cmp_gt_i16_sdwa s22, v49, v61 src0_sel:BYTE_0 src1_sel:DWORD
	s_mov_b32 s16, 0
	s_and_saveexec_b32 s23, s22
	s_xor_b32 s22, exec_lo, s23
	s_cbranch_execz .LBB6_12889
; %bb.10711:                            ;   in Loop: Header=BB6_10551 Depth=3
	v_cmp_eq_u16_sdwa s73, v49, v62 src0_sel:BYTE_0 src1_sel:DWORD
	s_mov_b32 s16, -1
	s_and_saveexec_b32 s23, s73
; %bb.10712:                            ;   in Loop: Header=BB6_10551 Depth=3
	s_xor_b32 s16, exec_lo, -1
; %bb.10713:                            ;   in Loop: Header=BB6_10551 Depth=3
	s_or_b32 exec_lo, exec_lo, s23
	s_and_b32 s16, s16, exec_lo
	s_or_saveexec_b32 s22, s22
	v_mov_b32_e32 v1, 0x7f800001
	s_xor_b32 exec_lo, exec_lo, s22
	s_cbranch_execnz .LBB6_12890
.LBB6_10714:                            ;   in Loop: Header=BB6_10551 Depth=3
	s_or_b32 exec_lo, exec_lo, s22
	s_and_saveexec_b32 s22, s16
	s_cbranch_execz .LBB6_10716
.LBB6_10715:                            ;   in Loop: Header=BB6_10551 Depth=3
	v_and_b32_e32 v1, 7, v49
	v_bfe_u32 v28, v49, 3, 4
	v_lshlrev_b32_e32 v29, 24, v49
	v_ffbh_u32_e32 v4, v1
	v_cmp_eq_u32_e32 vcc_lo, 0, v28
	v_min_u32_e32 v4, 32, v4
	v_subrev_nc_u32_e32 v5, 28, v4
	v_sub_nc_u32_e32 v4, 29, v4
	v_lshlrev_b32_e32 v5, v5, v49
	v_cndmask_b32_e32 v4, v28, v4, vcc_lo
	v_and_b32_e32 v5, 7, v5
	v_lshl_add_u32 v4, v4, 23, 0x3b800000
	v_cndmask_b32_e32 v1, v1, v5, vcc_lo
	v_and_b32_e32 v5, 0x80000000, v29
	v_lshlrev_b32_e32 v1, 20, v1
	v_or3_b32 v1, v5, v4, v1
.LBB6_10716:                            ;   in Loop: Header=BB6_10551 Depth=3
	s_or_b32 exec_lo, exec_lo, s22
	v_cmp_gt_i16_sdwa s22, v37, v61 src0_sel:BYTE_0 src1_sel:DWORD
	s_mov_b32 s16, 0
	s_and_saveexec_b32 s23, s22
	s_xor_b32 s22, exec_lo, s23
	s_cbranch_execz .LBB6_12891
; %bb.10717:                            ;   in Loop: Header=BB6_10551 Depth=3
	v_cmp_eq_u16_sdwa s73, v37, v62 src0_sel:BYTE_0 src1_sel:DWORD
	s_mov_b32 s16, -1
	s_and_saveexec_b32 s23, s73
; %bb.10718:                            ;   in Loop: Header=BB6_10551 Depth=3
	s_xor_b32 s16, exec_lo, -1
; %bb.10719:                            ;   in Loop: Header=BB6_10551 Depth=3
	s_or_b32 exec_lo, exec_lo, s23
	s_and_b32 s16, s16, exec_lo
	s_or_saveexec_b32 s22, s22
	v_mov_b32_e32 v4, 0x7f800001
	s_xor_b32 exec_lo, exec_lo, s22
	s_cbranch_execnz .LBB6_12892
.LBB6_10720:                            ;   in Loop: Header=BB6_10551 Depth=3
	s_or_b32 exec_lo, exec_lo, s22
	s_and_saveexec_b32 s22, s16
	s_cbranch_execz .LBB6_10722
.LBB6_10721:                            ;   in Loop: Header=BB6_10551 Depth=3
	v_and_b32_e32 v4, 7, v37
	v_bfe_u32 v29, v37, 3, 4
	v_lshlrev_b32_e32 v30, 24, v37
	v_ffbh_u32_e32 v5, v4
	v_cmp_eq_u32_e32 vcc_lo, 0, v29
	v_min_u32_e32 v5, 32, v5
	v_subrev_nc_u32_e32 v28, 28, v5
	v_sub_nc_u32_e32 v5, 29, v5
	v_lshlrev_b32_e32 v28, v28, v37
	v_cndmask_b32_e32 v5, v29, v5, vcc_lo
	v_and_b32_e32 v28, 7, v28
	v_lshl_add_u32 v5, v5, 23, 0x3b800000
	v_cndmask_b32_e32 v4, v4, v28, vcc_lo
	v_and_b32_e32 v28, 0x80000000, v30
	v_lshlrev_b32_e32 v4, 20, v4
	v_or3_b32 v4, v28, v5, v4
.LBB6_10722:                            ;   in Loop: Header=BB6_10551 Depth=3
	s_or_b32 exec_lo, exec_lo, s22
	v_max_f32_e32 v4, v4, v4
	v_max_f32_e32 v1, v1, v1
	v_min_f32_e32 v1, v1, v4
.LBB6_10723:                            ;   in Loop: Header=BB6_10551 Depth=3
	v_and_b32_e32 v4, 0x7f800000, v1
	v_mov_b32_e32 v48, 0x80
	s_mov_b32 s22, exec_lo
	v_cmpx_ne_u32_e32 0x7f800000, v4
	s_cbranch_execz .LBB6_10731
; %bb.10724:                            ;   in Loop: Header=BB6_10551 Depth=3
	v_mov_b32_e32 v48, 0
	s_mov_b32 s23, exec_lo
	v_cmpx_ne_u32_e32 0, v1
	s_cbranch_execz .LBB6_10730
; %bb.10725:                            ;   in Loop: Header=BB6_10551 Depth=3
	v_bfe_u32 v4, v1, 23, 8
	v_and_b32_e32 v5, 0x7fffff, v1
	v_sub_nc_u32_e32 v28, 0x78, v4
	v_cmp_gt_u32_e32 vcc_lo, 0x79, v4
	v_or_b32_e32 v29, 0x800000, v5
	v_cndmask_b32_e32 v28, 0, v28, vcc_lo
	v_cmp_eq_u32_e32 vcc_lo, 0, v4
	v_add_nc_u32_e32 v4, 0xffffff89, v4
	v_cndmask_b32_e64 v28, v28, 0x77, vcc_lo
	v_cndmask_b32_e32 v5, v29, v5, vcc_lo
	v_cndmask_b32_e64 v4, v4, 0xffffff8a, vcc_lo
	v_lshl_add_u32 v29, 0x100000, v28, -1
	v_lshrrev_b32_e32 v30, v28, v5
	v_lshlrev_b32_e64 v48, v28, 0x80000
	v_add_nc_u32_e32 v28, v28, v4
	v_and_b32_e32 v5, v29, v5
	v_bfe_u32 v31, v30, 20, 1
	v_cmp_eq_u32_e64 s16, v5, v48
	v_add_nc_u32_e32 v29, -1, v31
	v_cndmask_b32_e64 v5, 0, v29, s16
	v_lshrrev_b32_e32 v29, 23, v30
	s_mov_b32 s16, exec_lo
	v_add_nc_u32_e32 v5, v5, v30
	v_xor_b32_e32 v29, 1, v29
	v_and_b32_e32 v4, 0xfffff, v5
	v_add_nc_u32_e32 v5, v4, v30
                                        ; implicit-def: $vgpr4
	v_cmpx_ne_u32_e64 v28, v29
	s_xor_b32 s16, exec_lo, s16
; %bb.10726:                            ;   in Loop: Header=BB6_10551 Depth=3
	v_cmp_lt_u32_e32 vcc_lo, 0xffffff, v5
	v_sub_nc_u32_e32 v4, v28, v29
	v_cndmask_b32_e64 v28, 0, 1, vcc_lo
	v_add_co_ci_u32_e64 v4, null, 0, v4, vcc_lo
	v_lshrrev_b32_e32 v5, v28, v5
; %bb.10727:                            ;   in Loop: Header=BB6_10551 Depth=3
	s_andn2_saveexec_b32 s16, s16
; %bb.10728:                            ;   in Loop: Header=BB6_10551 Depth=3
	v_bfe_u32 v4, v5, 23, 1
; %bb.10729:                            ;   in Loop: Header=BB6_10551 Depth=3
	s_or_b32 exec_lo, exec_lo, s16
	v_lshrrev_b32_e32 v5, 20, v5
	v_min_i32_e32 v28, 15, v4
	v_cmp_gt_i32_e32 vcc_lo, 16, v4
	v_and_b32_sdwa v1, v1, v62 dst_sel:DWORD dst_unused:UNUSED_PAD src0_sel:BYTE_3 src1_sel:DWORD
	v_lshlrev_b32_e32 v28, 3, v28
	v_cndmask_b32_e32 v5, 7, v5, vcc_lo
	v_and_b32_e32 v28, 0xf8, v28
	v_and_b32_e32 v29, 7, v5
	v_or_b32_e32 v4, v4, v5
	v_or3_b32 v1, v28, v1, v29
	v_cmp_ne_u32_e32 vcc_lo, 0, v4
	v_cndmask_b32_e32 v48, 0, v1, vcc_lo
.LBB6_10730:                            ;   in Loop: Header=BB6_10551 Depth=3
	s_or_b32 exec_lo, exec_lo, s23
.LBB6_10731:                            ;   in Loop: Header=BB6_10551 Depth=3
	s_or_b32 exec_lo, exec_lo, s22
	v_cmp_gt_i16_sdwa s22, v49, v61 src0_sel:BYTE_1 src1_sel:DWORD
	s_and_b32 vcc_lo, exec_lo, s19
	s_mov_b32 s16, -1
                                        ; implicit-def: $vgpr1
	s_cbranch_vccz .LBB6_10745
; %bb.10732:                            ;   in Loop: Header=BB6_10551 Depth=3
	s_mov_b32 s16, 0
	s_and_saveexec_b32 s23, s22
	s_xor_b32 s22, exec_lo, s23
	s_cbranch_execz .LBB6_12893
; %bb.10733:                            ;   in Loop: Header=BB6_10551 Depth=3
	v_cmp_eq_u16_sdwa s73, v49, v62 src0_sel:BYTE_1 src1_sel:DWORD
	s_mov_b32 s16, -1
	s_and_saveexec_b32 s23, s73
; %bb.10734:                            ;   in Loop: Header=BB6_10551 Depth=3
	s_xor_b32 s16, exec_lo, -1
; %bb.10735:                            ;   in Loop: Header=BB6_10551 Depth=3
	s_or_b32 exec_lo, exec_lo, s23
	s_and_b32 s16, s16, exec_lo
	s_or_saveexec_b32 s22, s22
	v_mov_b32_e32 v1, 0x7f800001
	s_xor_b32 exec_lo, exec_lo, s22
	s_cbranch_execnz .LBB6_12894
.LBB6_10736:                            ;   in Loop: Header=BB6_10551 Depth=3
	s_or_b32 exec_lo, exec_lo, s22
	s_and_saveexec_b32 s22, s16
	s_cbranch_execz .LBB6_10738
.LBB6_10737:                            ;   in Loop: Header=BB6_10551 Depth=3
	v_and_b32_sdwa v1, v63, v49 dst_sel:DWORD dst_unused:UNUSED_PAD src0_sel:DWORD src1_sel:BYTE_1
	v_and_b32_e32 v4, 7, v1
	v_bfe_u32 v29, v1, 3, 4
	v_ffbh_u32_e32 v5, v4
	v_cmp_eq_u32_e32 vcc_lo, 0, v29
	v_min_u32_e32 v5, 32, v5
	v_subrev_nc_u32_e32 v28, 28, v5
	v_sub_nc_u32_e32 v5, 29, v5
	v_lshlrev_b32_e32 v1, v28, v1
	v_lshlrev_b32_e32 v28, 16, v49
	v_cndmask_b32_e32 v5, v29, v5, vcc_lo
	v_and_b32_e32 v1, 7, v1
	v_lshl_add_u32 v5, v5, 23, 0x3b800000
	v_cndmask_b32_e32 v1, v4, v1, vcc_lo
	v_and_b32_e32 v4, 0x80000000, v28
	v_lshlrev_b32_e32 v1, 20, v1
	v_or3_b32 v1, v4, v5, v1
.LBB6_10738:                            ;   in Loop: Header=BB6_10551 Depth=3
	s_or_b32 exec_lo, exec_lo, s22
	v_cmp_gt_i16_sdwa s22, v37, v61 src0_sel:BYTE_1 src1_sel:DWORD
	s_mov_b32 s16, 0
	s_and_saveexec_b32 s23, s22
	s_xor_b32 s22, exec_lo, s23
	s_cbranch_execz .LBB6_12895
; %bb.10739:                            ;   in Loop: Header=BB6_10551 Depth=3
	v_cmp_eq_u16_sdwa s73, v37, v62 src0_sel:BYTE_1 src1_sel:DWORD
	s_mov_b32 s16, -1
	s_and_saveexec_b32 s23, s73
; %bb.10740:                            ;   in Loop: Header=BB6_10551 Depth=3
	s_xor_b32 s16, exec_lo, -1
; %bb.10741:                            ;   in Loop: Header=BB6_10551 Depth=3
	s_or_b32 exec_lo, exec_lo, s23
	s_and_b32 s16, s16, exec_lo
	s_or_saveexec_b32 s22, s22
	v_mov_b32_e32 v4, 0x7f800001
	s_xor_b32 exec_lo, exec_lo, s22
	s_cbranch_execnz .LBB6_12896
.LBB6_10742:                            ;   in Loop: Header=BB6_10551 Depth=3
	s_or_b32 exec_lo, exec_lo, s22
	s_and_saveexec_b32 s22, s16
	s_cbranch_execz .LBB6_10744
.LBB6_10743:                            ;   in Loop: Header=BB6_10551 Depth=3
	v_and_b32_sdwa v4, v63, v37 dst_sel:DWORD dst_unused:UNUSED_PAD src0_sel:DWORD src1_sel:BYTE_1
	v_and_b32_e32 v5, 7, v4
	v_bfe_u32 v30, v4, 3, 4
	v_ffbh_u32_e32 v28, v5
	v_cmp_eq_u32_e32 vcc_lo, 0, v30
	v_min_u32_e32 v28, 32, v28
	v_subrev_nc_u32_e32 v29, 28, v28
	v_sub_nc_u32_e32 v28, 29, v28
	v_lshlrev_b32_e32 v4, v29, v4
	v_lshlrev_b32_e32 v29, 16, v37
	v_cndmask_b32_e32 v28, v30, v28, vcc_lo
	v_and_b32_e32 v4, 7, v4
	v_lshl_add_u32 v28, v28, 23, 0x3b800000
	v_cndmask_b32_e32 v4, v5, v4, vcc_lo
	v_and_b32_e32 v5, 0x80000000, v29
	v_lshlrev_b32_e32 v4, 20, v4
	v_or3_b32 v4, v5, v28, v4
.LBB6_10744:                            ;   in Loop: Header=BB6_10551 Depth=3
	s_or_b32 exec_lo, exec_lo, s22
	v_max_f32_e32 v4, v4, v4
	v_max_f32_e32 v1, v1, v1
	s_mov_b32 s16, 0
	v_max_f32_e32 v1, v1, v4
.LBB6_10745:                            ;   in Loop: Header=BB6_10551 Depth=3
	s_and_b32 vcc_lo, exec_lo, s16
	s_cbranch_vccz .LBB6_10759
; %bb.10746:                            ;   in Loop: Header=BB6_10551 Depth=3
	v_cmp_gt_i16_sdwa s22, v49, v61 src0_sel:BYTE_1 src1_sel:DWORD
	s_mov_b32 s16, 0
	s_and_saveexec_b32 s23, s22
	s_xor_b32 s22, exec_lo, s23
	s_cbranch_execz .LBB6_12897
; %bb.10747:                            ;   in Loop: Header=BB6_10551 Depth=3
	v_cmp_eq_u16_sdwa s73, v49, v62 src0_sel:BYTE_1 src1_sel:DWORD
	s_mov_b32 s16, -1
	s_and_saveexec_b32 s23, s73
; %bb.10748:                            ;   in Loop: Header=BB6_10551 Depth=3
	s_xor_b32 s16, exec_lo, -1
; %bb.10749:                            ;   in Loop: Header=BB6_10551 Depth=3
	s_or_b32 exec_lo, exec_lo, s23
	s_and_b32 s16, s16, exec_lo
	s_or_saveexec_b32 s22, s22
	v_mov_b32_e32 v1, 0x7f800001
	s_xor_b32 exec_lo, exec_lo, s22
	s_cbranch_execnz .LBB6_12898
.LBB6_10750:                            ;   in Loop: Header=BB6_10551 Depth=3
	s_or_b32 exec_lo, exec_lo, s22
	s_and_saveexec_b32 s22, s16
	s_cbranch_execz .LBB6_10752
.LBB6_10751:                            ;   in Loop: Header=BB6_10551 Depth=3
	v_and_b32_sdwa v1, v63, v49 dst_sel:DWORD dst_unused:UNUSED_PAD src0_sel:DWORD src1_sel:BYTE_1
	v_and_b32_e32 v4, 7, v1
	v_bfe_u32 v29, v1, 3, 4
	v_ffbh_u32_e32 v5, v4
	v_cmp_eq_u32_e32 vcc_lo, 0, v29
	v_min_u32_e32 v5, 32, v5
	v_subrev_nc_u32_e32 v28, 28, v5
	v_sub_nc_u32_e32 v5, 29, v5
	v_lshlrev_b32_e32 v1, v28, v1
	v_lshlrev_b32_e32 v28, 16, v49
	v_cndmask_b32_e32 v5, v29, v5, vcc_lo
	v_and_b32_e32 v1, 7, v1
	v_lshl_add_u32 v5, v5, 23, 0x3b800000
	v_cndmask_b32_e32 v1, v4, v1, vcc_lo
	v_and_b32_e32 v4, 0x80000000, v28
	v_lshlrev_b32_e32 v1, 20, v1
	v_or3_b32 v1, v4, v5, v1
.LBB6_10752:                            ;   in Loop: Header=BB6_10551 Depth=3
	s_or_b32 exec_lo, exec_lo, s22
	v_cmp_gt_i16_sdwa s22, v37, v61 src0_sel:BYTE_1 src1_sel:DWORD
	s_mov_b32 s16, 0
	s_and_saveexec_b32 s23, s22
	s_xor_b32 s22, exec_lo, s23
	s_cbranch_execz .LBB6_12899
; %bb.10753:                            ;   in Loop: Header=BB6_10551 Depth=3
	v_cmp_eq_u16_sdwa s73, v37, v62 src0_sel:BYTE_1 src1_sel:DWORD
	s_mov_b32 s16, -1
	s_and_saveexec_b32 s23, s73
; %bb.10754:                            ;   in Loop: Header=BB6_10551 Depth=3
	s_xor_b32 s16, exec_lo, -1
; %bb.10755:                            ;   in Loop: Header=BB6_10551 Depth=3
	s_or_b32 exec_lo, exec_lo, s23
	s_and_b32 s16, s16, exec_lo
	s_or_saveexec_b32 s22, s22
	v_mov_b32_e32 v4, 0x7f800001
	s_xor_b32 exec_lo, exec_lo, s22
	s_cbranch_execnz .LBB6_12900
.LBB6_10756:                            ;   in Loop: Header=BB6_10551 Depth=3
	s_or_b32 exec_lo, exec_lo, s22
	s_and_saveexec_b32 s22, s16
	s_cbranch_execz .LBB6_10758
.LBB6_10757:                            ;   in Loop: Header=BB6_10551 Depth=3
	v_and_b32_sdwa v4, v63, v37 dst_sel:DWORD dst_unused:UNUSED_PAD src0_sel:DWORD src1_sel:BYTE_1
	v_and_b32_e32 v5, 7, v4
	v_bfe_u32 v30, v4, 3, 4
	v_ffbh_u32_e32 v28, v5
	v_cmp_eq_u32_e32 vcc_lo, 0, v30
	v_min_u32_e32 v28, 32, v28
	v_subrev_nc_u32_e32 v29, 28, v28
	v_sub_nc_u32_e32 v28, 29, v28
	v_lshlrev_b32_e32 v4, v29, v4
	v_lshlrev_b32_e32 v29, 16, v37
	v_cndmask_b32_e32 v28, v30, v28, vcc_lo
	v_and_b32_e32 v4, 7, v4
	v_lshl_add_u32 v28, v28, 23, 0x3b800000
	v_cndmask_b32_e32 v4, v5, v4, vcc_lo
	v_and_b32_e32 v5, 0x80000000, v29
	v_lshlrev_b32_e32 v4, 20, v4
	v_or3_b32 v4, v5, v28, v4
.LBB6_10758:                            ;   in Loop: Header=BB6_10551 Depth=3
	s_or_b32 exec_lo, exec_lo, s22
	v_max_f32_e32 v4, v4, v4
	v_max_f32_e32 v1, v1, v1
	v_min_f32_e32 v1, v1, v4
.LBB6_10759:                            ;   in Loop: Header=BB6_10551 Depth=3
	v_and_b32_e32 v4, 0x7f800000, v1
	v_mov_b32_e32 v111, 0x8000
	s_mov_b32 s22, exec_lo
	v_cmpx_ne_u32_e32 0x7f800000, v4
	s_cbranch_execz .LBB6_10767
; %bb.10760:                            ;   in Loop: Header=BB6_10551 Depth=3
	v_mov_b32_e32 v111, 0
	s_mov_b32 s23, exec_lo
	v_cmpx_ne_u32_e32 0, v1
	s_cbranch_execz .LBB6_10766
; %bb.10761:                            ;   in Loop: Header=BB6_10551 Depth=3
	v_bfe_u32 v5, v1, 23, 8
	v_and_b32_e32 v4, 0x7fffff, v1
	v_cmp_gt_u32_e64 s16, 0x79, v5
	v_sub_nc_u32_e32 v28, 0x78, v5
	v_cmp_eq_u32_e32 vcc_lo, 0, v5
	v_or_b32_e32 v29, 0x800000, v4
	v_cndmask_b32_e64 v28, 0, v28, s16
	v_cndmask_b32_e32 v4, v29, v4, vcc_lo
	v_cndmask_b32_e64 v28, v28, 0x77, vcc_lo
	v_lshl_add_u32 v29, 0x100000, v28, -1
	v_lshlrev_b32_e64 v30, v28, 0x80000
	v_and_b32_e32 v29, v29, v4
	v_cmp_eq_u32_e64 s16, v29, v30
	v_lshrrev_b32_e32 v29, v28, v4
	v_add_nc_u32_e32 v4, 0xffffff89, v5
	v_lshrrev_b32_e32 v5, 23, v29
	v_cndmask_b32_e64 v4, v4, 0xffffff8a, vcc_lo
	v_xor_b32_e32 v5, 1, v5
	v_add_nc_u32_e32 v4, v28, v4
	v_bfe_u32 v28, v29, 20, 1
	v_add_nc_u32_e32 v28, -1, v28
	v_cndmask_b32_e64 v28, 0, v28, s16
	s_mov_b32 s16, exec_lo
	v_add_nc_u32_e32 v28, v28, v29
	v_and_b32_e32 v28, 0xfffff, v28
	v_add_nc_u32_e32 v29, v28, v29
                                        ; implicit-def: $vgpr28
	v_cmpx_ne_u32_e64 v4, v5
	s_xor_b32 s16, exec_lo, s16
; %bb.10762:                            ;   in Loop: Header=BB6_10551 Depth=3
	v_cmp_lt_u32_e32 vcc_lo, 0xffffff, v29
	v_sub_nc_u32_e32 v4, v4, v5
	v_cndmask_b32_e64 v5, 0, 1, vcc_lo
	v_add_co_ci_u32_e64 v28, null, 0, v4, vcc_lo
	v_lshrrev_b32_e32 v29, v5, v29
; %bb.10763:                            ;   in Loop: Header=BB6_10551 Depth=3
	s_andn2_saveexec_b32 s16, s16
; %bb.10764:                            ;   in Loop: Header=BB6_10551 Depth=3
	v_bfe_u32 v28, v29, 23, 1
; %bb.10765:                            ;   in Loop: Header=BB6_10551 Depth=3
	s_or_b32 exec_lo, exec_lo, s16
	v_lshrrev_b32_e32 v4, 20, v29
	v_min_i32_e32 v5, 15, v28
	v_cmp_gt_i32_e32 vcc_lo, 16, v28
	v_and_b32_sdwa v1, v1, v62 dst_sel:DWORD dst_unused:UNUSED_PAD src0_sel:BYTE_3 src1_sel:DWORD
	v_lshlrev_b32_e32 v5, 3, v5
	v_cndmask_b32_e32 v4, 7, v4, vcc_lo
	v_and_b32_e32 v5, 0xf8, v5
	v_and_b32_e32 v29, 7, v4
	v_or_b32_e32 v4, v28, v4
	v_or3_b32 v1, v1, v5, v29
	v_cmp_ne_u32_e32 vcc_lo, 0, v4
	v_lshlrev_b32_e32 v1, 8, v1
	v_cndmask_b32_e32 v111, 0, v1, vcc_lo
.LBB6_10766:                            ;   in Loop: Header=BB6_10551 Depth=3
	s_or_b32 exec_lo, exec_lo, s23
.LBB6_10767:                            ;   in Loop: Header=BB6_10551 Depth=3
	s_or_b32 exec_lo, exec_lo, s22
	v_and_b32_sdwa v1, v49, v72 dst_sel:DWORD dst_unused:UNUSED_PAD src0_sel:WORD_1 src1_sel:DWORD
	s_and_b32 vcc_lo, exec_lo, s19
	s_mov_b32 s22, -1
                                        ; implicit-def: $vgpr4
	v_cmp_lt_i16_e64 s16, 0x7f, v1
	s_cbranch_vccz .LBB6_10781
; %bb.10768:                            ;   in Loop: Header=BB6_10551 Depth=3
	s_mov_b32 s22, 0
	s_and_saveexec_b32 s23, s16
	s_xor_b32 s16, exec_lo, s23
	s_cbranch_execz .LBB6_12901
; %bb.10769:                            ;   in Loop: Header=BB6_10551 Depth=3
	s_mov_b32 s22, -1
	s_mov_b32 s23, exec_lo
	v_cmpx_eq_u16_e32 0x80, v1
; %bb.10770:                            ;   in Loop: Header=BB6_10551 Depth=3
	s_xor_b32 s22, exec_lo, -1
; %bb.10771:                            ;   in Loop: Header=BB6_10551 Depth=3
	s_or_b32 exec_lo, exec_lo, s23
	s_and_b32 s22, s22, exec_lo
	s_or_saveexec_b32 s16, s16
	v_mov_b32_e32 v4, 0x7f800001
	s_xor_b32 exec_lo, exec_lo, s16
	s_cbranch_execnz .LBB6_12902
.LBB6_10772:                            ;   in Loop: Header=BB6_10551 Depth=3
	s_or_b32 exec_lo, exec_lo, s16
	s_and_saveexec_b32 s16, s22
	s_cbranch_execz .LBB6_10774
.LBB6_10773:                            ;   in Loop: Header=BB6_10551 Depth=3
	v_bfe_u32 v4, v49, 16, 3
	v_bfe_u32 v29, v49, 19, 4
	v_lshlrev_b32_sdwa v30, v73, v49 dst_sel:DWORD dst_unused:UNUSED_PAD src0_sel:DWORD src1_sel:WORD_1
	v_ffbh_u32_e32 v5, v4
	v_cmp_eq_u32_e32 vcc_lo, 0, v29
	v_min_u32_e32 v5, 32, v5
	v_subrev_nc_u32_e32 v28, 28, v5
	v_sub_nc_u32_e32 v5, 29, v5
	v_lshlrev_b32_sdwa v28, v28, v49 dst_sel:DWORD dst_unused:UNUSED_PAD src0_sel:DWORD src1_sel:WORD_1
	v_cndmask_b32_e32 v5, v29, v5, vcc_lo
	v_and_b32_e32 v28, 7, v28
	v_lshl_add_u32 v5, v5, 23, 0x3b800000
	v_cndmask_b32_e32 v4, v4, v28, vcc_lo
	v_and_b32_e32 v28, 0x80000000, v30
	v_lshlrev_b32_e32 v4, 20, v4
	v_or3_b32 v4, v28, v5, v4
.LBB6_10774:                            ;   in Loop: Header=BB6_10551 Depth=3
	s_or_b32 exec_lo, exec_lo, s16
	v_and_b32_sdwa v28, v37, v72 dst_sel:DWORD dst_unused:UNUSED_PAD src0_sel:WORD_1 src1_sel:DWORD
	s_mov_b32 s22, 0
	s_mov_b32 s16, exec_lo
	v_cmpx_lt_i16_e32 0x7f, v28
	s_xor_b32 s16, exec_lo, s16
	s_cbranch_execz .LBB6_12903
; %bb.10775:                            ;   in Loop: Header=BB6_10551 Depth=3
	s_mov_b32 s22, -1
	s_mov_b32 s23, exec_lo
	v_cmpx_eq_u16_e32 0x80, v28
; %bb.10776:                            ;   in Loop: Header=BB6_10551 Depth=3
	s_xor_b32 s22, exec_lo, -1
; %bb.10777:                            ;   in Loop: Header=BB6_10551 Depth=3
	s_or_b32 exec_lo, exec_lo, s23
	s_and_b32 s22, s22, exec_lo
                                        ; implicit-def: $vgpr28
	s_or_saveexec_b32 s16, s16
	v_mov_b32_e32 v5, 0x7f800001
	s_xor_b32 exec_lo, exec_lo, s16
	s_cbranch_execnz .LBB6_12904
.LBB6_10778:                            ;   in Loop: Header=BB6_10551 Depth=3
	s_or_b32 exec_lo, exec_lo, s16
	s_and_saveexec_b32 s16, s22
	s_cbranch_execz .LBB6_10780
.LBB6_10779:                            ;   in Loop: Header=BB6_10551 Depth=3
	v_bfe_u32 v5, v37, 16, 3
	v_bfe_u32 v28, v37, 19, 4
	v_ffbh_u32_e32 v29, v5
	v_cmp_eq_u32_e32 vcc_lo, 0, v28
	v_min_u32_e32 v29, 32, v29
	v_subrev_nc_u32_e32 v30, 28, v29
	v_sub_nc_u32_e32 v29, 29, v29
	v_lshlrev_b32_sdwa v30, v30, v37 dst_sel:DWORD dst_unused:UNUSED_PAD src0_sel:DWORD src1_sel:WORD_1
	v_cndmask_b32_e32 v28, v28, v29, vcc_lo
	v_lshlrev_b32_sdwa v29, v73, v37 dst_sel:DWORD dst_unused:UNUSED_PAD src0_sel:DWORD src1_sel:WORD_1
	v_and_b32_e32 v30, 7, v30
	v_lshl_add_u32 v28, v28, 23, 0x3b800000
	v_and_b32_e32 v29, 0x80000000, v29
	v_cndmask_b32_e32 v5, v5, v30, vcc_lo
	v_lshlrev_b32_e32 v5, 20, v5
	v_or3_b32 v5, v29, v28, v5
.LBB6_10780:                            ;   in Loop: Header=BB6_10551 Depth=3
	s_or_b32 exec_lo, exec_lo, s16
	v_max_f32_e32 v5, v5, v5
	v_max_f32_e32 v4, v4, v4
	s_mov_b32 s22, 0
	v_max_f32_e32 v4, v4, v5
.LBB6_10781:                            ;   in Loop: Header=BB6_10551 Depth=3
	s_and_b32 vcc_lo, exec_lo, s22
	s_cbranch_vccz .LBB6_10795
; %bb.10782:                            ;   in Loop: Header=BB6_10551 Depth=3
	s_mov_b32 s16, 0
	s_mov_b32 s22, exec_lo
	v_cmpx_lt_i16_e32 0x7f, v1
	s_xor_b32 s22, exec_lo, s22
	s_cbranch_execz .LBB6_12905
; %bb.10783:                            ;   in Loop: Header=BB6_10551 Depth=3
	s_mov_b32 s16, -1
	s_mov_b32 s23, exec_lo
	v_cmpx_eq_u16_e32 0x80, v1
; %bb.10784:                            ;   in Loop: Header=BB6_10551 Depth=3
	s_xor_b32 s16, exec_lo, -1
; %bb.10785:                            ;   in Loop: Header=BB6_10551 Depth=3
	s_or_b32 exec_lo, exec_lo, s23
	s_and_b32 s16, s16, exec_lo
                                        ; implicit-def: $vgpr1
	s_or_saveexec_b32 s22, s22
	v_mov_b32_e32 v4, 0x7f800001
	s_xor_b32 exec_lo, exec_lo, s22
	s_cbranch_execnz .LBB6_12906
.LBB6_10786:                            ;   in Loop: Header=BB6_10551 Depth=3
	s_or_b32 exec_lo, exec_lo, s22
	s_and_saveexec_b32 s22, s16
	s_cbranch_execz .LBB6_10788
.LBB6_10787:                            ;   in Loop: Header=BB6_10551 Depth=3
	v_bfe_u32 v1, v49, 16, 3
	v_bfe_u32 v28, v49, 19, 4
	v_lshlrev_b32_sdwa v29, v73, v49 dst_sel:DWORD dst_unused:UNUSED_PAD src0_sel:DWORD src1_sel:WORD_1
	v_ffbh_u32_e32 v4, v1
	v_cmp_eq_u32_e32 vcc_lo, 0, v28
	v_min_u32_e32 v4, 32, v4
	v_subrev_nc_u32_e32 v5, 28, v4
	v_sub_nc_u32_e32 v4, 29, v4
	v_lshlrev_b32_sdwa v5, v5, v49 dst_sel:DWORD dst_unused:UNUSED_PAD src0_sel:DWORD src1_sel:WORD_1
	v_cndmask_b32_e32 v4, v28, v4, vcc_lo
	v_and_b32_e32 v5, 7, v5
	v_lshl_add_u32 v4, v4, 23, 0x3b800000
	v_cndmask_b32_e32 v1, v1, v5, vcc_lo
	v_and_b32_e32 v5, 0x80000000, v29
	v_lshlrev_b32_e32 v1, 20, v1
	v_or3_b32 v4, v5, v4, v1
.LBB6_10788:                            ;   in Loop: Header=BB6_10551 Depth=3
	s_or_b32 exec_lo, exec_lo, s22
	v_and_b32_sdwa v5, v37, v72 dst_sel:DWORD dst_unused:UNUSED_PAD src0_sel:WORD_1 src1_sel:DWORD
	s_mov_b32 s16, 0
	s_mov_b32 s22, exec_lo
	v_cmpx_lt_i16_e32 0x7f, v5
	s_xor_b32 s22, exec_lo, s22
	s_cbranch_execz .LBB6_12907
; %bb.10789:                            ;   in Loop: Header=BB6_10551 Depth=3
	s_mov_b32 s16, -1
	s_mov_b32 s23, exec_lo
	v_cmpx_eq_u16_e32 0x80, v5
; %bb.10790:                            ;   in Loop: Header=BB6_10551 Depth=3
	s_xor_b32 s16, exec_lo, -1
; %bb.10791:                            ;   in Loop: Header=BB6_10551 Depth=3
	s_or_b32 exec_lo, exec_lo, s23
	s_and_b32 s16, s16, exec_lo
                                        ; implicit-def: $vgpr5
	s_or_saveexec_b32 s22, s22
	v_mov_b32_e32 v1, 0x7f800001
	s_xor_b32 exec_lo, exec_lo, s22
	s_cbranch_execnz .LBB6_12908
.LBB6_10792:                            ;   in Loop: Header=BB6_10551 Depth=3
	s_or_b32 exec_lo, exec_lo, s22
	s_and_saveexec_b32 s22, s16
	s_cbranch_execz .LBB6_10794
.LBB6_10793:                            ;   in Loop: Header=BB6_10551 Depth=3
	v_bfe_u32 v1, v37, 16, 3
	v_bfe_u32 v29, v37, 19, 4
	v_lshlrev_b32_sdwa v30, v73, v37 dst_sel:DWORD dst_unused:UNUSED_PAD src0_sel:DWORD src1_sel:WORD_1
	v_ffbh_u32_e32 v5, v1
	v_cmp_eq_u32_e32 vcc_lo, 0, v29
	v_min_u32_e32 v5, 32, v5
	v_subrev_nc_u32_e32 v28, 28, v5
	v_sub_nc_u32_e32 v5, 29, v5
	v_lshlrev_b32_sdwa v28, v28, v37 dst_sel:DWORD dst_unused:UNUSED_PAD src0_sel:DWORD src1_sel:WORD_1
	v_cndmask_b32_e32 v5, v29, v5, vcc_lo
	v_and_b32_e32 v28, 7, v28
	v_lshl_add_u32 v5, v5, 23, 0x3b800000
	v_cndmask_b32_e32 v1, v1, v28, vcc_lo
	v_and_b32_e32 v28, 0x80000000, v30
	v_lshlrev_b32_e32 v1, 20, v1
	v_or3_b32 v1, v28, v5, v1
.LBB6_10794:                            ;   in Loop: Header=BB6_10551 Depth=3
	s_or_b32 exec_lo, exec_lo, s22
	v_max_f32_e32 v1, v1, v1
	v_max_f32_e32 v4, v4, v4
	v_min_f32_e32 v4, v4, v1
.LBB6_10795:                            ;   in Loop: Header=BB6_10551 Depth=3
	v_and_b32_e32 v1, 0x7f800000, v4
	v_mov_b32_e32 v120, 0x80
	s_mov_b32 s22, exec_lo
	v_cmpx_ne_u32_e32 0x7f800000, v1
	s_cbranch_execz .LBB6_10803
; %bb.10796:                            ;   in Loop: Header=BB6_10551 Depth=3
	v_mov_b32_e32 v120, 0
	s_mov_b32 s23, exec_lo
	v_cmpx_ne_u32_e32 0, v4
	s_cbranch_execz .LBB6_10802
; %bb.10797:                            ;   in Loop: Header=BB6_10551 Depth=3
	v_bfe_u32 v5, v4, 23, 8
	v_and_b32_e32 v1, 0x7fffff, v4
	v_cmp_gt_u32_e64 s16, 0x79, v5
	v_sub_nc_u32_e32 v28, 0x78, v5
	v_cmp_eq_u32_e32 vcc_lo, 0, v5
	v_or_b32_e32 v29, 0x800000, v1
	v_cndmask_b32_e64 v28, 0, v28, s16
	v_cndmask_b32_e32 v1, v29, v1, vcc_lo
	v_cndmask_b32_e64 v28, v28, 0x77, vcc_lo
	v_lshl_add_u32 v29, 0x100000, v28, -1
	v_lshlrev_b32_e64 v30, v28, 0x80000
	v_and_b32_e32 v29, v29, v1
	v_cmp_eq_u32_e64 s16, v29, v30
	v_lshrrev_b32_e32 v29, v28, v1
	v_add_nc_u32_e32 v1, 0xffffff89, v5
	v_lshrrev_b32_e32 v5, 23, v29
	v_cndmask_b32_e64 v1, v1, 0xffffff8a, vcc_lo
	v_xor_b32_e32 v5, 1, v5
	v_add_nc_u32_e32 v1, v28, v1
	v_bfe_u32 v28, v29, 20, 1
	v_add_nc_u32_e32 v28, -1, v28
	v_cndmask_b32_e64 v28, 0, v28, s16
	s_mov_b32 s16, exec_lo
	v_add_nc_u32_e32 v28, v28, v29
	v_and_b32_e32 v28, 0xfffff, v28
	v_add_nc_u32_e32 v29, v28, v29
                                        ; implicit-def: $vgpr28
	v_cmpx_ne_u32_e64 v1, v5
	s_xor_b32 s16, exec_lo, s16
; %bb.10798:                            ;   in Loop: Header=BB6_10551 Depth=3
	v_cmp_lt_u32_e32 vcc_lo, 0xffffff, v29
	v_sub_nc_u32_e32 v1, v1, v5
	v_cndmask_b32_e64 v5, 0, 1, vcc_lo
	v_add_co_ci_u32_e64 v28, null, 0, v1, vcc_lo
	v_lshrrev_b32_e32 v29, v5, v29
; %bb.10799:                            ;   in Loop: Header=BB6_10551 Depth=3
	s_andn2_saveexec_b32 s16, s16
; %bb.10800:                            ;   in Loop: Header=BB6_10551 Depth=3
	v_bfe_u32 v28, v29, 23, 1
; %bb.10801:                            ;   in Loop: Header=BB6_10551 Depth=3
	s_or_b32 exec_lo, exec_lo, s16
	v_lshrrev_b32_e32 v1, 20, v29
	v_min_i32_e32 v5, 15, v28
	v_cmp_gt_i32_e32 vcc_lo, 16, v28
	v_and_b32_sdwa v4, v4, v62 dst_sel:DWORD dst_unused:UNUSED_PAD src0_sel:BYTE_3 src1_sel:DWORD
	v_lshlrev_b32_e32 v5, 3, v5
	v_cndmask_b32_e32 v1, 7, v1, vcc_lo
	v_and_b32_e32 v5, 0xf8, v5
	v_and_b32_e32 v29, 7, v1
	v_or_b32_e32 v1, v28, v1
	v_or3_b32 v4, v5, v4, v29
	v_cmp_ne_u32_e32 vcc_lo, 0, v1
	v_cndmask_b32_e32 v120, 0, v4, vcc_lo
.LBB6_10802:                            ;   in Loop: Header=BB6_10551 Depth=3
	s_or_b32 exec_lo, exec_lo, s23
.LBB6_10803:                            ;   in Loop: Header=BB6_10551 Depth=3
	s_or_b32 exec_lo, exec_lo, s22
	v_cmp_gt_i16_sdwa s22, v49, v61 src0_sel:BYTE_3 src1_sel:DWORD
	s_and_b32 vcc_lo, exec_lo, s19
	s_mov_b32 s16, -1
                                        ; implicit-def: $vgpr1
	s_cbranch_vccz .LBB6_10817
; %bb.10804:                            ;   in Loop: Header=BB6_10551 Depth=3
	s_mov_b32 s16, 0
	s_and_saveexec_b32 s23, s22
	s_xor_b32 s22, exec_lo, s23
	s_cbranch_execz .LBB6_12909
; %bb.10805:                            ;   in Loop: Header=BB6_10551 Depth=3
	v_cmp_eq_u16_sdwa s73, v49, v62 src0_sel:BYTE_3 src1_sel:DWORD
	s_mov_b32 s16, -1
	s_and_saveexec_b32 s23, s73
; %bb.10806:                            ;   in Loop: Header=BB6_10551 Depth=3
	s_xor_b32 s16, exec_lo, -1
; %bb.10807:                            ;   in Loop: Header=BB6_10551 Depth=3
	s_or_b32 exec_lo, exec_lo, s23
	s_and_b32 s16, s16, exec_lo
	s_or_saveexec_b32 s22, s22
	v_mov_b32_e32 v1, 0x7f800001
	s_xor_b32 exec_lo, exec_lo, s22
	s_cbranch_execnz .LBB6_12910
.LBB6_10808:                            ;   in Loop: Header=BB6_10551 Depth=3
	s_or_b32 exec_lo, exec_lo, s22
	s_and_saveexec_b32 s22, s16
	s_cbranch_execz .LBB6_10810
.LBB6_10809:                            ;   in Loop: Header=BB6_10551 Depth=3
	v_bfe_u32 v1, v49, 24, 3
	v_bfe_u32 v28, v49, 27, 4
	v_ffbh_u32_e32 v4, v1
	v_cmp_eq_u32_e32 vcc_lo, 0, v28
	v_min_u32_e32 v4, 32, v4
	v_subrev_nc_u32_e32 v5, 28, v4
	v_sub_nc_u32_e32 v4, 29, v4
	v_lshlrev_b32_sdwa v5, v5, v49 dst_sel:DWORD dst_unused:UNUSED_PAD src0_sel:DWORD src1_sel:BYTE_3
	v_cndmask_b32_e32 v4, v28, v4, vcc_lo
	v_and_b32_e32 v5, 7, v5
	v_lshl_add_u32 v4, v4, 23, 0x3b800000
	v_cndmask_b32_e32 v1, v1, v5, vcc_lo
	v_and_b32_e32 v5, 0x80000000, v49
	v_lshlrev_b32_e32 v1, 20, v1
	v_or3_b32 v1, v5, v4, v1
.LBB6_10810:                            ;   in Loop: Header=BB6_10551 Depth=3
	s_or_b32 exec_lo, exec_lo, s22
	v_cmp_gt_i16_sdwa s22, v37, v61 src0_sel:BYTE_3 src1_sel:DWORD
	s_mov_b32 s16, 0
	s_and_saveexec_b32 s23, s22
	s_xor_b32 s22, exec_lo, s23
	s_cbranch_execz .LBB6_12911
; %bb.10811:                            ;   in Loop: Header=BB6_10551 Depth=3
	v_cmp_eq_u16_sdwa s73, v37, v62 src0_sel:BYTE_3 src1_sel:DWORD
	s_mov_b32 s16, -1
	s_and_saveexec_b32 s23, s73
; %bb.10812:                            ;   in Loop: Header=BB6_10551 Depth=3
	s_xor_b32 s16, exec_lo, -1
; %bb.10813:                            ;   in Loop: Header=BB6_10551 Depth=3
	s_or_b32 exec_lo, exec_lo, s23
	s_and_b32 s16, s16, exec_lo
	s_or_saveexec_b32 s22, s22
	v_mov_b32_e32 v4, 0x7f800001
	s_xor_b32 exec_lo, exec_lo, s22
	s_cbranch_execnz .LBB6_12912
.LBB6_10814:                            ;   in Loop: Header=BB6_10551 Depth=3
	s_or_b32 exec_lo, exec_lo, s22
	s_and_saveexec_b32 s22, s16
	s_cbranch_execz .LBB6_10816
.LBB6_10815:                            ;   in Loop: Header=BB6_10551 Depth=3
	v_bfe_u32 v4, v37, 24, 3
	v_bfe_u32 v29, v37, 27, 4
	v_ffbh_u32_e32 v5, v4
	v_cmp_eq_u32_e32 vcc_lo, 0, v29
	v_min_u32_e32 v5, 32, v5
	v_subrev_nc_u32_e32 v28, 28, v5
	v_sub_nc_u32_e32 v5, 29, v5
	v_lshlrev_b32_sdwa v28, v28, v37 dst_sel:DWORD dst_unused:UNUSED_PAD src0_sel:DWORD src1_sel:BYTE_3
	v_cndmask_b32_e32 v5, v29, v5, vcc_lo
	v_and_b32_e32 v28, 7, v28
	v_lshl_add_u32 v5, v5, 23, 0x3b800000
	v_cndmask_b32_e32 v4, v4, v28, vcc_lo
	v_and_b32_e32 v28, 0x80000000, v37
	v_lshlrev_b32_e32 v4, 20, v4
	v_or3_b32 v4, v28, v5, v4
.LBB6_10816:                            ;   in Loop: Header=BB6_10551 Depth=3
	s_or_b32 exec_lo, exec_lo, s22
	v_max_f32_e32 v4, v4, v4
	v_max_f32_e32 v1, v1, v1
	s_mov_b32 s16, 0
	v_max_f32_e32 v1, v1, v4
.LBB6_10817:                            ;   in Loop: Header=BB6_10551 Depth=3
	s_and_b32 vcc_lo, exec_lo, s16
	s_cbranch_vccz .LBB6_10831
; %bb.10818:                            ;   in Loop: Header=BB6_10551 Depth=3
	v_cmp_gt_i16_sdwa s22, v49, v61 src0_sel:BYTE_3 src1_sel:DWORD
	s_mov_b32 s16, 0
	s_and_saveexec_b32 s23, s22
	s_xor_b32 s22, exec_lo, s23
	s_cbranch_execz .LBB6_12913
; %bb.10819:                            ;   in Loop: Header=BB6_10551 Depth=3
	v_cmp_eq_u16_sdwa s73, v49, v62 src0_sel:BYTE_3 src1_sel:DWORD
	s_mov_b32 s16, -1
	s_and_saveexec_b32 s23, s73
; %bb.10820:                            ;   in Loop: Header=BB6_10551 Depth=3
	s_xor_b32 s16, exec_lo, -1
; %bb.10821:                            ;   in Loop: Header=BB6_10551 Depth=3
	s_or_b32 exec_lo, exec_lo, s23
	s_and_b32 s16, s16, exec_lo
	s_or_saveexec_b32 s22, s22
	v_mov_b32_e32 v1, 0x7f800001
	s_xor_b32 exec_lo, exec_lo, s22
	s_cbranch_execnz .LBB6_12914
.LBB6_10822:                            ;   in Loop: Header=BB6_10551 Depth=3
	s_or_b32 exec_lo, exec_lo, s22
	s_and_saveexec_b32 s22, s16
	s_cbranch_execz .LBB6_10824
.LBB6_10823:                            ;   in Loop: Header=BB6_10551 Depth=3
	v_bfe_u32 v1, v49, 24, 3
	v_bfe_u32 v28, v49, 27, 4
	v_ffbh_u32_e32 v4, v1
	v_cmp_eq_u32_e32 vcc_lo, 0, v28
	v_min_u32_e32 v4, 32, v4
	v_subrev_nc_u32_e32 v5, 28, v4
	v_sub_nc_u32_e32 v4, 29, v4
	v_lshlrev_b32_sdwa v5, v5, v49 dst_sel:DWORD dst_unused:UNUSED_PAD src0_sel:DWORD src1_sel:BYTE_3
	v_cndmask_b32_e32 v4, v28, v4, vcc_lo
	v_and_b32_e32 v5, 7, v5
	v_lshl_add_u32 v4, v4, 23, 0x3b800000
	v_cndmask_b32_e32 v1, v1, v5, vcc_lo
	v_and_b32_e32 v5, 0x80000000, v49
	v_lshlrev_b32_e32 v1, 20, v1
	v_or3_b32 v1, v5, v4, v1
.LBB6_10824:                            ;   in Loop: Header=BB6_10551 Depth=3
	s_or_b32 exec_lo, exec_lo, s22
	v_cmp_gt_i16_sdwa s22, v37, v61 src0_sel:BYTE_3 src1_sel:DWORD
	s_mov_b32 s16, 0
	s_and_saveexec_b32 s23, s22
	s_xor_b32 s22, exec_lo, s23
	s_cbranch_execz .LBB6_12915
; %bb.10825:                            ;   in Loop: Header=BB6_10551 Depth=3
	v_cmp_eq_u16_sdwa s73, v37, v62 src0_sel:BYTE_3 src1_sel:DWORD
	s_mov_b32 s16, -1
	s_and_saveexec_b32 s23, s73
; %bb.10826:                            ;   in Loop: Header=BB6_10551 Depth=3
	s_xor_b32 s16, exec_lo, -1
; %bb.10827:                            ;   in Loop: Header=BB6_10551 Depth=3
	s_or_b32 exec_lo, exec_lo, s23
	s_and_b32 s16, s16, exec_lo
	s_or_saveexec_b32 s22, s22
	v_mov_b32_e32 v4, 0x7f800001
	s_xor_b32 exec_lo, exec_lo, s22
	s_cbranch_execnz .LBB6_12916
.LBB6_10828:                            ;   in Loop: Header=BB6_10551 Depth=3
	s_or_b32 exec_lo, exec_lo, s22
	s_and_saveexec_b32 s22, s16
	s_cbranch_execz .LBB6_10830
.LBB6_10829:                            ;   in Loop: Header=BB6_10551 Depth=3
	v_bfe_u32 v4, v37, 24, 3
	v_bfe_u32 v29, v37, 27, 4
	v_ffbh_u32_e32 v5, v4
	v_cmp_eq_u32_e32 vcc_lo, 0, v29
	v_min_u32_e32 v5, 32, v5
	v_subrev_nc_u32_e32 v28, 28, v5
	v_sub_nc_u32_e32 v5, 29, v5
	v_lshlrev_b32_sdwa v28, v28, v37 dst_sel:DWORD dst_unused:UNUSED_PAD src0_sel:DWORD src1_sel:BYTE_3
	v_cndmask_b32_e32 v5, v29, v5, vcc_lo
	v_and_b32_e32 v28, 7, v28
	v_lshl_add_u32 v5, v5, 23, 0x3b800000
	v_cndmask_b32_e32 v4, v4, v28, vcc_lo
	v_and_b32_e32 v28, 0x80000000, v37
	v_lshlrev_b32_e32 v4, 20, v4
	v_or3_b32 v4, v28, v5, v4
.LBB6_10830:                            ;   in Loop: Header=BB6_10551 Depth=3
	s_or_b32 exec_lo, exec_lo, s22
	v_max_f32_e32 v4, v4, v4
	v_max_f32_e32 v1, v1, v1
	v_min_f32_e32 v1, v1, v4
.LBB6_10831:                            ;   in Loop: Header=BB6_10551 Depth=3
	v_and_b32_e32 v4, 0x7f800000, v1
	v_mov_b32_e32 v37, 0x8000
	s_mov_b32 s22, exec_lo
	v_cmpx_ne_u32_e32 0x7f800000, v4
	s_cbranch_execz .LBB6_10839
; %bb.10832:                            ;   in Loop: Header=BB6_10551 Depth=3
	v_mov_b32_e32 v37, 0
	s_mov_b32 s23, exec_lo
	v_cmpx_ne_u32_e32 0, v1
	s_cbranch_execz .LBB6_10838
; %bb.10833:                            ;   in Loop: Header=BB6_10551 Depth=3
	v_bfe_u32 v5, v1, 23, 8
	v_and_b32_e32 v4, 0x7fffff, v1
	v_cmp_gt_u32_e64 s16, 0x79, v5
	v_sub_nc_u32_e32 v28, 0x78, v5
	v_cmp_eq_u32_e32 vcc_lo, 0, v5
	v_or_b32_e32 v29, 0x800000, v4
	v_cndmask_b32_e64 v28, 0, v28, s16
	v_cndmask_b32_e32 v4, v29, v4, vcc_lo
	v_cndmask_b32_e64 v28, v28, 0x77, vcc_lo
	v_lshl_add_u32 v29, 0x100000, v28, -1
	v_lshlrev_b32_e64 v30, v28, 0x80000
	v_and_b32_e32 v29, v29, v4
	v_cmp_eq_u32_e64 s16, v29, v30
	v_lshrrev_b32_e32 v29, v28, v4
	v_add_nc_u32_e32 v4, 0xffffff89, v5
	v_lshrrev_b32_e32 v5, 23, v29
	v_cndmask_b32_e64 v4, v4, 0xffffff8a, vcc_lo
	v_xor_b32_e32 v5, 1, v5
	v_add_nc_u32_e32 v4, v28, v4
	v_bfe_u32 v28, v29, 20, 1
	v_add_nc_u32_e32 v28, -1, v28
	v_cndmask_b32_e64 v28, 0, v28, s16
	s_mov_b32 s16, exec_lo
	v_add_nc_u32_e32 v28, v28, v29
	v_and_b32_e32 v28, 0xfffff, v28
	v_add_nc_u32_e32 v29, v28, v29
                                        ; implicit-def: $vgpr28
	v_cmpx_ne_u32_e64 v4, v5
	s_xor_b32 s16, exec_lo, s16
; %bb.10834:                            ;   in Loop: Header=BB6_10551 Depth=3
	v_cmp_lt_u32_e32 vcc_lo, 0xffffff, v29
	v_sub_nc_u32_e32 v4, v4, v5
	v_cndmask_b32_e64 v5, 0, 1, vcc_lo
	v_add_co_ci_u32_e64 v28, null, 0, v4, vcc_lo
	v_lshrrev_b32_e32 v29, v5, v29
; %bb.10835:                            ;   in Loop: Header=BB6_10551 Depth=3
	s_andn2_saveexec_b32 s16, s16
; %bb.10836:                            ;   in Loop: Header=BB6_10551 Depth=3
	v_bfe_u32 v28, v29, 23, 1
; %bb.10837:                            ;   in Loop: Header=BB6_10551 Depth=3
	s_or_b32 exec_lo, exec_lo, s16
	v_lshrrev_b32_e32 v4, 20, v29
	v_min_i32_e32 v5, 15, v28
	v_cmp_gt_i32_e32 vcc_lo, 16, v28
	v_and_b32_sdwa v1, v1, v62 dst_sel:DWORD dst_unused:UNUSED_PAD src0_sel:BYTE_3 src1_sel:DWORD
	v_lshlrev_b32_e32 v5, 3, v5
	v_cndmask_b32_e32 v4, 7, v4, vcc_lo
	v_and_b32_e32 v5, 0xf8, v5
	v_and_b32_e32 v29, 7, v4
	v_or_b32_e32 v4, v28, v4
	v_or3_b32 v1, v1, v5, v29
	v_cmp_ne_u32_e32 vcc_lo, 0, v4
	v_lshlrev_b32_e32 v1, 8, v1
	v_cndmask_b32_e32 v37, 0, v1, vcc_lo
.LBB6_10838:                            ;   in Loop: Header=BB6_10551 Depth=3
	s_or_b32 exec_lo, exec_lo, s23
.LBB6_10839:                            ;   in Loop: Header=BB6_10551 Depth=3
	s_or_b32 exec_lo, exec_lo, s22
	v_cmp_gt_i16_sdwa s22, v50, v61 src0_sel:BYTE_0 src1_sel:DWORD
	s_and_b32 vcc_lo, exec_lo, s19
	s_mov_b32 s16, -1
                                        ; implicit-def: $vgpr1
	s_cbranch_vccz .LBB6_10853
; %bb.10840:                            ;   in Loop: Header=BB6_10551 Depth=3
	s_mov_b32 s16, 0
	s_and_saveexec_b32 s23, s22
	s_xor_b32 s22, exec_lo, s23
	s_cbranch_execz .LBB6_12917
; %bb.10841:                            ;   in Loop: Header=BB6_10551 Depth=3
	v_cmp_eq_u16_sdwa s73, v50, v62 src0_sel:BYTE_0 src1_sel:DWORD
	s_mov_b32 s16, -1
	s_and_saveexec_b32 s23, s73
; %bb.10842:                            ;   in Loop: Header=BB6_10551 Depth=3
	s_xor_b32 s16, exec_lo, -1
; %bb.10843:                            ;   in Loop: Header=BB6_10551 Depth=3
	s_or_b32 exec_lo, exec_lo, s23
	s_and_b32 s16, s16, exec_lo
	s_or_saveexec_b32 s22, s22
	v_mov_b32_e32 v1, 0x7f800001
	s_xor_b32 exec_lo, exec_lo, s22
	s_cbranch_execnz .LBB6_12918
.LBB6_10844:                            ;   in Loop: Header=BB6_10551 Depth=3
	s_or_b32 exec_lo, exec_lo, s22
	s_and_saveexec_b32 s22, s16
	s_cbranch_execz .LBB6_10846
.LBB6_10845:                            ;   in Loop: Header=BB6_10551 Depth=3
	v_and_b32_e32 v1, 7, v50
	v_bfe_u32 v28, v50, 3, 4
	v_lshlrev_b32_e32 v29, 24, v50
	v_ffbh_u32_e32 v4, v1
	v_cmp_eq_u32_e32 vcc_lo, 0, v28
	v_min_u32_e32 v4, 32, v4
	v_subrev_nc_u32_e32 v5, 28, v4
	v_sub_nc_u32_e32 v4, 29, v4
	v_lshlrev_b32_e32 v5, v5, v50
	v_cndmask_b32_e32 v4, v28, v4, vcc_lo
	v_and_b32_e32 v5, 7, v5
	v_lshl_add_u32 v4, v4, 23, 0x3b800000
	v_cndmask_b32_e32 v1, v1, v5, vcc_lo
	v_and_b32_e32 v5, 0x80000000, v29
	v_lshlrev_b32_e32 v1, 20, v1
	v_or3_b32 v1, v5, v4, v1
.LBB6_10846:                            ;   in Loop: Header=BB6_10551 Depth=3
	s_or_b32 exec_lo, exec_lo, s22
	v_cmp_gt_i16_sdwa s22, v38, v61 src0_sel:BYTE_0 src1_sel:DWORD
	s_mov_b32 s16, 0
	s_and_saveexec_b32 s23, s22
	s_xor_b32 s22, exec_lo, s23
	s_cbranch_execz .LBB6_12919
; %bb.10847:                            ;   in Loop: Header=BB6_10551 Depth=3
	v_cmp_eq_u16_sdwa s73, v38, v62 src0_sel:BYTE_0 src1_sel:DWORD
	s_mov_b32 s16, -1
	s_and_saveexec_b32 s23, s73
; %bb.10848:                            ;   in Loop: Header=BB6_10551 Depth=3
	s_xor_b32 s16, exec_lo, -1
; %bb.10849:                            ;   in Loop: Header=BB6_10551 Depth=3
	s_or_b32 exec_lo, exec_lo, s23
	s_and_b32 s16, s16, exec_lo
	s_or_saveexec_b32 s22, s22
	v_mov_b32_e32 v4, 0x7f800001
	s_xor_b32 exec_lo, exec_lo, s22
	s_cbranch_execnz .LBB6_12920
.LBB6_10850:                            ;   in Loop: Header=BB6_10551 Depth=3
	s_or_b32 exec_lo, exec_lo, s22
	s_and_saveexec_b32 s22, s16
	s_cbranch_execz .LBB6_10852
.LBB6_10851:                            ;   in Loop: Header=BB6_10551 Depth=3
	v_and_b32_e32 v4, 7, v38
	v_bfe_u32 v29, v38, 3, 4
	v_lshlrev_b32_e32 v30, 24, v38
	v_ffbh_u32_e32 v5, v4
	v_cmp_eq_u32_e32 vcc_lo, 0, v29
	v_min_u32_e32 v5, 32, v5
	v_subrev_nc_u32_e32 v28, 28, v5
	v_sub_nc_u32_e32 v5, 29, v5
	v_lshlrev_b32_e32 v28, v28, v38
	v_cndmask_b32_e32 v5, v29, v5, vcc_lo
	v_and_b32_e32 v28, 7, v28
	v_lshl_add_u32 v5, v5, 23, 0x3b800000
	v_cndmask_b32_e32 v4, v4, v28, vcc_lo
	v_and_b32_e32 v28, 0x80000000, v30
	v_lshlrev_b32_e32 v4, 20, v4
	v_or3_b32 v4, v28, v5, v4
.LBB6_10852:                            ;   in Loop: Header=BB6_10551 Depth=3
	s_or_b32 exec_lo, exec_lo, s22
	v_max_f32_e32 v4, v4, v4
	v_max_f32_e32 v1, v1, v1
	s_mov_b32 s16, 0
	v_max_f32_e32 v1, v1, v4
.LBB6_10853:                            ;   in Loop: Header=BB6_10551 Depth=3
	s_and_b32 vcc_lo, exec_lo, s16
	s_cbranch_vccz .LBB6_10867
; %bb.10854:                            ;   in Loop: Header=BB6_10551 Depth=3
	v_cmp_gt_i16_sdwa s22, v50, v61 src0_sel:BYTE_0 src1_sel:DWORD
	s_mov_b32 s16, 0
	s_and_saveexec_b32 s23, s22
	s_xor_b32 s22, exec_lo, s23
	s_cbranch_execz .LBB6_12921
; %bb.10855:                            ;   in Loop: Header=BB6_10551 Depth=3
	v_cmp_eq_u16_sdwa s73, v50, v62 src0_sel:BYTE_0 src1_sel:DWORD
	s_mov_b32 s16, -1
	s_and_saveexec_b32 s23, s73
; %bb.10856:                            ;   in Loop: Header=BB6_10551 Depth=3
	s_xor_b32 s16, exec_lo, -1
; %bb.10857:                            ;   in Loop: Header=BB6_10551 Depth=3
	s_or_b32 exec_lo, exec_lo, s23
	s_and_b32 s16, s16, exec_lo
	s_or_saveexec_b32 s22, s22
	v_mov_b32_e32 v1, 0x7f800001
	s_xor_b32 exec_lo, exec_lo, s22
	s_cbranch_execnz .LBB6_12922
.LBB6_10858:                            ;   in Loop: Header=BB6_10551 Depth=3
	s_or_b32 exec_lo, exec_lo, s22
	s_and_saveexec_b32 s22, s16
	s_cbranch_execz .LBB6_10860
.LBB6_10859:                            ;   in Loop: Header=BB6_10551 Depth=3
	v_and_b32_e32 v1, 7, v50
	v_bfe_u32 v28, v50, 3, 4
	v_lshlrev_b32_e32 v29, 24, v50
	v_ffbh_u32_e32 v4, v1
	v_cmp_eq_u32_e32 vcc_lo, 0, v28
	v_min_u32_e32 v4, 32, v4
	v_subrev_nc_u32_e32 v5, 28, v4
	v_sub_nc_u32_e32 v4, 29, v4
	v_lshlrev_b32_e32 v5, v5, v50
	v_cndmask_b32_e32 v4, v28, v4, vcc_lo
	v_and_b32_e32 v5, 7, v5
	v_lshl_add_u32 v4, v4, 23, 0x3b800000
	v_cndmask_b32_e32 v1, v1, v5, vcc_lo
	v_and_b32_e32 v5, 0x80000000, v29
	v_lshlrev_b32_e32 v1, 20, v1
	v_or3_b32 v1, v5, v4, v1
.LBB6_10860:                            ;   in Loop: Header=BB6_10551 Depth=3
	s_or_b32 exec_lo, exec_lo, s22
	v_cmp_gt_i16_sdwa s22, v38, v61 src0_sel:BYTE_0 src1_sel:DWORD
	s_mov_b32 s16, 0
	s_and_saveexec_b32 s23, s22
	s_xor_b32 s22, exec_lo, s23
	s_cbranch_execz .LBB6_12923
; %bb.10861:                            ;   in Loop: Header=BB6_10551 Depth=3
	v_cmp_eq_u16_sdwa s73, v38, v62 src0_sel:BYTE_0 src1_sel:DWORD
	s_mov_b32 s16, -1
	s_and_saveexec_b32 s23, s73
; %bb.10862:                            ;   in Loop: Header=BB6_10551 Depth=3
	s_xor_b32 s16, exec_lo, -1
; %bb.10863:                            ;   in Loop: Header=BB6_10551 Depth=3
	s_or_b32 exec_lo, exec_lo, s23
	s_and_b32 s16, s16, exec_lo
	s_or_saveexec_b32 s22, s22
	v_mov_b32_e32 v4, 0x7f800001
	s_xor_b32 exec_lo, exec_lo, s22
	s_cbranch_execnz .LBB6_12924
.LBB6_10864:                            ;   in Loop: Header=BB6_10551 Depth=3
	s_or_b32 exec_lo, exec_lo, s22
	s_and_saveexec_b32 s22, s16
	s_cbranch_execz .LBB6_10866
.LBB6_10865:                            ;   in Loop: Header=BB6_10551 Depth=3
	v_and_b32_e32 v4, 7, v38
	v_bfe_u32 v29, v38, 3, 4
	v_lshlrev_b32_e32 v30, 24, v38
	v_ffbh_u32_e32 v5, v4
	v_cmp_eq_u32_e32 vcc_lo, 0, v29
	v_min_u32_e32 v5, 32, v5
	v_subrev_nc_u32_e32 v28, 28, v5
	v_sub_nc_u32_e32 v5, 29, v5
	v_lshlrev_b32_e32 v28, v28, v38
	v_cndmask_b32_e32 v5, v29, v5, vcc_lo
	v_and_b32_e32 v28, 7, v28
	v_lshl_add_u32 v5, v5, 23, 0x3b800000
	v_cndmask_b32_e32 v4, v4, v28, vcc_lo
	v_and_b32_e32 v28, 0x80000000, v30
	v_lshlrev_b32_e32 v4, 20, v4
	v_or3_b32 v4, v28, v5, v4
.LBB6_10866:                            ;   in Loop: Header=BB6_10551 Depth=3
	s_or_b32 exec_lo, exec_lo, s22
	v_max_f32_e32 v4, v4, v4
	v_max_f32_e32 v1, v1, v1
	v_min_f32_e32 v1, v1, v4
.LBB6_10867:                            ;   in Loop: Header=BB6_10551 Depth=3
	v_and_b32_e32 v4, 0x7f800000, v1
	v_mov_b32_e32 v49, 0x80
	s_mov_b32 s22, exec_lo
	v_cmpx_ne_u32_e32 0x7f800000, v4
	s_cbranch_execz .LBB6_10875
; %bb.10868:                            ;   in Loop: Header=BB6_10551 Depth=3
	v_mov_b32_e32 v49, 0
	s_mov_b32 s23, exec_lo
	v_cmpx_ne_u32_e32 0, v1
	s_cbranch_execz .LBB6_10874
; %bb.10869:                            ;   in Loop: Header=BB6_10551 Depth=3
	v_bfe_u32 v5, v1, 23, 8
	v_and_b32_e32 v4, 0x7fffff, v1
	v_cmp_gt_u32_e64 s16, 0x79, v5
	v_sub_nc_u32_e32 v28, 0x78, v5
	v_cmp_eq_u32_e32 vcc_lo, 0, v5
	v_or_b32_e32 v29, 0x800000, v4
	v_cndmask_b32_e64 v28, 0, v28, s16
	v_cndmask_b32_e32 v4, v29, v4, vcc_lo
	v_cndmask_b32_e64 v28, v28, 0x77, vcc_lo
	v_lshl_add_u32 v29, 0x100000, v28, -1
	v_lshlrev_b32_e64 v30, v28, 0x80000
	v_and_b32_e32 v29, v29, v4
	v_cmp_eq_u32_e64 s16, v29, v30
	v_lshrrev_b32_e32 v29, v28, v4
	v_add_nc_u32_e32 v4, 0xffffff89, v5
	v_lshrrev_b32_e32 v5, 23, v29
	v_cndmask_b32_e64 v4, v4, 0xffffff8a, vcc_lo
	v_xor_b32_e32 v5, 1, v5
	v_add_nc_u32_e32 v4, v28, v4
	v_bfe_u32 v28, v29, 20, 1
	v_add_nc_u32_e32 v28, -1, v28
	v_cndmask_b32_e64 v28, 0, v28, s16
	s_mov_b32 s16, exec_lo
	v_add_nc_u32_e32 v28, v28, v29
	v_and_b32_e32 v28, 0xfffff, v28
	v_add_nc_u32_e32 v29, v28, v29
                                        ; implicit-def: $vgpr28
	v_cmpx_ne_u32_e64 v4, v5
	s_xor_b32 s16, exec_lo, s16
; %bb.10870:                            ;   in Loop: Header=BB6_10551 Depth=3
	v_cmp_lt_u32_e32 vcc_lo, 0xffffff, v29
	v_sub_nc_u32_e32 v4, v4, v5
	v_cndmask_b32_e64 v5, 0, 1, vcc_lo
	v_add_co_ci_u32_e64 v28, null, 0, v4, vcc_lo
	v_lshrrev_b32_e32 v29, v5, v29
; %bb.10871:                            ;   in Loop: Header=BB6_10551 Depth=3
	s_andn2_saveexec_b32 s16, s16
; %bb.10872:                            ;   in Loop: Header=BB6_10551 Depth=3
	v_bfe_u32 v28, v29, 23, 1
; %bb.10873:                            ;   in Loop: Header=BB6_10551 Depth=3
	s_or_b32 exec_lo, exec_lo, s16
	v_lshrrev_b32_e32 v4, 20, v29
	v_min_i32_e32 v5, 15, v28
	v_cmp_gt_i32_e32 vcc_lo, 16, v28
	v_and_b32_sdwa v1, v1, v62 dst_sel:DWORD dst_unused:UNUSED_PAD src0_sel:BYTE_3 src1_sel:DWORD
	v_lshlrev_b32_e32 v5, 3, v5
	v_cndmask_b32_e32 v4, 7, v4, vcc_lo
	v_and_b32_e32 v5, 0xf8, v5
	v_and_b32_e32 v29, 7, v4
	v_or_b32_e32 v4, v28, v4
	v_or3_b32 v1, v5, v1, v29
	v_cmp_ne_u32_e32 vcc_lo, 0, v4
	v_cndmask_b32_e32 v49, 0, v1, vcc_lo
.LBB6_10874:                            ;   in Loop: Header=BB6_10551 Depth=3
	s_or_b32 exec_lo, exec_lo, s23
.LBB6_10875:                            ;   in Loop: Header=BB6_10551 Depth=3
	s_or_b32 exec_lo, exec_lo, s22
	v_cmp_gt_i16_sdwa s22, v50, v61 src0_sel:BYTE_1 src1_sel:DWORD
	s_and_b32 vcc_lo, exec_lo, s19
	s_mov_b32 s16, -1
                                        ; implicit-def: $vgpr1
	s_cbranch_vccz .LBB6_10889
; %bb.10876:                            ;   in Loop: Header=BB6_10551 Depth=3
	s_mov_b32 s16, 0
	s_and_saveexec_b32 s23, s22
	s_xor_b32 s22, exec_lo, s23
	s_cbranch_execz .LBB6_12925
; %bb.10877:                            ;   in Loop: Header=BB6_10551 Depth=3
	v_cmp_eq_u16_sdwa s73, v50, v62 src0_sel:BYTE_1 src1_sel:DWORD
	s_mov_b32 s16, -1
	s_and_saveexec_b32 s23, s73
; %bb.10878:                            ;   in Loop: Header=BB6_10551 Depth=3
	s_xor_b32 s16, exec_lo, -1
; %bb.10879:                            ;   in Loop: Header=BB6_10551 Depth=3
	s_or_b32 exec_lo, exec_lo, s23
	s_and_b32 s16, s16, exec_lo
	s_or_saveexec_b32 s22, s22
	v_mov_b32_e32 v1, 0x7f800001
	s_xor_b32 exec_lo, exec_lo, s22
	s_cbranch_execnz .LBB6_12926
.LBB6_10880:                            ;   in Loop: Header=BB6_10551 Depth=3
	s_or_b32 exec_lo, exec_lo, s22
	s_and_saveexec_b32 s22, s16
	s_cbranch_execz .LBB6_10882
.LBB6_10881:                            ;   in Loop: Header=BB6_10551 Depth=3
	v_and_b32_sdwa v1, v63, v50 dst_sel:DWORD dst_unused:UNUSED_PAD src0_sel:DWORD src1_sel:BYTE_1
	v_and_b32_e32 v4, 7, v1
	v_bfe_u32 v29, v1, 3, 4
	v_ffbh_u32_e32 v5, v4
	v_cmp_eq_u32_e32 vcc_lo, 0, v29
	v_min_u32_e32 v5, 32, v5
	v_subrev_nc_u32_e32 v28, 28, v5
	v_sub_nc_u32_e32 v5, 29, v5
	v_lshlrev_b32_e32 v1, v28, v1
	v_lshlrev_b32_e32 v28, 16, v50
	v_cndmask_b32_e32 v5, v29, v5, vcc_lo
	v_and_b32_e32 v1, 7, v1
	v_lshl_add_u32 v5, v5, 23, 0x3b800000
	v_cndmask_b32_e32 v1, v4, v1, vcc_lo
	v_and_b32_e32 v4, 0x80000000, v28
	v_lshlrev_b32_e32 v1, 20, v1
	v_or3_b32 v1, v4, v5, v1
.LBB6_10882:                            ;   in Loop: Header=BB6_10551 Depth=3
	s_or_b32 exec_lo, exec_lo, s22
	v_cmp_gt_i16_sdwa s16, v38, v61 src0_sel:BYTE_1 src1_sel:DWORD
	s_mov_b32 s22, 0
	s_and_saveexec_b32 s23, s16
	s_xor_b32 s16, exec_lo, s23
	s_cbranch_execz .LBB6_12927
; %bb.10883:                            ;   in Loop: Header=BB6_10551 Depth=3
	v_cmp_eq_u16_sdwa s73, v38, v62 src0_sel:BYTE_1 src1_sel:DWORD
	s_mov_b32 s22, -1
	s_and_saveexec_b32 s23, s73
; %bb.10884:                            ;   in Loop: Header=BB6_10551 Depth=3
	s_xor_b32 s22, exec_lo, -1
; %bb.10885:                            ;   in Loop: Header=BB6_10551 Depth=3
	s_or_b32 exec_lo, exec_lo, s23
	s_and_b32 s22, s22, exec_lo
	s_or_saveexec_b32 s16, s16
	v_mov_b32_e32 v4, 0x7f800001
	s_xor_b32 exec_lo, exec_lo, s16
	s_cbranch_execnz .LBB6_12928
.LBB6_10886:                            ;   in Loop: Header=BB6_10551 Depth=3
	s_or_b32 exec_lo, exec_lo, s16
	s_and_saveexec_b32 s16, s22
	s_cbranch_execz .LBB6_10888
.LBB6_10887:                            ;   in Loop: Header=BB6_10551 Depth=3
	v_and_b32_sdwa v4, v63, v38 dst_sel:DWORD dst_unused:UNUSED_PAD src0_sel:DWORD src1_sel:BYTE_1
	v_and_b32_e32 v5, 7, v4
	v_bfe_u32 v30, v4, 3, 4
	v_ffbh_u32_e32 v28, v5
	v_cmp_eq_u32_e32 vcc_lo, 0, v30
	v_min_u32_e32 v28, 32, v28
	v_subrev_nc_u32_e32 v29, 28, v28
	v_sub_nc_u32_e32 v28, 29, v28
	v_lshlrev_b32_e32 v4, v29, v4
	v_lshlrev_b32_e32 v29, 16, v38
	v_cndmask_b32_e32 v28, v30, v28, vcc_lo
	v_and_b32_e32 v4, 7, v4
	v_lshl_add_u32 v28, v28, 23, 0x3b800000
	v_cndmask_b32_e32 v4, v5, v4, vcc_lo
	v_and_b32_e32 v5, 0x80000000, v29
	v_lshlrev_b32_e32 v4, 20, v4
	v_or3_b32 v4, v5, v28, v4
.LBB6_10888:                            ;   in Loop: Header=BB6_10551 Depth=3
	s_or_b32 exec_lo, exec_lo, s16
	v_max_f32_e32 v4, v4, v4
	v_max_f32_e32 v1, v1, v1
	s_mov_b32 s16, 0
	v_max_f32_e32 v1, v1, v4
.LBB6_10889:                            ;   in Loop: Header=BB6_10551 Depth=3
	s_and_b32 vcc_lo, exec_lo, s16
	s_cbranch_vccz .LBB6_10903
; %bb.10890:                            ;   in Loop: Header=BB6_10551 Depth=3
	v_cmp_gt_i16_sdwa s22, v50, v61 src0_sel:BYTE_1 src1_sel:DWORD
	s_mov_b32 s16, 0
	s_and_saveexec_b32 s23, s22
	s_xor_b32 s22, exec_lo, s23
	s_cbranch_execz .LBB6_12929
; %bb.10891:                            ;   in Loop: Header=BB6_10551 Depth=3
	v_cmp_eq_u16_sdwa s73, v50, v62 src0_sel:BYTE_1 src1_sel:DWORD
	s_mov_b32 s16, -1
	s_and_saveexec_b32 s23, s73
; %bb.10892:                            ;   in Loop: Header=BB6_10551 Depth=3
	s_xor_b32 s16, exec_lo, -1
; %bb.10893:                            ;   in Loop: Header=BB6_10551 Depth=3
	s_or_b32 exec_lo, exec_lo, s23
	s_and_b32 s16, s16, exec_lo
	s_or_saveexec_b32 s22, s22
	v_mov_b32_e32 v1, 0x7f800001
	s_xor_b32 exec_lo, exec_lo, s22
	s_cbranch_execnz .LBB6_12930
.LBB6_10894:                            ;   in Loop: Header=BB6_10551 Depth=3
	s_or_b32 exec_lo, exec_lo, s22
	s_and_saveexec_b32 s22, s16
	s_cbranch_execz .LBB6_10896
.LBB6_10895:                            ;   in Loop: Header=BB6_10551 Depth=3
	v_and_b32_sdwa v1, v63, v50 dst_sel:DWORD dst_unused:UNUSED_PAD src0_sel:DWORD src1_sel:BYTE_1
	v_and_b32_e32 v4, 7, v1
	v_bfe_u32 v29, v1, 3, 4
	v_ffbh_u32_e32 v5, v4
	v_cmp_eq_u32_e32 vcc_lo, 0, v29
	v_min_u32_e32 v5, 32, v5
	v_subrev_nc_u32_e32 v28, 28, v5
	v_sub_nc_u32_e32 v5, 29, v5
	v_lshlrev_b32_e32 v1, v28, v1
	v_lshlrev_b32_e32 v28, 16, v50
	v_cndmask_b32_e32 v5, v29, v5, vcc_lo
	v_and_b32_e32 v1, 7, v1
	v_lshl_add_u32 v5, v5, 23, 0x3b800000
	v_cndmask_b32_e32 v1, v4, v1, vcc_lo
	v_and_b32_e32 v4, 0x80000000, v28
	v_lshlrev_b32_e32 v1, 20, v1
	v_or3_b32 v1, v4, v5, v1
.LBB6_10896:                            ;   in Loop: Header=BB6_10551 Depth=3
	s_or_b32 exec_lo, exec_lo, s22
	v_cmp_gt_i16_sdwa s16, v38, v61 src0_sel:BYTE_1 src1_sel:DWORD
	s_mov_b32 s22, 0
	s_and_saveexec_b32 s23, s16
	s_xor_b32 s16, exec_lo, s23
	s_cbranch_execz .LBB6_12931
; %bb.10897:                            ;   in Loop: Header=BB6_10551 Depth=3
	v_cmp_eq_u16_sdwa s73, v38, v62 src0_sel:BYTE_1 src1_sel:DWORD
	s_mov_b32 s22, -1
	s_and_saveexec_b32 s23, s73
; %bb.10898:                            ;   in Loop: Header=BB6_10551 Depth=3
	s_xor_b32 s22, exec_lo, -1
; %bb.10899:                            ;   in Loop: Header=BB6_10551 Depth=3
	s_or_b32 exec_lo, exec_lo, s23
	s_and_b32 s22, s22, exec_lo
	s_or_saveexec_b32 s16, s16
	v_mov_b32_e32 v4, 0x7f800001
	s_xor_b32 exec_lo, exec_lo, s16
	s_cbranch_execnz .LBB6_12932
.LBB6_10900:                            ;   in Loop: Header=BB6_10551 Depth=3
	s_or_b32 exec_lo, exec_lo, s16
	s_and_saveexec_b32 s16, s22
	s_cbranch_execz .LBB6_10902
.LBB6_10901:                            ;   in Loop: Header=BB6_10551 Depth=3
	v_and_b32_sdwa v4, v63, v38 dst_sel:DWORD dst_unused:UNUSED_PAD src0_sel:DWORD src1_sel:BYTE_1
	v_and_b32_e32 v5, 7, v4
	v_bfe_u32 v30, v4, 3, 4
	v_ffbh_u32_e32 v28, v5
	v_cmp_eq_u32_e32 vcc_lo, 0, v30
	v_min_u32_e32 v28, 32, v28
	v_subrev_nc_u32_e32 v29, 28, v28
	v_sub_nc_u32_e32 v28, 29, v28
	v_lshlrev_b32_e32 v4, v29, v4
	v_lshlrev_b32_e32 v29, 16, v38
	v_cndmask_b32_e32 v28, v30, v28, vcc_lo
	v_and_b32_e32 v4, 7, v4
	v_lshl_add_u32 v28, v28, 23, 0x3b800000
	v_cndmask_b32_e32 v4, v5, v4, vcc_lo
	v_and_b32_e32 v5, 0x80000000, v29
	v_lshlrev_b32_e32 v4, 20, v4
	v_or3_b32 v4, v5, v28, v4
.LBB6_10902:                            ;   in Loop: Header=BB6_10551 Depth=3
	s_or_b32 exec_lo, exec_lo, s16
	v_max_f32_e32 v4, v4, v4
	v_max_f32_e32 v1, v1, v1
	v_min_f32_e32 v1, v1, v4
.LBB6_10903:                            ;   in Loop: Header=BB6_10551 Depth=3
	v_and_b32_e32 v4, 0x7f800000, v1
	v_mov_b32_e32 v121, 0x8000
	s_mov_b32 s22, exec_lo
	v_cmpx_ne_u32_e32 0x7f800000, v4
	s_cbranch_execz .LBB6_10911
; %bb.10904:                            ;   in Loop: Header=BB6_10551 Depth=3
	v_mov_b32_e32 v121, 0
	s_mov_b32 s23, exec_lo
	v_cmpx_ne_u32_e32 0, v1
	s_cbranch_execz .LBB6_10910
; %bb.10905:                            ;   in Loop: Header=BB6_10551 Depth=3
	v_bfe_u32 v5, v1, 23, 8
	v_and_b32_e32 v4, 0x7fffff, v1
	v_cmp_gt_u32_e64 s16, 0x79, v5
	v_sub_nc_u32_e32 v28, 0x78, v5
	v_cmp_eq_u32_e32 vcc_lo, 0, v5
	v_or_b32_e32 v29, 0x800000, v4
	v_cndmask_b32_e64 v28, 0, v28, s16
	v_cndmask_b32_e32 v4, v29, v4, vcc_lo
	v_cndmask_b32_e64 v28, v28, 0x77, vcc_lo
	v_lshl_add_u32 v29, 0x100000, v28, -1
	v_lshlrev_b32_e64 v30, v28, 0x80000
	v_and_b32_e32 v29, v29, v4
	v_cmp_eq_u32_e64 s16, v29, v30
	v_lshrrev_b32_e32 v29, v28, v4
	v_add_nc_u32_e32 v4, 0xffffff89, v5
	v_lshrrev_b32_e32 v5, 23, v29
	v_cndmask_b32_e64 v4, v4, 0xffffff8a, vcc_lo
	v_xor_b32_e32 v5, 1, v5
	v_add_nc_u32_e32 v4, v28, v4
	v_bfe_u32 v28, v29, 20, 1
	v_add_nc_u32_e32 v28, -1, v28
	v_cndmask_b32_e64 v28, 0, v28, s16
	s_mov_b32 s16, exec_lo
	v_add_nc_u32_e32 v28, v28, v29
	v_and_b32_e32 v28, 0xfffff, v28
	v_add_nc_u32_e32 v29, v28, v29
                                        ; implicit-def: $vgpr28
	v_cmpx_ne_u32_e64 v4, v5
	s_xor_b32 s16, exec_lo, s16
; %bb.10906:                            ;   in Loop: Header=BB6_10551 Depth=3
	v_cmp_lt_u32_e32 vcc_lo, 0xffffff, v29
	v_sub_nc_u32_e32 v4, v4, v5
	v_cndmask_b32_e64 v5, 0, 1, vcc_lo
	v_add_co_ci_u32_e64 v28, null, 0, v4, vcc_lo
	v_lshrrev_b32_e32 v29, v5, v29
; %bb.10907:                            ;   in Loop: Header=BB6_10551 Depth=3
	s_andn2_saveexec_b32 s16, s16
; %bb.10908:                            ;   in Loop: Header=BB6_10551 Depth=3
	v_bfe_u32 v28, v29, 23, 1
; %bb.10909:                            ;   in Loop: Header=BB6_10551 Depth=3
	s_or_b32 exec_lo, exec_lo, s16
	v_lshrrev_b32_e32 v4, 20, v29
	v_min_i32_e32 v5, 15, v28
	v_cmp_gt_i32_e32 vcc_lo, 16, v28
	v_and_b32_sdwa v1, v1, v62 dst_sel:DWORD dst_unused:UNUSED_PAD src0_sel:BYTE_3 src1_sel:DWORD
	v_lshlrev_b32_e32 v5, 3, v5
	v_cndmask_b32_e32 v4, 7, v4, vcc_lo
	v_and_b32_e32 v5, 0xf8, v5
	v_and_b32_e32 v29, 7, v4
	v_or_b32_e32 v4, v28, v4
	v_or3_b32 v1, v1, v5, v29
	v_cmp_ne_u32_e32 vcc_lo, 0, v4
	v_lshlrev_b32_e32 v1, 8, v1
	v_cndmask_b32_e32 v121, 0, v1, vcc_lo
.LBB6_10910:                            ;   in Loop: Header=BB6_10551 Depth=3
	s_or_b32 exec_lo, exec_lo, s23
.LBB6_10911:                            ;   in Loop: Header=BB6_10551 Depth=3
	s_or_b32 exec_lo, exec_lo, s22
	v_and_b32_sdwa v1, v50, v72 dst_sel:DWORD dst_unused:UNUSED_PAD src0_sel:WORD_1 src1_sel:DWORD
	s_and_b32 vcc_lo, exec_lo, s19
	s_mov_b32 s22, -1
                                        ; implicit-def: $vgpr4
	v_cmp_lt_i16_e64 s16, 0x7f, v1
	s_cbranch_vccz .LBB6_10925
; %bb.10912:                            ;   in Loop: Header=BB6_10551 Depth=3
	s_mov_b32 s22, 0
	s_and_saveexec_b32 s23, s16
	s_xor_b32 s16, exec_lo, s23
	s_cbranch_execz .LBB6_12933
; %bb.10913:                            ;   in Loop: Header=BB6_10551 Depth=3
	s_mov_b32 s22, -1
	s_mov_b32 s23, exec_lo
	v_cmpx_eq_u16_e32 0x80, v1
; %bb.10914:                            ;   in Loop: Header=BB6_10551 Depth=3
	s_xor_b32 s22, exec_lo, -1
; %bb.10915:                            ;   in Loop: Header=BB6_10551 Depth=3
	s_or_b32 exec_lo, exec_lo, s23
	s_and_b32 s22, s22, exec_lo
	s_or_saveexec_b32 s16, s16
	v_mov_b32_e32 v4, 0x7f800001
	s_xor_b32 exec_lo, exec_lo, s16
	s_cbranch_execnz .LBB6_12934
.LBB6_10916:                            ;   in Loop: Header=BB6_10551 Depth=3
	s_or_b32 exec_lo, exec_lo, s16
	s_and_saveexec_b32 s16, s22
	s_cbranch_execz .LBB6_10918
.LBB6_10917:                            ;   in Loop: Header=BB6_10551 Depth=3
	v_bfe_u32 v4, v50, 16, 3
	v_bfe_u32 v5, v50, 19, 4
	v_ffbh_u32_e32 v28, v4
	v_cmp_eq_u32_e32 vcc_lo, 0, v5
	v_min_u32_e32 v28, 32, v28
	v_subrev_nc_u32_e32 v29, 28, v28
	v_sub_nc_u32_e32 v28, 29, v28
	v_lshlrev_b32_sdwa v29, v29, v50 dst_sel:DWORD dst_unused:UNUSED_PAD src0_sel:DWORD src1_sel:WORD_1
	v_cndmask_b32_e32 v5, v5, v28, vcc_lo
	v_lshlrev_b32_sdwa v28, v73, v50 dst_sel:DWORD dst_unused:UNUSED_PAD src0_sel:DWORD src1_sel:WORD_1
	v_and_b32_e32 v29, 7, v29
	v_lshl_add_u32 v5, v5, 23, 0x3b800000
	v_and_b32_e32 v28, 0x80000000, v28
	v_cndmask_b32_e32 v4, v4, v29, vcc_lo
	v_lshlrev_b32_e32 v4, 20, v4
	v_or3_b32 v4, v28, v5, v4
.LBB6_10918:                            ;   in Loop: Header=BB6_10551 Depth=3
	s_or_b32 exec_lo, exec_lo, s16
	v_and_b32_sdwa v28, v38, v72 dst_sel:DWORD dst_unused:UNUSED_PAD src0_sel:WORD_1 src1_sel:DWORD
	s_mov_b32 s22, 0
	s_mov_b32 s16, exec_lo
	v_cmpx_lt_i16_e32 0x7f, v28
	s_xor_b32 s16, exec_lo, s16
	s_cbranch_execz .LBB6_12935
; %bb.10919:                            ;   in Loop: Header=BB6_10551 Depth=3
	s_mov_b32 s22, -1
	s_mov_b32 s23, exec_lo
	v_cmpx_eq_u16_e32 0x80, v28
; %bb.10920:                            ;   in Loop: Header=BB6_10551 Depth=3
	s_xor_b32 s22, exec_lo, -1
; %bb.10921:                            ;   in Loop: Header=BB6_10551 Depth=3
	s_or_b32 exec_lo, exec_lo, s23
	s_and_b32 s22, s22, exec_lo
                                        ; implicit-def: $vgpr28
	s_or_saveexec_b32 s16, s16
	v_mov_b32_e32 v5, 0x7f800001
	s_xor_b32 exec_lo, exec_lo, s16
	s_cbranch_execnz .LBB6_12936
.LBB6_10922:                            ;   in Loop: Header=BB6_10551 Depth=3
	s_or_b32 exec_lo, exec_lo, s16
	s_and_saveexec_b32 s16, s22
	s_cbranch_execz .LBB6_10924
.LBB6_10923:                            ;   in Loop: Header=BB6_10551 Depth=3
	v_bfe_u32 v5, v38, 16, 3
	v_bfe_u32 v28, v38, 19, 4
	v_ffbh_u32_e32 v29, v5
	v_cmp_eq_u32_e32 vcc_lo, 0, v28
	v_min_u32_e32 v29, 32, v29
	v_subrev_nc_u32_e32 v30, 28, v29
	v_sub_nc_u32_e32 v29, 29, v29
	v_lshlrev_b32_sdwa v30, v30, v38 dst_sel:DWORD dst_unused:UNUSED_PAD src0_sel:DWORD src1_sel:WORD_1
	v_cndmask_b32_e32 v28, v28, v29, vcc_lo
	v_lshlrev_b32_sdwa v29, v73, v38 dst_sel:DWORD dst_unused:UNUSED_PAD src0_sel:DWORD src1_sel:WORD_1
	v_and_b32_e32 v30, 7, v30
	v_lshl_add_u32 v28, v28, 23, 0x3b800000
	v_and_b32_e32 v29, 0x80000000, v29
	v_cndmask_b32_e32 v5, v5, v30, vcc_lo
	v_lshlrev_b32_e32 v5, 20, v5
	v_or3_b32 v5, v29, v28, v5
.LBB6_10924:                            ;   in Loop: Header=BB6_10551 Depth=3
	s_or_b32 exec_lo, exec_lo, s16
	v_max_f32_e32 v5, v5, v5
	v_max_f32_e32 v4, v4, v4
	s_mov_b32 s22, 0
	v_max_f32_e32 v4, v4, v5
.LBB6_10925:                            ;   in Loop: Header=BB6_10551 Depth=3
	s_and_b32 vcc_lo, exec_lo, s22
	s_cbranch_vccz .LBB6_10939
; %bb.10926:                            ;   in Loop: Header=BB6_10551 Depth=3
	s_mov_b32 s22, 0
	s_mov_b32 s16, exec_lo
	v_cmpx_lt_i16_e32 0x7f, v1
	s_xor_b32 s16, exec_lo, s16
	s_cbranch_execz .LBB6_12937
; %bb.10927:                            ;   in Loop: Header=BB6_10551 Depth=3
	s_mov_b32 s22, -1
	s_mov_b32 s23, exec_lo
	v_cmpx_eq_u16_e32 0x80, v1
; %bb.10928:                            ;   in Loop: Header=BB6_10551 Depth=3
	s_xor_b32 s22, exec_lo, -1
; %bb.10929:                            ;   in Loop: Header=BB6_10551 Depth=3
	s_or_b32 exec_lo, exec_lo, s23
	s_and_b32 s22, s22, exec_lo
                                        ; implicit-def: $vgpr1
	s_or_saveexec_b32 s16, s16
	v_mov_b32_e32 v4, 0x7f800001
	s_xor_b32 exec_lo, exec_lo, s16
	s_cbranch_execnz .LBB6_12938
.LBB6_10930:                            ;   in Loop: Header=BB6_10551 Depth=3
	s_or_b32 exec_lo, exec_lo, s16
	s_and_saveexec_b32 s16, s22
	s_cbranch_execz .LBB6_10932
.LBB6_10931:                            ;   in Loop: Header=BB6_10551 Depth=3
	v_bfe_u32 v1, v50, 16, 3
	v_bfe_u32 v4, v50, 19, 4
	v_ffbh_u32_e32 v5, v1
	v_cmp_eq_u32_e32 vcc_lo, 0, v4
	v_min_u32_e32 v5, 32, v5
	v_subrev_nc_u32_e32 v28, 28, v5
	v_sub_nc_u32_e32 v5, 29, v5
	v_lshlrev_b32_sdwa v28, v28, v50 dst_sel:DWORD dst_unused:UNUSED_PAD src0_sel:DWORD src1_sel:WORD_1
	v_cndmask_b32_e32 v4, v4, v5, vcc_lo
	v_lshlrev_b32_sdwa v5, v73, v50 dst_sel:DWORD dst_unused:UNUSED_PAD src0_sel:DWORD src1_sel:WORD_1
	v_and_b32_e32 v28, 7, v28
	v_lshl_add_u32 v4, v4, 23, 0x3b800000
	v_and_b32_e32 v5, 0x80000000, v5
	v_cndmask_b32_e32 v1, v1, v28, vcc_lo
	v_lshlrev_b32_e32 v1, 20, v1
	v_or3_b32 v4, v5, v4, v1
.LBB6_10932:                            ;   in Loop: Header=BB6_10551 Depth=3
	s_or_b32 exec_lo, exec_lo, s16
	v_and_b32_sdwa v5, v38, v72 dst_sel:DWORD dst_unused:UNUSED_PAD src0_sel:WORD_1 src1_sel:DWORD
	s_mov_b32 s22, 0
	s_mov_b32 s16, exec_lo
	v_cmpx_lt_i16_e32 0x7f, v5
	s_xor_b32 s16, exec_lo, s16
	s_cbranch_execz .LBB6_12939
; %bb.10933:                            ;   in Loop: Header=BB6_10551 Depth=3
	s_mov_b32 s22, -1
	s_mov_b32 s23, exec_lo
	v_cmpx_eq_u16_e32 0x80, v5
; %bb.10934:                            ;   in Loop: Header=BB6_10551 Depth=3
	s_xor_b32 s22, exec_lo, -1
; %bb.10935:                            ;   in Loop: Header=BB6_10551 Depth=3
	s_or_b32 exec_lo, exec_lo, s23
	s_and_b32 s22, s22, exec_lo
                                        ; implicit-def: $vgpr5
	s_or_saveexec_b32 s16, s16
	v_mov_b32_e32 v1, 0x7f800001
	s_xor_b32 exec_lo, exec_lo, s16
	s_cbranch_execnz .LBB6_12940
.LBB6_10936:                            ;   in Loop: Header=BB6_10551 Depth=3
	s_or_b32 exec_lo, exec_lo, s16
	s_and_saveexec_b32 s16, s22
	s_cbranch_execz .LBB6_10938
.LBB6_10937:                            ;   in Loop: Header=BB6_10551 Depth=3
	v_bfe_u32 v1, v38, 16, 3
	v_bfe_u32 v5, v38, 19, 4
	v_ffbh_u32_e32 v28, v1
	v_cmp_eq_u32_e32 vcc_lo, 0, v5
	v_min_u32_e32 v28, 32, v28
	v_subrev_nc_u32_e32 v29, 28, v28
	v_sub_nc_u32_e32 v28, 29, v28
	v_lshlrev_b32_sdwa v29, v29, v38 dst_sel:DWORD dst_unused:UNUSED_PAD src0_sel:DWORD src1_sel:WORD_1
	v_cndmask_b32_e32 v5, v5, v28, vcc_lo
	v_lshlrev_b32_sdwa v28, v73, v38 dst_sel:DWORD dst_unused:UNUSED_PAD src0_sel:DWORD src1_sel:WORD_1
	v_and_b32_e32 v29, 7, v29
	v_lshl_add_u32 v5, v5, 23, 0x3b800000
	v_and_b32_e32 v28, 0x80000000, v28
	v_cndmask_b32_e32 v1, v1, v29, vcc_lo
	v_lshlrev_b32_e32 v1, 20, v1
	v_or3_b32 v1, v28, v5, v1
.LBB6_10938:                            ;   in Loop: Header=BB6_10551 Depth=3
	s_or_b32 exec_lo, exec_lo, s16
	v_max_f32_e32 v1, v1, v1
	v_max_f32_e32 v4, v4, v4
	v_min_f32_e32 v4, v4, v1
.LBB6_10939:                            ;   in Loop: Header=BB6_10551 Depth=3
	v_and_b32_e32 v1, 0x7f800000, v4
	v_mov_b32_e32 v122, 0x80
	s_mov_b32 s22, exec_lo
	v_cmpx_ne_u32_e32 0x7f800000, v1
	s_cbranch_execz .LBB6_10947
; %bb.10940:                            ;   in Loop: Header=BB6_10551 Depth=3
	v_mov_b32_e32 v122, 0
	s_mov_b32 s23, exec_lo
	v_cmpx_ne_u32_e32 0, v4
	s_cbranch_execz .LBB6_10946
; %bb.10941:                            ;   in Loop: Header=BB6_10551 Depth=3
	v_bfe_u32 v5, v4, 23, 8
	v_and_b32_e32 v1, 0x7fffff, v4
	v_cmp_gt_u32_e64 s16, 0x79, v5
	v_sub_nc_u32_e32 v28, 0x78, v5
	v_cmp_eq_u32_e32 vcc_lo, 0, v5
	v_or_b32_e32 v29, 0x800000, v1
	v_cndmask_b32_e64 v28, 0, v28, s16
	v_cndmask_b32_e32 v1, v29, v1, vcc_lo
	v_cndmask_b32_e64 v28, v28, 0x77, vcc_lo
	v_lshl_add_u32 v29, 0x100000, v28, -1
	v_lshlrev_b32_e64 v30, v28, 0x80000
	v_and_b32_e32 v29, v29, v1
	v_cmp_eq_u32_e64 s16, v29, v30
	v_lshrrev_b32_e32 v29, v28, v1
	v_add_nc_u32_e32 v1, 0xffffff89, v5
	v_lshrrev_b32_e32 v5, 23, v29
	v_cndmask_b32_e64 v1, v1, 0xffffff8a, vcc_lo
	v_xor_b32_e32 v5, 1, v5
	v_add_nc_u32_e32 v1, v28, v1
	v_bfe_u32 v28, v29, 20, 1
	v_add_nc_u32_e32 v28, -1, v28
	v_cndmask_b32_e64 v28, 0, v28, s16
	s_mov_b32 s16, exec_lo
	v_add_nc_u32_e32 v28, v28, v29
	v_and_b32_e32 v28, 0xfffff, v28
	v_add_nc_u32_e32 v28, v28, v29
                                        ; implicit-def: $vgpr29
	v_cmpx_ne_u32_e64 v1, v5
	s_xor_b32 s16, exec_lo, s16
; %bb.10942:                            ;   in Loop: Header=BB6_10551 Depth=3
	v_cmp_lt_u32_e32 vcc_lo, 0xffffff, v28
	v_sub_nc_u32_e32 v1, v1, v5
	v_cndmask_b32_e64 v5, 0, 1, vcc_lo
	v_add_co_ci_u32_e64 v29, null, 0, v1, vcc_lo
	v_lshrrev_b32_e32 v28, v5, v28
; %bb.10943:                            ;   in Loop: Header=BB6_10551 Depth=3
	s_andn2_saveexec_b32 s16, s16
; %bb.10944:                            ;   in Loop: Header=BB6_10551 Depth=3
	v_bfe_u32 v29, v28, 23, 1
; %bb.10945:                            ;   in Loop: Header=BB6_10551 Depth=3
	s_or_b32 exec_lo, exec_lo, s16
	v_and_b32_sdwa v1, v4, v62 dst_sel:DWORD dst_unused:UNUSED_PAD src0_sel:BYTE_3 src1_sel:DWORD
	v_lshrrev_b32_e32 v4, 20, v28
	v_min_i32_e32 v5, 15, v29
	v_cmp_gt_i32_e32 vcc_lo, 16, v29
	v_lshlrev_b32_e32 v5, 3, v5
	v_cndmask_b32_e32 v4, 7, v4, vcc_lo
	v_and_b32_e32 v5, 0xf8, v5
	v_or_b32_e32 v28, v29, v4
	v_and_b32_e32 v4, 7, v4
	v_cmp_ne_u32_e32 vcc_lo, 0, v28
	v_or3_b32 v1, v5, v1, v4
	v_cndmask_b32_e32 v122, 0, v1, vcc_lo
.LBB6_10946:                            ;   in Loop: Header=BB6_10551 Depth=3
	s_or_b32 exec_lo, exec_lo, s23
.LBB6_10947:                            ;   in Loop: Header=BB6_10551 Depth=3
	s_or_b32 exec_lo, exec_lo, s22
	v_cmp_gt_i16_sdwa s23, v50, v61 src0_sel:BYTE_3 src1_sel:DWORD
	s_and_b32 vcc_lo, exec_lo, s19
	s_mov_b32 s16, -1
                                        ; implicit-def: $vgpr1
	s_cbranch_vccz .LBB6_10961
; %bb.10948:                            ;   in Loop: Header=BB6_10551 Depth=3
	s_mov_b32 s22, 0
	s_and_saveexec_b32 s16, s23
	s_xor_b32 s16, exec_lo, s16
	s_cbranch_execz .LBB6_12941
; %bb.10949:                            ;   in Loop: Header=BB6_10551 Depth=3
	v_cmp_eq_u16_sdwa s73, v50, v62 src0_sel:BYTE_3 src1_sel:DWORD
	s_mov_b32 s22, -1
	s_and_saveexec_b32 s23, s73
; %bb.10950:                            ;   in Loop: Header=BB6_10551 Depth=3
	s_xor_b32 s22, exec_lo, -1
; %bb.10951:                            ;   in Loop: Header=BB6_10551 Depth=3
	s_or_b32 exec_lo, exec_lo, s23
	s_and_b32 s22, s22, exec_lo
	s_or_saveexec_b32 s16, s16
	v_mov_b32_e32 v1, 0x7f800001
	s_xor_b32 exec_lo, exec_lo, s16
	s_cbranch_execnz .LBB6_12942
.LBB6_10952:                            ;   in Loop: Header=BB6_10551 Depth=3
	s_or_b32 exec_lo, exec_lo, s16
	s_and_saveexec_b32 s16, s22
	s_cbranch_execz .LBB6_10954
.LBB6_10953:                            ;   in Loop: Header=BB6_10551 Depth=3
	v_bfe_u32 v1, v50, 24, 3
	v_bfe_u32 v28, v50, 27, 4
	v_ffbh_u32_e32 v4, v1
	v_cmp_eq_u32_e32 vcc_lo, 0, v28
	v_min_u32_e32 v4, 32, v4
	v_subrev_nc_u32_e32 v5, 28, v4
	v_sub_nc_u32_e32 v4, 29, v4
	v_lshlrev_b32_sdwa v5, v5, v50 dst_sel:DWORD dst_unused:UNUSED_PAD src0_sel:DWORD src1_sel:BYTE_3
	v_cndmask_b32_e32 v4, v28, v4, vcc_lo
	v_and_b32_e32 v5, 7, v5
	v_lshl_add_u32 v4, v4, 23, 0x3b800000
	v_cndmask_b32_e32 v1, v1, v5, vcc_lo
	v_and_b32_e32 v5, 0x80000000, v50
	v_lshlrev_b32_e32 v1, 20, v1
	v_or3_b32 v1, v5, v4, v1
.LBB6_10954:                            ;   in Loop: Header=BB6_10551 Depth=3
	s_or_b32 exec_lo, exec_lo, s16
	v_cmp_gt_i16_sdwa s16, v38, v61 src0_sel:BYTE_3 src1_sel:DWORD
	s_mov_b32 s22, 0
	s_and_saveexec_b32 s23, s16
	s_xor_b32 s16, exec_lo, s23
	s_cbranch_execz .LBB6_12943
; %bb.10955:                            ;   in Loop: Header=BB6_10551 Depth=3
	v_cmp_eq_u16_sdwa s73, v38, v62 src0_sel:BYTE_3 src1_sel:DWORD
	s_mov_b32 s22, -1
	s_and_saveexec_b32 s23, s73
; %bb.10956:                            ;   in Loop: Header=BB6_10551 Depth=3
	s_xor_b32 s22, exec_lo, -1
; %bb.10957:                            ;   in Loop: Header=BB6_10551 Depth=3
	s_or_b32 exec_lo, exec_lo, s23
	s_and_b32 s22, s22, exec_lo
	s_or_saveexec_b32 s16, s16
	v_mov_b32_e32 v4, 0x7f800001
	s_xor_b32 exec_lo, exec_lo, s16
	s_cbranch_execnz .LBB6_12944
.LBB6_10958:                            ;   in Loop: Header=BB6_10551 Depth=3
	s_or_b32 exec_lo, exec_lo, s16
	s_and_saveexec_b32 s16, s22
	s_cbranch_execz .LBB6_10960
.LBB6_10959:                            ;   in Loop: Header=BB6_10551 Depth=3
	v_bfe_u32 v4, v38, 24, 3
	v_bfe_u32 v29, v38, 27, 4
	v_ffbh_u32_e32 v5, v4
	v_cmp_eq_u32_e32 vcc_lo, 0, v29
	v_min_u32_e32 v5, 32, v5
	v_subrev_nc_u32_e32 v28, 28, v5
	v_sub_nc_u32_e32 v5, 29, v5
	v_lshlrev_b32_sdwa v28, v28, v38 dst_sel:DWORD dst_unused:UNUSED_PAD src0_sel:DWORD src1_sel:BYTE_3
	v_cndmask_b32_e32 v5, v29, v5, vcc_lo
	v_and_b32_e32 v28, 7, v28
	v_lshl_add_u32 v5, v5, 23, 0x3b800000
	v_cndmask_b32_e32 v4, v4, v28, vcc_lo
	v_and_b32_e32 v28, 0x80000000, v38
	v_lshlrev_b32_e32 v4, 20, v4
	v_or3_b32 v4, v28, v5, v4
.LBB6_10960:                            ;   in Loop: Header=BB6_10551 Depth=3
	s_or_b32 exec_lo, exec_lo, s16
	v_max_f32_e32 v4, v4, v4
	v_max_f32_e32 v1, v1, v1
	s_mov_b32 s16, 0
	v_max_f32_e32 v1, v1, v4
.LBB6_10961:                            ;   in Loop: Header=BB6_10551 Depth=3
	s_and_b32 vcc_lo, exec_lo, s16
	s_cbranch_vccz .LBB6_10975
; %bb.10962:                            ;   in Loop: Header=BB6_10551 Depth=3
	v_cmp_gt_i16_sdwa s16, v50, v61 src0_sel:BYTE_3 src1_sel:DWORD
	s_mov_b32 s22, 0
	s_and_saveexec_b32 s23, s16
	s_xor_b32 s16, exec_lo, s23
	s_cbranch_execz .LBB6_12945
; %bb.10963:                            ;   in Loop: Header=BB6_10551 Depth=3
	v_cmp_eq_u16_sdwa s73, v50, v62 src0_sel:BYTE_3 src1_sel:DWORD
	s_mov_b32 s22, -1
	s_and_saveexec_b32 s23, s73
; %bb.10964:                            ;   in Loop: Header=BB6_10551 Depth=3
	s_xor_b32 s22, exec_lo, -1
; %bb.10965:                            ;   in Loop: Header=BB6_10551 Depth=3
	s_or_b32 exec_lo, exec_lo, s23
	s_and_b32 s22, s22, exec_lo
	s_or_saveexec_b32 s16, s16
	v_mov_b32_e32 v1, 0x7f800001
	s_xor_b32 exec_lo, exec_lo, s16
	s_cbranch_execnz .LBB6_12946
.LBB6_10966:                            ;   in Loop: Header=BB6_10551 Depth=3
	s_or_b32 exec_lo, exec_lo, s16
	s_and_saveexec_b32 s16, s22
	s_cbranch_execz .LBB6_10968
.LBB6_10967:                            ;   in Loop: Header=BB6_10551 Depth=3
	v_bfe_u32 v1, v50, 24, 3
	v_bfe_u32 v28, v50, 27, 4
	v_ffbh_u32_e32 v4, v1
	v_cmp_eq_u32_e32 vcc_lo, 0, v28
	v_min_u32_e32 v4, 32, v4
	v_subrev_nc_u32_e32 v5, 28, v4
	v_sub_nc_u32_e32 v4, 29, v4
	v_lshlrev_b32_sdwa v5, v5, v50 dst_sel:DWORD dst_unused:UNUSED_PAD src0_sel:DWORD src1_sel:BYTE_3
	v_cndmask_b32_e32 v4, v28, v4, vcc_lo
	v_and_b32_e32 v5, 7, v5
	v_lshl_add_u32 v4, v4, 23, 0x3b800000
	v_cndmask_b32_e32 v1, v1, v5, vcc_lo
	v_and_b32_e32 v5, 0x80000000, v50
	v_lshlrev_b32_e32 v1, 20, v1
	v_or3_b32 v1, v5, v4, v1
.LBB6_10968:                            ;   in Loop: Header=BB6_10551 Depth=3
	s_or_b32 exec_lo, exec_lo, s16
	v_cmp_gt_i16_sdwa s16, v38, v61 src0_sel:BYTE_3 src1_sel:DWORD
	s_mov_b32 s22, 0
	s_and_saveexec_b32 s23, s16
	s_xor_b32 s16, exec_lo, s23
	s_cbranch_execz .LBB6_12947
; %bb.10969:                            ;   in Loop: Header=BB6_10551 Depth=3
	v_cmp_eq_u16_sdwa s73, v38, v62 src0_sel:BYTE_3 src1_sel:DWORD
	s_mov_b32 s22, -1
	s_and_saveexec_b32 s23, s73
; %bb.10970:                            ;   in Loop: Header=BB6_10551 Depth=3
	s_xor_b32 s22, exec_lo, -1
; %bb.10971:                            ;   in Loop: Header=BB6_10551 Depth=3
	s_or_b32 exec_lo, exec_lo, s23
	s_and_b32 s22, s22, exec_lo
	s_or_saveexec_b32 s16, s16
	v_mov_b32_e32 v4, 0x7f800001
	s_xor_b32 exec_lo, exec_lo, s16
	s_cbranch_execnz .LBB6_12948
.LBB6_10972:                            ;   in Loop: Header=BB6_10551 Depth=3
	s_or_b32 exec_lo, exec_lo, s16
	s_and_saveexec_b32 s16, s22
	s_cbranch_execz .LBB6_10974
.LBB6_10973:                            ;   in Loop: Header=BB6_10551 Depth=3
	v_bfe_u32 v4, v38, 24, 3
	v_bfe_u32 v29, v38, 27, 4
	v_ffbh_u32_e32 v5, v4
	v_cmp_eq_u32_e32 vcc_lo, 0, v29
	v_min_u32_e32 v5, 32, v5
	v_subrev_nc_u32_e32 v28, 28, v5
	v_sub_nc_u32_e32 v5, 29, v5
	v_lshlrev_b32_sdwa v28, v28, v38 dst_sel:DWORD dst_unused:UNUSED_PAD src0_sel:DWORD src1_sel:BYTE_3
	v_cndmask_b32_e32 v5, v29, v5, vcc_lo
	v_and_b32_e32 v28, 7, v28
	v_lshl_add_u32 v5, v5, 23, 0x3b800000
	v_cndmask_b32_e32 v4, v4, v28, vcc_lo
	v_and_b32_e32 v28, 0x80000000, v38
	v_lshlrev_b32_e32 v4, 20, v4
	v_or3_b32 v4, v28, v5, v4
.LBB6_10974:                            ;   in Loop: Header=BB6_10551 Depth=3
	s_or_b32 exec_lo, exec_lo, s16
	v_max_f32_e32 v4, v4, v4
	v_max_f32_e32 v1, v1, v1
	v_min_f32_e32 v1, v1, v4
.LBB6_10975:                            ;   in Loop: Header=BB6_10551 Depth=3
	v_and_b32_e32 v4, 0x7f800000, v1
	v_mov_b32_e32 v38, 0x8000
	s_mov_b32 s22, exec_lo
	v_cmpx_ne_u32_e32 0x7f800000, v4
	s_cbranch_execz .LBB6_10983
; %bb.10976:                            ;   in Loop: Header=BB6_10551 Depth=3
	v_mov_b32_e32 v38, 0
	s_mov_b32 s23, exec_lo
	v_cmpx_ne_u32_e32 0, v1
	s_cbranch_execz .LBB6_10982
; %bb.10977:                            ;   in Loop: Header=BB6_10551 Depth=3
	v_bfe_u32 v5, v1, 23, 8
	v_and_b32_e32 v4, 0x7fffff, v1
	v_cmp_gt_u32_e64 s16, 0x79, v5
	v_sub_nc_u32_e32 v28, 0x78, v5
	v_cmp_eq_u32_e32 vcc_lo, 0, v5
	v_or_b32_e32 v29, 0x800000, v4
	v_cndmask_b32_e64 v28, 0, v28, s16
	v_cndmask_b32_e32 v4, v29, v4, vcc_lo
	v_cndmask_b32_e64 v28, v28, 0x77, vcc_lo
	v_lshl_add_u32 v29, 0x100000, v28, -1
	v_lshlrev_b32_e64 v30, v28, 0x80000
	v_and_b32_e32 v29, v29, v4
	v_cmp_eq_u32_e64 s16, v29, v30
	v_lshrrev_b32_e32 v29, v28, v4
	v_add_nc_u32_e32 v4, 0xffffff89, v5
	v_lshrrev_b32_e32 v5, 23, v29
	v_cndmask_b32_e64 v4, v4, 0xffffff8a, vcc_lo
	v_xor_b32_e32 v5, 1, v5
	v_add_nc_u32_e32 v4, v28, v4
	v_bfe_u32 v28, v29, 20, 1
	v_add_nc_u32_e32 v28, -1, v28
	v_cndmask_b32_e64 v28, 0, v28, s16
	s_mov_b32 s16, exec_lo
	v_add_nc_u32_e32 v28, v28, v29
	v_and_b32_e32 v28, 0xfffff, v28
	v_add_nc_u32_e32 v29, v28, v29
                                        ; implicit-def: $vgpr28
	v_cmpx_ne_u32_e64 v4, v5
	s_xor_b32 s16, exec_lo, s16
; %bb.10978:                            ;   in Loop: Header=BB6_10551 Depth=3
	v_cmp_lt_u32_e32 vcc_lo, 0xffffff, v29
	v_sub_nc_u32_e32 v4, v4, v5
	v_cndmask_b32_e64 v5, 0, 1, vcc_lo
	v_add_co_ci_u32_e64 v28, null, 0, v4, vcc_lo
	v_lshrrev_b32_e32 v29, v5, v29
; %bb.10979:                            ;   in Loop: Header=BB6_10551 Depth=3
	s_andn2_saveexec_b32 s16, s16
; %bb.10980:                            ;   in Loop: Header=BB6_10551 Depth=3
	v_bfe_u32 v28, v29, 23, 1
; %bb.10981:                            ;   in Loop: Header=BB6_10551 Depth=3
	s_or_b32 exec_lo, exec_lo, s16
	v_lshrrev_b32_e32 v4, 20, v29
	v_min_i32_e32 v5, 15, v28
	v_cmp_gt_i32_e32 vcc_lo, 16, v28
	v_and_b32_sdwa v1, v1, v62 dst_sel:DWORD dst_unused:UNUSED_PAD src0_sel:BYTE_3 src1_sel:DWORD
	v_lshlrev_b32_e32 v5, 3, v5
	v_cndmask_b32_e32 v4, 7, v4, vcc_lo
	v_and_b32_e32 v5, 0xf8, v5
	v_and_b32_e32 v29, 7, v4
	v_or_b32_e32 v4, v28, v4
	v_or3_b32 v1, v1, v5, v29
	v_cmp_ne_u32_e32 vcc_lo, 0, v4
	v_lshlrev_b32_e32 v1, 8, v1
	v_cndmask_b32_e32 v38, 0, v1, vcc_lo
.LBB6_10982:                            ;   in Loop: Header=BB6_10551 Depth=3
	s_or_b32 exec_lo, exec_lo, s23
.LBB6_10983:                            ;   in Loop: Header=BB6_10551 Depth=3
	s_or_b32 exec_lo, exec_lo, s22
	v_cmp_gt_i16_sdwa s23, v51, v61 src0_sel:BYTE_0 src1_sel:DWORD
	s_and_b32 vcc_lo, exec_lo, s19
	s_mov_b32 s16, -1
                                        ; implicit-def: $vgpr1
	s_cbranch_vccz .LBB6_10997
; %bb.10984:                            ;   in Loop: Header=BB6_10551 Depth=3
	s_mov_b32 s22, 0
	s_and_saveexec_b32 s16, s23
	s_xor_b32 s16, exec_lo, s16
	s_cbranch_execz .LBB6_12949
; %bb.10985:                            ;   in Loop: Header=BB6_10551 Depth=3
	v_cmp_eq_u16_sdwa s73, v51, v62 src0_sel:BYTE_0 src1_sel:DWORD
	s_mov_b32 s22, -1
	s_and_saveexec_b32 s23, s73
; %bb.10986:                            ;   in Loop: Header=BB6_10551 Depth=3
	s_xor_b32 s22, exec_lo, -1
; %bb.10987:                            ;   in Loop: Header=BB6_10551 Depth=3
	s_or_b32 exec_lo, exec_lo, s23
	s_and_b32 s22, s22, exec_lo
	s_or_saveexec_b32 s16, s16
	v_mov_b32_e32 v1, 0x7f800001
	s_xor_b32 exec_lo, exec_lo, s16
	s_cbranch_execnz .LBB6_12950
.LBB6_10988:                            ;   in Loop: Header=BB6_10551 Depth=3
	s_or_b32 exec_lo, exec_lo, s16
	s_and_saveexec_b32 s16, s22
	s_cbranch_execz .LBB6_10990
.LBB6_10989:                            ;   in Loop: Header=BB6_10551 Depth=3
	v_and_b32_e32 v1, 7, v51
	v_bfe_u32 v4, v51, 3, 4
	v_ffbh_u32_e32 v5, v1
	v_cmp_eq_u32_e32 vcc_lo, 0, v4
	v_min_u32_e32 v5, 32, v5
	v_subrev_nc_u32_e32 v28, 28, v5
	v_sub_nc_u32_e32 v5, 29, v5
	v_lshlrev_b32_e32 v28, v28, v51
	v_cndmask_b32_e32 v4, v4, v5, vcc_lo
	v_lshlrev_b32_e32 v5, 24, v51
	v_and_b32_e32 v28, 7, v28
	v_lshl_add_u32 v4, v4, 23, 0x3b800000
	v_and_b32_e32 v5, 0x80000000, v5
	v_cndmask_b32_e32 v1, v1, v28, vcc_lo
	v_lshlrev_b32_e32 v1, 20, v1
	v_or3_b32 v1, v5, v4, v1
.LBB6_10990:                            ;   in Loop: Header=BB6_10551 Depth=3
	s_or_b32 exec_lo, exec_lo, s16
	v_cmp_gt_i16_sdwa s16, v39, v61 src0_sel:BYTE_0 src1_sel:DWORD
	s_mov_b32 s22, 0
	s_and_saveexec_b32 s23, s16
	s_xor_b32 s16, exec_lo, s23
	s_cbranch_execz .LBB6_12951
; %bb.10991:                            ;   in Loop: Header=BB6_10551 Depth=3
	v_cmp_eq_u16_sdwa s73, v39, v62 src0_sel:BYTE_0 src1_sel:DWORD
	s_mov_b32 s22, -1
	s_and_saveexec_b32 s23, s73
; %bb.10992:                            ;   in Loop: Header=BB6_10551 Depth=3
	s_xor_b32 s22, exec_lo, -1
; %bb.10993:                            ;   in Loop: Header=BB6_10551 Depth=3
	s_or_b32 exec_lo, exec_lo, s23
	s_and_b32 s22, s22, exec_lo
	s_or_saveexec_b32 s16, s16
	v_mov_b32_e32 v4, 0x7f800001
	s_xor_b32 exec_lo, exec_lo, s16
	s_cbranch_execnz .LBB6_12952
.LBB6_10994:                            ;   in Loop: Header=BB6_10551 Depth=3
	s_or_b32 exec_lo, exec_lo, s16
	s_and_saveexec_b32 s16, s22
	s_cbranch_execz .LBB6_10996
.LBB6_10995:                            ;   in Loop: Header=BB6_10551 Depth=3
	v_and_b32_e32 v4, 7, v39
	v_bfe_u32 v5, v39, 3, 4
	v_ffbh_u32_e32 v28, v4
	v_cmp_eq_u32_e32 vcc_lo, 0, v5
	v_min_u32_e32 v28, 32, v28
	v_subrev_nc_u32_e32 v29, 28, v28
	v_sub_nc_u32_e32 v28, 29, v28
	v_lshlrev_b32_e32 v29, v29, v39
	v_cndmask_b32_e32 v5, v5, v28, vcc_lo
	v_lshlrev_b32_e32 v28, 24, v39
	v_and_b32_e32 v29, 7, v29
	v_lshl_add_u32 v5, v5, 23, 0x3b800000
	v_and_b32_e32 v28, 0x80000000, v28
	v_cndmask_b32_e32 v4, v4, v29, vcc_lo
	v_lshlrev_b32_e32 v4, 20, v4
	v_or3_b32 v4, v28, v5, v4
.LBB6_10996:                            ;   in Loop: Header=BB6_10551 Depth=3
	s_or_b32 exec_lo, exec_lo, s16
	v_max_f32_e32 v4, v4, v4
	v_max_f32_e32 v1, v1, v1
	s_mov_b32 s16, 0
	v_max_f32_e32 v1, v1, v4
.LBB6_10997:                            ;   in Loop: Header=BB6_10551 Depth=3
	s_and_b32 vcc_lo, exec_lo, s16
	s_cbranch_vccz .LBB6_11011
; %bb.10998:                            ;   in Loop: Header=BB6_10551 Depth=3
	v_cmp_gt_i16_sdwa s16, v51, v61 src0_sel:BYTE_0 src1_sel:DWORD
	s_mov_b32 s22, 0
	s_and_saveexec_b32 s23, s16
	s_xor_b32 s16, exec_lo, s23
	s_cbranch_execz .LBB6_12953
; %bb.10999:                            ;   in Loop: Header=BB6_10551 Depth=3
	v_cmp_eq_u16_sdwa s73, v51, v62 src0_sel:BYTE_0 src1_sel:DWORD
	s_mov_b32 s22, -1
	s_and_saveexec_b32 s23, s73
; %bb.11000:                            ;   in Loop: Header=BB6_10551 Depth=3
	s_xor_b32 s22, exec_lo, -1
; %bb.11001:                            ;   in Loop: Header=BB6_10551 Depth=3
	s_or_b32 exec_lo, exec_lo, s23
	s_and_b32 s22, s22, exec_lo
	s_or_saveexec_b32 s16, s16
	v_mov_b32_e32 v1, 0x7f800001
	s_xor_b32 exec_lo, exec_lo, s16
	s_cbranch_execnz .LBB6_12954
.LBB6_11002:                            ;   in Loop: Header=BB6_10551 Depth=3
	s_or_b32 exec_lo, exec_lo, s16
	s_and_saveexec_b32 s16, s22
	s_cbranch_execz .LBB6_11004
.LBB6_11003:                            ;   in Loop: Header=BB6_10551 Depth=3
	v_and_b32_e32 v1, 7, v51
	v_bfe_u32 v4, v51, 3, 4
	v_ffbh_u32_e32 v5, v1
	v_cmp_eq_u32_e32 vcc_lo, 0, v4
	v_min_u32_e32 v5, 32, v5
	v_subrev_nc_u32_e32 v28, 28, v5
	v_sub_nc_u32_e32 v5, 29, v5
	v_lshlrev_b32_e32 v28, v28, v51
	v_cndmask_b32_e32 v4, v4, v5, vcc_lo
	v_lshlrev_b32_e32 v5, 24, v51
	v_and_b32_e32 v28, 7, v28
	v_lshl_add_u32 v4, v4, 23, 0x3b800000
	v_and_b32_e32 v5, 0x80000000, v5
	v_cndmask_b32_e32 v1, v1, v28, vcc_lo
	v_lshlrev_b32_e32 v1, 20, v1
	v_or3_b32 v1, v5, v4, v1
.LBB6_11004:                            ;   in Loop: Header=BB6_10551 Depth=3
	s_or_b32 exec_lo, exec_lo, s16
	v_cmp_gt_i16_sdwa s16, v39, v61 src0_sel:BYTE_0 src1_sel:DWORD
	s_mov_b32 s22, 0
	s_and_saveexec_b32 s23, s16
	s_xor_b32 s16, exec_lo, s23
	s_cbranch_execz .LBB6_12955
; %bb.11005:                            ;   in Loop: Header=BB6_10551 Depth=3
	v_cmp_eq_u16_sdwa s73, v39, v62 src0_sel:BYTE_0 src1_sel:DWORD
	s_mov_b32 s22, -1
	s_and_saveexec_b32 s23, s73
; %bb.11006:                            ;   in Loop: Header=BB6_10551 Depth=3
	s_xor_b32 s22, exec_lo, -1
; %bb.11007:                            ;   in Loop: Header=BB6_10551 Depth=3
	s_or_b32 exec_lo, exec_lo, s23
	s_and_b32 s22, s22, exec_lo
	s_or_saveexec_b32 s16, s16
	v_mov_b32_e32 v4, 0x7f800001
	s_xor_b32 exec_lo, exec_lo, s16
	s_cbranch_execnz .LBB6_12956
.LBB6_11008:                            ;   in Loop: Header=BB6_10551 Depth=3
	s_or_b32 exec_lo, exec_lo, s16
	s_and_saveexec_b32 s16, s22
	s_cbranch_execz .LBB6_11010
.LBB6_11009:                            ;   in Loop: Header=BB6_10551 Depth=3
	v_and_b32_e32 v4, 7, v39
	v_bfe_u32 v5, v39, 3, 4
	v_ffbh_u32_e32 v28, v4
	v_cmp_eq_u32_e32 vcc_lo, 0, v5
	v_min_u32_e32 v28, 32, v28
	v_subrev_nc_u32_e32 v29, 28, v28
	v_sub_nc_u32_e32 v28, 29, v28
	v_lshlrev_b32_e32 v29, v29, v39
	v_cndmask_b32_e32 v5, v5, v28, vcc_lo
	v_lshlrev_b32_e32 v28, 24, v39
	v_and_b32_e32 v29, 7, v29
	v_lshl_add_u32 v5, v5, 23, 0x3b800000
	v_and_b32_e32 v28, 0x80000000, v28
	v_cndmask_b32_e32 v4, v4, v29, vcc_lo
	v_lshlrev_b32_e32 v4, 20, v4
	v_or3_b32 v4, v28, v5, v4
.LBB6_11010:                            ;   in Loop: Header=BB6_10551 Depth=3
	s_or_b32 exec_lo, exec_lo, s16
	v_max_f32_e32 v4, v4, v4
	v_max_f32_e32 v1, v1, v1
	v_min_f32_e32 v1, v1, v4
.LBB6_11011:                            ;   in Loop: Header=BB6_10551 Depth=3
	v_and_b32_e32 v4, 0x7f800000, v1
	v_mov_b32_e32 v50, 0x80
	s_mov_b32 s22, exec_lo
	v_cmpx_ne_u32_e32 0x7f800000, v4
	s_cbranch_execz .LBB6_11019
; %bb.11012:                            ;   in Loop: Header=BB6_10551 Depth=3
	v_mov_b32_e32 v50, 0
	s_mov_b32 s23, exec_lo
	v_cmpx_ne_u32_e32 0, v1
	s_cbranch_execz .LBB6_11018
; %bb.11013:                            ;   in Loop: Header=BB6_10551 Depth=3
	v_bfe_u32 v5, v1, 23, 8
	v_and_b32_e32 v4, 0x7fffff, v1
	v_cmp_gt_u32_e64 s16, 0x79, v5
	v_sub_nc_u32_e32 v28, 0x78, v5
	v_cmp_eq_u32_e32 vcc_lo, 0, v5
	v_or_b32_e32 v29, 0x800000, v4
	v_cndmask_b32_e64 v28, 0, v28, s16
	v_cndmask_b32_e32 v4, v29, v4, vcc_lo
	v_cndmask_b32_e64 v28, v28, 0x77, vcc_lo
	v_lshl_add_u32 v29, 0x100000, v28, -1
	v_lshlrev_b32_e64 v30, v28, 0x80000
	v_and_b32_e32 v29, v29, v4
	v_cmp_eq_u32_e64 s16, v29, v30
	v_lshrrev_b32_e32 v29, v28, v4
	v_add_nc_u32_e32 v4, 0xffffff89, v5
	v_lshrrev_b32_e32 v5, 23, v29
	v_cndmask_b32_e64 v4, v4, 0xffffff8a, vcc_lo
	v_xor_b32_e32 v5, 1, v5
	v_add_nc_u32_e32 v4, v28, v4
	v_bfe_u32 v28, v29, 20, 1
	v_add_nc_u32_e32 v28, -1, v28
	v_cndmask_b32_e64 v28, 0, v28, s16
	s_mov_b32 s16, exec_lo
	v_add_nc_u32_e32 v28, v28, v29
	v_and_b32_e32 v28, 0xfffff, v28
	v_add_nc_u32_e32 v28, v28, v29
                                        ; implicit-def: $vgpr29
	v_cmpx_ne_u32_e64 v4, v5
	s_xor_b32 s16, exec_lo, s16
; %bb.11014:                            ;   in Loop: Header=BB6_10551 Depth=3
	v_cmp_lt_u32_e32 vcc_lo, 0xffffff, v28
	v_sub_nc_u32_e32 v4, v4, v5
	v_cndmask_b32_e64 v5, 0, 1, vcc_lo
	v_add_co_ci_u32_e64 v29, null, 0, v4, vcc_lo
	v_lshrrev_b32_e32 v28, v5, v28
; %bb.11015:                            ;   in Loop: Header=BB6_10551 Depth=3
	s_andn2_saveexec_b32 s16, s16
; %bb.11016:                            ;   in Loop: Header=BB6_10551 Depth=3
	v_bfe_u32 v29, v28, 23, 1
; %bb.11017:                            ;   in Loop: Header=BB6_10551 Depth=3
	s_or_b32 exec_lo, exec_lo, s16
	v_lshrrev_b32_e32 v4, 20, v28
	v_min_i32_e32 v5, 15, v29
	v_cmp_gt_i32_e32 vcc_lo, 16, v29
	v_and_b32_sdwa v1, v1, v62 dst_sel:DWORD dst_unused:UNUSED_PAD src0_sel:BYTE_3 src1_sel:DWORD
	v_lshlrev_b32_e32 v5, 3, v5
	v_cndmask_b32_e32 v4, 7, v4, vcc_lo
	v_and_b32_e32 v5, 0xf8, v5
	v_or_b32_e32 v28, v29, v4
	v_and_b32_e32 v4, 7, v4
	v_cmp_ne_u32_e32 vcc_lo, 0, v28
	v_or3_b32 v1, v5, v1, v4
	v_cndmask_b32_e32 v50, 0, v1, vcc_lo
.LBB6_11018:                            ;   in Loop: Header=BB6_10551 Depth=3
	s_or_b32 exec_lo, exec_lo, s23
.LBB6_11019:                            ;   in Loop: Header=BB6_10551 Depth=3
	s_or_b32 exec_lo, exec_lo, s22
	v_cmp_gt_i16_sdwa s23, v51, v61 src0_sel:BYTE_1 src1_sel:DWORD
	s_and_b32 vcc_lo, exec_lo, s19
	s_mov_b32 s16, -1
                                        ; implicit-def: $vgpr1
	s_cbranch_vccz .LBB6_11033
; %bb.11020:                            ;   in Loop: Header=BB6_10551 Depth=3
	s_mov_b32 s22, 0
	s_and_saveexec_b32 s16, s23
	s_xor_b32 s16, exec_lo, s16
	s_cbranch_execz .LBB6_12957
; %bb.11021:                            ;   in Loop: Header=BB6_10551 Depth=3
	v_cmp_eq_u16_sdwa s73, v51, v62 src0_sel:BYTE_1 src1_sel:DWORD
	s_mov_b32 s22, -1
	s_and_saveexec_b32 s23, s73
; %bb.11022:                            ;   in Loop: Header=BB6_10551 Depth=3
	s_xor_b32 s22, exec_lo, -1
; %bb.11023:                            ;   in Loop: Header=BB6_10551 Depth=3
	s_or_b32 exec_lo, exec_lo, s23
	s_and_b32 s22, s22, exec_lo
	s_or_saveexec_b32 s16, s16
	v_mov_b32_e32 v1, 0x7f800001
	s_xor_b32 exec_lo, exec_lo, s16
	s_cbranch_execnz .LBB6_12958
.LBB6_11024:                            ;   in Loop: Header=BB6_10551 Depth=3
	s_or_b32 exec_lo, exec_lo, s16
	s_and_saveexec_b32 s16, s22
	s_cbranch_execz .LBB6_11026
.LBB6_11025:                            ;   in Loop: Header=BB6_10551 Depth=3
	v_and_b32_sdwa v1, v63, v51 dst_sel:DWORD dst_unused:UNUSED_PAD src0_sel:DWORD src1_sel:BYTE_1
	v_and_b32_e32 v4, 7, v1
	v_bfe_u32 v29, v1, 3, 4
	v_ffbh_u32_e32 v5, v4
	v_cmp_eq_u32_e32 vcc_lo, 0, v29
	v_min_u32_e32 v5, 32, v5
	v_subrev_nc_u32_e32 v28, 28, v5
	v_sub_nc_u32_e32 v5, 29, v5
	v_lshlrev_b32_e32 v1, v28, v1
	v_lshlrev_b32_e32 v28, 16, v51
	v_cndmask_b32_e32 v5, v29, v5, vcc_lo
	v_and_b32_e32 v1, 7, v1
	v_lshl_add_u32 v5, v5, 23, 0x3b800000
	v_cndmask_b32_e32 v1, v4, v1, vcc_lo
	v_and_b32_e32 v4, 0x80000000, v28
	v_lshlrev_b32_e32 v1, 20, v1
	v_or3_b32 v1, v4, v5, v1
.LBB6_11026:                            ;   in Loop: Header=BB6_10551 Depth=3
	s_or_b32 exec_lo, exec_lo, s16
	v_cmp_gt_i16_sdwa s16, v39, v61 src0_sel:BYTE_1 src1_sel:DWORD
	s_mov_b32 s22, 0
	s_and_saveexec_b32 s23, s16
	s_xor_b32 s16, exec_lo, s23
	s_cbranch_execz .LBB6_12959
; %bb.11027:                            ;   in Loop: Header=BB6_10551 Depth=3
	v_cmp_eq_u16_sdwa s73, v39, v62 src0_sel:BYTE_1 src1_sel:DWORD
	s_mov_b32 s22, -1
	s_and_saveexec_b32 s23, s73
; %bb.11028:                            ;   in Loop: Header=BB6_10551 Depth=3
	s_xor_b32 s22, exec_lo, -1
; %bb.11029:                            ;   in Loop: Header=BB6_10551 Depth=3
	s_or_b32 exec_lo, exec_lo, s23
	s_and_b32 s22, s22, exec_lo
	s_or_saveexec_b32 s16, s16
	v_mov_b32_e32 v4, 0x7f800001
	s_xor_b32 exec_lo, exec_lo, s16
	s_cbranch_execnz .LBB6_12960
.LBB6_11030:                            ;   in Loop: Header=BB6_10551 Depth=3
	s_or_b32 exec_lo, exec_lo, s16
	s_and_saveexec_b32 s16, s22
	s_cbranch_execz .LBB6_11032
.LBB6_11031:                            ;   in Loop: Header=BB6_10551 Depth=3
	v_and_b32_sdwa v4, v63, v39 dst_sel:DWORD dst_unused:UNUSED_PAD src0_sel:DWORD src1_sel:BYTE_1
	v_and_b32_e32 v5, 7, v4
	v_bfe_u32 v30, v4, 3, 4
	v_ffbh_u32_e32 v28, v5
	v_cmp_eq_u32_e32 vcc_lo, 0, v30
	v_min_u32_e32 v28, 32, v28
	v_subrev_nc_u32_e32 v29, 28, v28
	v_sub_nc_u32_e32 v28, 29, v28
	v_lshlrev_b32_e32 v4, v29, v4
	v_lshlrev_b32_e32 v29, 16, v39
	v_cndmask_b32_e32 v28, v30, v28, vcc_lo
	v_and_b32_e32 v4, 7, v4
	v_lshl_add_u32 v28, v28, 23, 0x3b800000
	v_cndmask_b32_e32 v4, v5, v4, vcc_lo
	v_and_b32_e32 v5, 0x80000000, v29
	v_lshlrev_b32_e32 v4, 20, v4
	v_or3_b32 v4, v5, v28, v4
.LBB6_11032:                            ;   in Loop: Header=BB6_10551 Depth=3
	s_or_b32 exec_lo, exec_lo, s16
	v_max_f32_e32 v4, v4, v4
	v_max_f32_e32 v1, v1, v1
	s_mov_b32 s16, 0
	v_max_f32_e32 v1, v1, v4
.LBB6_11033:                            ;   in Loop: Header=BB6_10551 Depth=3
	s_and_b32 vcc_lo, exec_lo, s16
	s_cbranch_vccz .LBB6_11047
; %bb.11034:                            ;   in Loop: Header=BB6_10551 Depth=3
	v_cmp_gt_i16_sdwa s16, v51, v61 src0_sel:BYTE_1 src1_sel:DWORD
	s_mov_b32 s22, 0
	s_and_saveexec_b32 s23, s16
	s_xor_b32 s16, exec_lo, s23
	s_cbranch_execz .LBB6_12961
; %bb.11035:                            ;   in Loop: Header=BB6_10551 Depth=3
	v_cmp_eq_u16_sdwa s73, v51, v62 src0_sel:BYTE_1 src1_sel:DWORD
	s_mov_b32 s22, -1
	s_and_saveexec_b32 s23, s73
; %bb.11036:                            ;   in Loop: Header=BB6_10551 Depth=3
	s_xor_b32 s22, exec_lo, -1
; %bb.11037:                            ;   in Loop: Header=BB6_10551 Depth=3
	s_or_b32 exec_lo, exec_lo, s23
	s_and_b32 s22, s22, exec_lo
	s_or_saveexec_b32 s16, s16
	v_mov_b32_e32 v1, 0x7f800001
	s_xor_b32 exec_lo, exec_lo, s16
	s_cbranch_execnz .LBB6_12962
.LBB6_11038:                            ;   in Loop: Header=BB6_10551 Depth=3
	s_or_b32 exec_lo, exec_lo, s16
	s_and_saveexec_b32 s16, s22
	s_cbranch_execz .LBB6_11040
.LBB6_11039:                            ;   in Loop: Header=BB6_10551 Depth=3
	v_and_b32_sdwa v1, v63, v51 dst_sel:DWORD dst_unused:UNUSED_PAD src0_sel:DWORD src1_sel:BYTE_1
	v_and_b32_e32 v4, 7, v1
	v_bfe_u32 v29, v1, 3, 4
	v_ffbh_u32_e32 v5, v4
	v_cmp_eq_u32_e32 vcc_lo, 0, v29
	v_min_u32_e32 v5, 32, v5
	v_subrev_nc_u32_e32 v28, 28, v5
	v_sub_nc_u32_e32 v5, 29, v5
	v_lshlrev_b32_e32 v1, v28, v1
	v_lshlrev_b32_e32 v28, 16, v51
	v_cndmask_b32_e32 v5, v29, v5, vcc_lo
	v_and_b32_e32 v1, 7, v1
	v_lshl_add_u32 v5, v5, 23, 0x3b800000
	v_cndmask_b32_e32 v1, v4, v1, vcc_lo
	v_and_b32_e32 v4, 0x80000000, v28
	v_lshlrev_b32_e32 v1, 20, v1
	v_or3_b32 v1, v4, v5, v1
.LBB6_11040:                            ;   in Loop: Header=BB6_10551 Depth=3
	s_or_b32 exec_lo, exec_lo, s16
	v_cmp_gt_i16_sdwa s16, v39, v61 src0_sel:BYTE_1 src1_sel:DWORD
	s_mov_b32 s22, 0
	s_and_saveexec_b32 s23, s16
	s_xor_b32 s16, exec_lo, s23
	s_cbranch_execz .LBB6_12963
; %bb.11041:                            ;   in Loop: Header=BB6_10551 Depth=3
	v_cmp_eq_u16_sdwa s73, v39, v62 src0_sel:BYTE_1 src1_sel:DWORD
	s_mov_b32 s22, -1
	s_and_saveexec_b32 s23, s73
; %bb.11042:                            ;   in Loop: Header=BB6_10551 Depth=3
	s_xor_b32 s22, exec_lo, -1
; %bb.11043:                            ;   in Loop: Header=BB6_10551 Depth=3
	s_or_b32 exec_lo, exec_lo, s23
	s_and_b32 s22, s22, exec_lo
	s_or_saveexec_b32 s16, s16
	v_mov_b32_e32 v4, 0x7f800001
	s_xor_b32 exec_lo, exec_lo, s16
	s_cbranch_execnz .LBB6_12964
.LBB6_11044:                            ;   in Loop: Header=BB6_10551 Depth=3
	s_or_b32 exec_lo, exec_lo, s16
	s_and_saveexec_b32 s16, s22
	s_cbranch_execz .LBB6_11046
.LBB6_11045:                            ;   in Loop: Header=BB6_10551 Depth=3
	v_and_b32_sdwa v4, v63, v39 dst_sel:DWORD dst_unused:UNUSED_PAD src0_sel:DWORD src1_sel:BYTE_1
	v_and_b32_e32 v5, 7, v4
	v_bfe_u32 v30, v4, 3, 4
	v_ffbh_u32_e32 v28, v5
	v_cmp_eq_u32_e32 vcc_lo, 0, v30
	v_min_u32_e32 v28, 32, v28
	v_subrev_nc_u32_e32 v29, 28, v28
	v_sub_nc_u32_e32 v28, 29, v28
	v_lshlrev_b32_e32 v4, v29, v4
	v_lshlrev_b32_e32 v29, 16, v39
	v_cndmask_b32_e32 v28, v30, v28, vcc_lo
	v_and_b32_e32 v4, 7, v4
	v_lshl_add_u32 v28, v28, 23, 0x3b800000
	v_cndmask_b32_e32 v4, v5, v4, vcc_lo
	v_and_b32_e32 v5, 0x80000000, v29
	v_lshlrev_b32_e32 v4, 20, v4
	v_or3_b32 v4, v5, v28, v4
.LBB6_11046:                            ;   in Loop: Header=BB6_10551 Depth=3
	s_or_b32 exec_lo, exec_lo, s16
	v_max_f32_e32 v4, v4, v4
	v_max_f32_e32 v1, v1, v1
	v_min_f32_e32 v1, v1, v4
.LBB6_11047:                            ;   in Loop: Header=BB6_10551 Depth=3
	v_and_b32_e32 v4, 0x7f800000, v1
	v_mov_b32_e32 v52, 0x8000
	s_mov_b32 s22, exec_lo
	v_cmpx_ne_u32_e32 0x7f800000, v4
	s_cbranch_execz .LBB6_11055
; %bb.11048:                            ;   in Loop: Header=BB6_10551 Depth=3
	v_mov_b32_e32 v52, 0
	s_mov_b32 s23, exec_lo
	v_cmpx_ne_u32_e32 0, v1
	s_cbranch_execz .LBB6_11054
; %bb.11049:                            ;   in Loop: Header=BB6_10551 Depth=3
	v_bfe_u32 v5, v1, 23, 8
	v_and_b32_e32 v4, 0x7fffff, v1
	v_cmp_gt_u32_e64 s16, 0x79, v5
	v_sub_nc_u32_e32 v28, 0x78, v5
	v_cmp_eq_u32_e32 vcc_lo, 0, v5
	v_or_b32_e32 v29, 0x800000, v4
	v_cndmask_b32_e64 v28, 0, v28, s16
	v_cndmask_b32_e32 v4, v29, v4, vcc_lo
	v_cndmask_b32_e64 v28, v28, 0x77, vcc_lo
	v_lshl_add_u32 v29, 0x100000, v28, -1
	v_lshlrev_b32_e64 v30, v28, 0x80000
	v_and_b32_e32 v29, v29, v4
	v_cmp_eq_u32_e64 s16, v29, v30
	v_lshrrev_b32_e32 v29, v28, v4
	v_add_nc_u32_e32 v4, 0xffffff89, v5
	v_lshrrev_b32_e32 v5, 23, v29
	v_cndmask_b32_e64 v4, v4, 0xffffff8a, vcc_lo
	v_xor_b32_e32 v5, 1, v5
	v_add_nc_u32_e32 v4, v28, v4
	v_bfe_u32 v28, v29, 20, 1
	v_add_nc_u32_e32 v28, -1, v28
	v_cndmask_b32_e64 v28, 0, v28, s16
	s_mov_b32 s16, exec_lo
	v_add_nc_u32_e32 v28, v28, v29
	v_and_b32_e32 v28, 0xfffff, v28
	v_add_nc_u32_e32 v28, v28, v29
                                        ; implicit-def: $vgpr29
	v_cmpx_ne_u32_e64 v4, v5
	s_xor_b32 s16, exec_lo, s16
; %bb.11050:                            ;   in Loop: Header=BB6_10551 Depth=3
	v_cmp_lt_u32_e32 vcc_lo, 0xffffff, v28
	v_sub_nc_u32_e32 v4, v4, v5
	v_cndmask_b32_e64 v5, 0, 1, vcc_lo
	v_add_co_ci_u32_e64 v29, null, 0, v4, vcc_lo
	v_lshrrev_b32_e32 v28, v5, v28
; %bb.11051:                            ;   in Loop: Header=BB6_10551 Depth=3
	s_andn2_saveexec_b32 s16, s16
; %bb.11052:                            ;   in Loop: Header=BB6_10551 Depth=3
	v_bfe_u32 v29, v28, 23, 1
; %bb.11053:                            ;   in Loop: Header=BB6_10551 Depth=3
	s_or_b32 exec_lo, exec_lo, s16
	v_lshrrev_b32_e32 v4, 20, v28
	v_min_i32_e32 v5, 15, v29
	v_cmp_gt_i32_e32 vcc_lo, 16, v29
	v_and_b32_sdwa v1, v1, v62 dst_sel:DWORD dst_unused:UNUSED_PAD src0_sel:BYTE_3 src1_sel:DWORD
	v_lshlrev_b32_e32 v5, 3, v5
	v_cndmask_b32_e32 v4, 7, v4, vcc_lo
	v_and_b32_e32 v5, 0xf8, v5
	v_or_b32_e32 v28, v29, v4
	v_and_b32_e32 v4, 7, v4
	v_cmp_ne_u32_e32 vcc_lo, 0, v28
	v_or3_b32 v1, v1, v5, v4
	v_lshlrev_b32_e32 v1, 8, v1
	v_cndmask_b32_e32 v52, 0, v1, vcc_lo
.LBB6_11054:                            ;   in Loop: Header=BB6_10551 Depth=3
	s_or_b32 exec_lo, exec_lo, s23
.LBB6_11055:                            ;   in Loop: Header=BB6_10551 Depth=3
	s_or_b32 exec_lo, exec_lo, s22
	v_and_b32_sdwa v1, v51, v72 dst_sel:DWORD dst_unused:UNUSED_PAD src0_sel:WORD_1 src1_sel:DWORD
	s_and_b32 vcc_lo, exec_lo, s19
	s_mov_b32 s22, -1
                                        ; implicit-def: $vgpr4
	v_cmp_lt_i16_e64 s16, 0x7f, v1
	s_cbranch_vccz .LBB6_11069
; %bb.11056:                            ;   in Loop: Header=BB6_10551 Depth=3
	s_mov_b32 s22, 0
	s_and_saveexec_b32 s23, s16
	s_xor_b32 s16, exec_lo, s23
	s_cbranch_execz .LBB6_12965
; %bb.11057:                            ;   in Loop: Header=BB6_10551 Depth=3
	s_mov_b32 s22, -1
	s_mov_b32 s23, exec_lo
	v_cmpx_eq_u16_e32 0x80, v1
; %bb.11058:                            ;   in Loop: Header=BB6_10551 Depth=3
	s_xor_b32 s22, exec_lo, -1
; %bb.11059:                            ;   in Loop: Header=BB6_10551 Depth=3
	s_or_b32 exec_lo, exec_lo, s23
	s_and_b32 s22, s22, exec_lo
	s_or_saveexec_b32 s16, s16
	v_mov_b32_e32 v4, 0x7f800001
	s_xor_b32 exec_lo, exec_lo, s16
	s_cbranch_execnz .LBB6_12966
.LBB6_11060:                            ;   in Loop: Header=BB6_10551 Depth=3
	s_or_b32 exec_lo, exec_lo, s16
	s_and_saveexec_b32 s16, s22
	s_cbranch_execz .LBB6_11062
.LBB6_11061:                            ;   in Loop: Header=BB6_10551 Depth=3
	v_bfe_u32 v4, v51, 16, 3
	v_bfe_u32 v5, v51, 19, 4
	v_ffbh_u32_e32 v28, v4
	v_cmp_eq_u32_e32 vcc_lo, 0, v5
	v_min_u32_e32 v28, 32, v28
	v_subrev_nc_u32_e32 v29, 28, v28
	v_sub_nc_u32_e32 v28, 29, v28
	v_lshlrev_b32_sdwa v29, v29, v51 dst_sel:DWORD dst_unused:UNUSED_PAD src0_sel:DWORD src1_sel:WORD_1
	v_cndmask_b32_e32 v5, v5, v28, vcc_lo
	v_lshlrev_b32_sdwa v28, v73, v51 dst_sel:DWORD dst_unused:UNUSED_PAD src0_sel:DWORD src1_sel:WORD_1
	v_and_b32_e32 v29, 7, v29
	v_lshl_add_u32 v5, v5, 23, 0x3b800000
	v_and_b32_e32 v28, 0x80000000, v28
	v_cndmask_b32_e32 v4, v4, v29, vcc_lo
	v_lshlrev_b32_e32 v4, 20, v4
	v_or3_b32 v4, v28, v5, v4
.LBB6_11062:                            ;   in Loop: Header=BB6_10551 Depth=3
	s_or_b32 exec_lo, exec_lo, s16
	v_and_b32_sdwa v28, v39, v72 dst_sel:DWORD dst_unused:UNUSED_PAD src0_sel:WORD_1 src1_sel:DWORD
	s_mov_b32 s22, 0
	s_mov_b32 s16, exec_lo
	v_cmpx_lt_i16_e32 0x7f, v28
	s_xor_b32 s16, exec_lo, s16
	s_cbranch_execz .LBB6_12967
; %bb.11063:                            ;   in Loop: Header=BB6_10551 Depth=3
	s_mov_b32 s22, -1
	s_mov_b32 s23, exec_lo
	v_cmpx_eq_u16_e32 0x80, v28
; %bb.11064:                            ;   in Loop: Header=BB6_10551 Depth=3
	s_xor_b32 s22, exec_lo, -1
; %bb.11065:                            ;   in Loop: Header=BB6_10551 Depth=3
	s_or_b32 exec_lo, exec_lo, s23
	s_and_b32 s22, s22, exec_lo
                                        ; implicit-def: $vgpr28
	s_or_saveexec_b32 s16, s16
	v_mov_b32_e32 v5, 0x7f800001
	s_xor_b32 exec_lo, exec_lo, s16
	s_cbranch_execnz .LBB6_12968
.LBB6_11066:                            ;   in Loop: Header=BB6_10551 Depth=3
	s_or_b32 exec_lo, exec_lo, s16
	s_and_saveexec_b32 s16, s22
	s_cbranch_execz .LBB6_11068
.LBB6_11067:                            ;   in Loop: Header=BB6_10551 Depth=3
	v_bfe_u32 v5, v39, 16, 3
	v_bfe_u32 v28, v39, 19, 4
	v_ffbh_u32_e32 v29, v5
	v_cmp_eq_u32_e32 vcc_lo, 0, v28
	v_min_u32_e32 v29, 32, v29
	v_subrev_nc_u32_e32 v30, 28, v29
	v_sub_nc_u32_e32 v29, 29, v29
	v_lshlrev_b32_sdwa v30, v30, v39 dst_sel:DWORD dst_unused:UNUSED_PAD src0_sel:DWORD src1_sel:WORD_1
	v_cndmask_b32_e32 v28, v28, v29, vcc_lo
	v_lshlrev_b32_sdwa v29, v73, v39 dst_sel:DWORD dst_unused:UNUSED_PAD src0_sel:DWORD src1_sel:WORD_1
	v_and_b32_e32 v30, 7, v30
	v_lshl_add_u32 v28, v28, 23, 0x3b800000
	v_and_b32_e32 v29, 0x80000000, v29
	v_cndmask_b32_e32 v5, v5, v30, vcc_lo
	v_lshlrev_b32_e32 v5, 20, v5
	v_or3_b32 v5, v29, v28, v5
.LBB6_11068:                            ;   in Loop: Header=BB6_10551 Depth=3
	s_or_b32 exec_lo, exec_lo, s16
	v_max_f32_e32 v5, v5, v5
	v_max_f32_e32 v4, v4, v4
	s_mov_b32 s22, 0
	v_max_f32_e32 v4, v4, v5
.LBB6_11069:                            ;   in Loop: Header=BB6_10551 Depth=3
	s_and_b32 vcc_lo, exec_lo, s22
	s_cbranch_vccz .LBB6_11083
; %bb.11070:                            ;   in Loop: Header=BB6_10551 Depth=3
	s_mov_b32 s22, 0
	s_mov_b32 s16, exec_lo
	v_cmpx_lt_i16_e32 0x7f, v1
	s_xor_b32 s16, exec_lo, s16
	s_cbranch_execz .LBB6_12969
; %bb.11071:                            ;   in Loop: Header=BB6_10551 Depth=3
	s_mov_b32 s22, -1
	s_mov_b32 s23, exec_lo
	v_cmpx_eq_u16_e32 0x80, v1
; %bb.11072:                            ;   in Loop: Header=BB6_10551 Depth=3
	s_xor_b32 s22, exec_lo, -1
; %bb.11073:                            ;   in Loop: Header=BB6_10551 Depth=3
	s_or_b32 exec_lo, exec_lo, s23
	s_and_b32 s22, s22, exec_lo
                                        ; implicit-def: $vgpr1
	s_or_saveexec_b32 s16, s16
	v_mov_b32_e32 v4, 0x7f800001
	s_xor_b32 exec_lo, exec_lo, s16
	s_cbranch_execnz .LBB6_12970
.LBB6_11074:                            ;   in Loop: Header=BB6_10551 Depth=3
	s_or_b32 exec_lo, exec_lo, s16
	s_and_saveexec_b32 s16, s22
	s_cbranch_execz .LBB6_11076
.LBB6_11075:                            ;   in Loop: Header=BB6_10551 Depth=3
	v_bfe_u32 v1, v51, 16, 3
	v_bfe_u32 v4, v51, 19, 4
	v_ffbh_u32_e32 v5, v1
	v_cmp_eq_u32_e32 vcc_lo, 0, v4
	v_min_u32_e32 v5, 32, v5
	v_subrev_nc_u32_e32 v28, 28, v5
	v_sub_nc_u32_e32 v5, 29, v5
	v_lshlrev_b32_sdwa v28, v28, v51 dst_sel:DWORD dst_unused:UNUSED_PAD src0_sel:DWORD src1_sel:WORD_1
	v_cndmask_b32_e32 v4, v4, v5, vcc_lo
	v_lshlrev_b32_sdwa v5, v73, v51 dst_sel:DWORD dst_unused:UNUSED_PAD src0_sel:DWORD src1_sel:WORD_1
	v_and_b32_e32 v28, 7, v28
	v_lshl_add_u32 v4, v4, 23, 0x3b800000
	v_and_b32_e32 v5, 0x80000000, v5
	v_cndmask_b32_e32 v1, v1, v28, vcc_lo
	v_lshlrev_b32_e32 v1, 20, v1
	v_or3_b32 v4, v5, v4, v1
.LBB6_11076:                            ;   in Loop: Header=BB6_10551 Depth=3
	s_or_b32 exec_lo, exec_lo, s16
	v_and_b32_sdwa v5, v39, v72 dst_sel:DWORD dst_unused:UNUSED_PAD src0_sel:WORD_1 src1_sel:DWORD
	s_mov_b32 s22, 0
	s_mov_b32 s16, exec_lo
	v_cmpx_lt_i16_e32 0x7f, v5
	s_xor_b32 s16, exec_lo, s16
	s_cbranch_execz .LBB6_12971
; %bb.11077:                            ;   in Loop: Header=BB6_10551 Depth=3
	s_mov_b32 s22, -1
	s_mov_b32 s23, exec_lo
	v_cmpx_eq_u16_e32 0x80, v5
; %bb.11078:                            ;   in Loop: Header=BB6_10551 Depth=3
	s_xor_b32 s22, exec_lo, -1
; %bb.11079:                            ;   in Loop: Header=BB6_10551 Depth=3
	s_or_b32 exec_lo, exec_lo, s23
	s_and_b32 s22, s22, exec_lo
                                        ; implicit-def: $vgpr5
	s_or_saveexec_b32 s16, s16
	v_mov_b32_e32 v1, 0x7f800001
	s_xor_b32 exec_lo, exec_lo, s16
	s_cbranch_execnz .LBB6_12972
.LBB6_11080:                            ;   in Loop: Header=BB6_10551 Depth=3
	s_or_b32 exec_lo, exec_lo, s16
	s_and_saveexec_b32 s16, s22
	s_cbranch_execz .LBB6_11082
.LBB6_11081:                            ;   in Loop: Header=BB6_10551 Depth=3
	v_bfe_u32 v1, v39, 16, 3
	v_bfe_u32 v5, v39, 19, 4
	v_ffbh_u32_e32 v28, v1
	v_cmp_eq_u32_e32 vcc_lo, 0, v5
	v_min_u32_e32 v28, 32, v28
	v_subrev_nc_u32_e32 v29, 28, v28
	v_sub_nc_u32_e32 v28, 29, v28
	v_lshlrev_b32_sdwa v29, v29, v39 dst_sel:DWORD dst_unused:UNUSED_PAD src0_sel:DWORD src1_sel:WORD_1
	v_cndmask_b32_e32 v5, v5, v28, vcc_lo
	v_lshlrev_b32_sdwa v28, v73, v39 dst_sel:DWORD dst_unused:UNUSED_PAD src0_sel:DWORD src1_sel:WORD_1
	v_and_b32_e32 v29, 7, v29
	v_lshl_add_u32 v5, v5, 23, 0x3b800000
	v_and_b32_e32 v28, 0x80000000, v28
	v_cndmask_b32_e32 v1, v1, v29, vcc_lo
	v_lshlrev_b32_e32 v1, 20, v1
	v_or3_b32 v1, v28, v5, v1
.LBB6_11082:                            ;   in Loop: Header=BB6_10551 Depth=3
	s_or_b32 exec_lo, exec_lo, s16
	v_max_f32_e32 v1, v1, v1
	v_max_f32_e32 v4, v4, v4
	v_min_f32_e32 v4, v4, v1
.LBB6_11083:                            ;   in Loop: Header=BB6_10551 Depth=3
	v_and_b32_e32 v1, 0x7f800000, v4
	v_mov_b32_e32 v53, 0x80
	s_mov_b32 s22, exec_lo
	v_cmpx_ne_u32_e32 0x7f800000, v1
	s_cbranch_execz .LBB6_11091
; %bb.11084:                            ;   in Loop: Header=BB6_10551 Depth=3
	v_mov_b32_e32 v53, 0
	s_mov_b32 s23, exec_lo
	v_cmpx_ne_u32_e32 0, v4
	s_cbranch_execz .LBB6_11090
; %bb.11085:                            ;   in Loop: Header=BB6_10551 Depth=3
	v_bfe_u32 v5, v4, 23, 8
	v_and_b32_e32 v1, 0x7fffff, v4
	v_cmp_gt_u32_e64 s16, 0x79, v5
	v_sub_nc_u32_e32 v28, 0x78, v5
	v_cmp_eq_u32_e32 vcc_lo, 0, v5
	v_or_b32_e32 v29, 0x800000, v1
	v_cndmask_b32_e64 v28, 0, v28, s16
	v_cndmask_b32_e32 v1, v29, v1, vcc_lo
	v_cndmask_b32_e64 v28, v28, 0x77, vcc_lo
	v_lshl_add_u32 v29, 0x100000, v28, -1
	v_lshlrev_b32_e64 v30, v28, 0x80000
	v_and_b32_e32 v29, v29, v1
	v_cmp_eq_u32_e64 s16, v29, v30
	v_lshrrev_b32_e32 v29, v28, v1
	v_add_nc_u32_e32 v1, 0xffffff89, v5
	v_lshrrev_b32_e32 v5, 23, v29
	v_cndmask_b32_e64 v1, v1, 0xffffff8a, vcc_lo
	v_xor_b32_e32 v5, 1, v5
	v_add_nc_u32_e32 v1, v28, v1
	v_bfe_u32 v28, v29, 20, 1
	v_add_nc_u32_e32 v28, -1, v28
	v_cndmask_b32_e64 v28, 0, v28, s16
	s_mov_b32 s16, exec_lo
	v_add_nc_u32_e32 v28, v28, v29
	v_and_b32_e32 v28, 0xfffff, v28
	v_add_nc_u32_e32 v28, v28, v29
                                        ; implicit-def: $vgpr29
	v_cmpx_ne_u32_e64 v1, v5
	s_xor_b32 s16, exec_lo, s16
; %bb.11086:                            ;   in Loop: Header=BB6_10551 Depth=3
	v_cmp_lt_u32_e32 vcc_lo, 0xffffff, v28
	v_sub_nc_u32_e32 v1, v1, v5
	v_cndmask_b32_e64 v5, 0, 1, vcc_lo
	v_add_co_ci_u32_e64 v29, null, 0, v1, vcc_lo
	v_lshrrev_b32_e32 v28, v5, v28
; %bb.11087:                            ;   in Loop: Header=BB6_10551 Depth=3
	s_andn2_saveexec_b32 s16, s16
; %bb.11088:                            ;   in Loop: Header=BB6_10551 Depth=3
	v_bfe_u32 v29, v28, 23, 1
; %bb.11089:                            ;   in Loop: Header=BB6_10551 Depth=3
	s_or_b32 exec_lo, exec_lo, s16
	v_and_b32_sdwa v1, v4, v62 dst_sel:DWORD dst_unused:UNUSED_PAD src0_sel:BYTE_3 src1_sel:DWORD
	v_lshrrev_b32_e32 v4, 20, v28
	v_min_i32_e32 v5, 15, v29
	v_cmp_gt_i32_e32 vcc_lo, 16, v29
	v_lshlrev_b32_e32 v5, 3, v5
	v_cndmask_b32_e32 v4, 7, v4, vcc_lo
	v_and_b32_e32 v5, 0xf8, v5
	v_or_b32_e32 v28, v29, v4
	v_and_b32_e32 v4, 7, v4
	v_cmp_ne_u32_e32 vcc_lo, 0, v28
	v_or3_b32 v1, v5, v1, v4
	v_cndmask_b32_e32 v53, 0, v1, vcc_lo
.LBB6_11090:                            ;   in Loop: Header=BB6_10551 Depth=3
	s_or_b32 exec_lo, exec_lo, s23
.LBB6_11091:                            ;   in Loop: Header=BB6_10551 Depth=3
	s_or_b32 exec_lo, exec_lo, s22
	v_cmp_gt_i16_sdwa s23, v51, v61 src0_sel:BYTE_3 src1_sel:DWORD
	s_and_b32 vcc_lo, exec_lo, s19
	s_mov_b32 s16, -1
                                        ; implicit-def: $vgpr1
	s_cbranch_vccz .LBB6_11105
; %bb.11092:                            ;   in Loop: Header=BB6_10551 Depth=3
	s_mov_b32 s22, 0
	s_and_saveexec_b32 s16, s23
	s_xor_b32 s16, exec_lo, s16
	s_cbranch_execz .LBB6_12973
; %bb.11093:                            ;   in Loop: Header=BB6_10551 Depth=3
	v_cmp_eq_u16_sdwa s73, v51, v62 src0_sel:BYTE_3 src1_sel:DWORD
	s_mov_b32 s22, -1
	s_and_saveexec_b32 s23, s73
; %bb.11094:                            ;   in Loop: Header=BB6_10551 Depth=3
	s_xor_b32 s22, exec_lo, -1
; %bb.11095:                            ;   in Loop: Header=BB6_10551 Depth=3
	s_or_b32 exec_lo, exec_lo, s23
	s_and_b32 s22, s22, exec_lo
	s_or_saveexec_b32 s16, s16
	v_mov_b32_e32 v1, 0x7f800001
	s_xor_b32 exec_lo, exec_lo, s16
	s_cbranch_execnz .LBB6_12974
.LBB6_11096:                            ;   in Loop: Header=BB6_10551 Depth=3
	s_or_b32 exec_lo, exec_lo, s16
	s_and_saveexec_b32 s16, s22
	s_cbranch_execz .LBB6_11098
.LBB6_11097:                            ;   in Loop: Header=BB6_10551 Depth=3
	v_bfe_u32 v1, v51, 24, 3
	v_bfe_u32 v28, v51, 27, 4
	v_ffbh_u32_e32 v4, v1
	v_cmp_eq_u32_e32 vcc_lo, 0, v28
	v_min_u32_e32 v4, 32, v4
	v_subrev_nc_u32_e32 v5, 28, v4
	v_sub_nc_u32_e32 v4, 29, v4
	v_lshlrev_b32_sdwa v5, v5, v51 dst_sel:DWORD dst_unused:UNUSED_PAD src0_sel:DWORD src1_sel:BYTE_3
	v_cndmask_b32_e32 v4, v28, v4, vcc_lo
	v_and_b32_e32 v5, 7, v5
	v_lshl_add_u32 v4, v4, 23, 0x3b800000
	v_cndmask_b32_e32 v1, v1, v5, vcc_lo
	v_and_b32_e32 v5, 0x80000000, v51
	v_lshlrev_b32_e32 v1, 20, v1
	v_or3_b32 v1, v5, v4, v1
.LBB6_11098:                            ;   in Loop: Header=BB6_10551 Depth=3
	s_or_b32 exec_lo, exec_lo, s16
	v_cmp_gt_i16_sdwa s16, v39, v61 src0_sel:BYTE_3 src1_sel:DWORD
	s_mov_b32 s22, 0
	s_and_saveexec_b32 s23, s16
	s_xor_b32 s16, exec_lo, s23
	s_cbranch_execz .LBB6_12975
; %bb.11099:                            ;   in Loop: Header=BB6_10551 Depth=3
	v_cmp_eq_u16_sdwa s73, v39, v62 src0_sel:BYTE_3 src1_sel:DWORD
	s_mov_b32 s22, -1
	s_and_saveexec_b32 s23, s73
; %bb.11100:                            ;   in Loop: Header=BB6_10551 Depth=3
	s_xor_b32 s22, exec_lo, -1
; %bb.11101:                            ;   in Loop: Header=BB6_10551 Depth=3
	s_or_b32 exec_lo, exec_lo, s23
	s_and_b32 s22, s22, exec_lo
	s_or_saveexec_b32 s16, s16
	v_mov_b32_e32 v4, 0x7f800001
	s_xor_b32 exec_lo, exec_lo, s16
	s_cbranch_execnz .LBB6_12976
.LBB6_11102:                            ;   in Loop: Header=BB6_10551 Depth=3
	s_or_b32 exec_lo, exec_lo, s16
	s_and_saveexec_b32 s16, s22
	s_cbranch_execz .LBB6_11104
.LBB6_11103:                            ;   in Loop: Header=BB6_10551 Depth=3
	v_bfe_u32 v4, v39, 24, 3
	v_bfe_u32 v29, v39, 27, 4
	v_ffbh_u32_e32 v5, v4
	v_cmp_eq_u32_e32 vcc_lo, 0, v29
	v_min_u32_e32 v5, 32, v5
	v_subrev_nc_u32_e32 v28, 28, v5
	v_sub_nc_u32_e32 v5, 29, v5
	v_lshlrev_b32_sdwa v28, v28, v39 dst_sel:DWORD dst_unused:UNUSED_PAD src0_sel:DWORD src1_sel:BYTE_3
	v_cndmask_b32_e32 v5, v29, v5, vcc_lo
	v_and_b32_e32 v28, 7, v28
	v_lshl_add_u32 v5, v5, 23, 0x3b800000
	v_cndmask_b32_e32 v4, v4, v28, vcc_lo
	v_and_b32_e32 v28, 0x80000000, v39
	v_lshlrev_b32_e32 v4, 20, v4
	v_or3_b32 v4, v28, v5, v4
.LBB6_11104:                            ;   in Loop: Header=BB6_10551 Depth=3
	s_or_b32 exec_lo, exec_lo, s16
	v_max_f32_e32 v4, v4, v4
	v_max_f32_e32 v1, v1, v1
	s_mov_b32 s16, 0
	v_max_f32_e32 v1, v1, v4
.LBB6_11105:                            ;   in Loop: Header=BB6_10551 Depth=3
	s_and_b32 vcc_lo, exec_lo, s16
	s_cbranch_vccz .LBB6_11119
; %bb.11106:                            ;   in Loop: Header=BB6_10551 Depth=3
	v_cmp_gt_i16_sdwa s16, v51, v61 src0_sel:BYTE_3 src1_sel:DWORD
	s_mov_b32 s22, 0
	s_and_saveexec_b32 s23, s16
	s_xor_b32 s16, exec_lo, s23
	s_cbranch_execz .LBB6_12977
; %bb.11107:                            ;   in Loop: Header=BB6_10551 Depth=3
	v_cmp_eq_u16_sdwa s73, v51, v62 src0_sel:BYTE_3 src1_sel:DWORD
	s_mov_b32 s22, -1
	s_and_saveexec_b32 s23, s73
; %bb.11108:                            ;   in Loop: Header=BB6_10551 Depth=3
	s_xor_b32 s22, exec_lo, -1
; %bb.11109:                            ;   in Loop: Header=BB6_10551 Depth=3
	s_or_b32 exec_lo, exec_lo, s23
	s_and_b32 s22, s22, exec_lo
	s_or_saveexec_b32 s16, s16
	v_mov_b32_e32 v1, 0x7f800001
	s_xor_b32 exec_lo, exec_lo, s16
	s_cbranch_execnz .LBB6_12978
.LBB6_11110:                            ;   in Loop: Header=BB6_10551 Depth=3
	s_or_b32 exec_lo, exec_lo, s16
	s_and_saveexec_b32 s16, s22
	s_cbranch_execz .LBB6_11112
.LBB6_11111:                            ;   in Loop: Header=BB6_10551 Depth=3
	v_bfe_u32 v1, v51, 24, 3
	v_bfe_u32 v28, v51, 27, 4
	v_ffbh_u32_e32 v4, v1
	v_cmp_eq_u32_e32 vcc_lo, 0, v28
	v_min_u32_e32 v4, 32, v4
	v_subrev_nc_u32_e32 v5, 28, v4
	v_sub_nc_u32_e32 v4, 29, v4
	v_lshlrev_b32_sdwa v5, v5, v51 dst_sel:DWORD dst_unused:UNUSED_PAD src0_sel:DWORD src1_sel:BYTE_3
	v_cndmask_b32_e32 v4, v28, v4, vcc_lo
	v_and_b32_e32 v5, 7, v5
	v_lshl_add_u32 v4, v4, 23, 0x3b800000
	v_cndmask_b32_e32 v1, v1, v5, vcc_lo
	v_and_b32_e32 v5, 0x80000000, v51
	v_lshlrev_b32_e32 v1, 20, v1
	v_or3_b32 v1, v5, v4, v1
.LBB6_11112:                            ;   in Loop: Header=BB6_10551 Depth=3
	s_or_b32 exec_lo, exec_lo, s16
	v_cmp_gt_i16_sdwa s16, v39, v61 src0_sel:BYTE_3 src1_sel:DWORD
	s_mov_b32 s22, 0
	s_and_saveexec_b32 s23, s16
	s_xor_b32 s16, exec_lo, s23
	s_cbranch_execz .LBB6_12979
; %bb.11113:                            ;   in Loop: Header=BB6_10551 Depth=3
	v_cmp_eq_u16_sdwa s73, v39, v62 src0_sel:BYTE_3 src1_sel:DWORD
	s_mov_b32 s22, -1
	s_and_saveexec_b32 s23, s73
; %bb.11114:                            ;   in Loop: Header=BB6_10551 Depth=3
	s_xor_b32 s22, exec_lo, -1
; %bb.11115:                            ;   in Loop: Header=BB6_10551 Depth=3
	s_or_b32 exec_lo, exec_lo, s23
	s_and_b32 s22, s22, exec_lo
	s_or_saveexec_b32 s16, s16
	v_mov_b32_e32 v4, 0x7f800001
	s_xor_b32 exec_lo, exec_lo, s16
	s_cbranch_execnz .LBB6_12980
.LBB6_11116:                            ;   in Loop: Header=BB6_10551 Depth=3
	s_or_b32 exec_lo, exec_lo, s16
	s_and_saveexec_b32 s16, s22
	s_cbranch_execz .LBB6_11118
.LBB6_11117:                            ;   in Loop: Header=BB6_10551 Depth=3
	v_bfe_u32 v4, v39, 24, 3
	v_bfe_u32 v29, v39, 27, 4
	v_ffbh_u32_e32 v5, v4
	v_cmp_eq_u32_e32 vcc_lo, 0, v29
	v_min_u32_e32 v5, 32, v5
	v_subrev_nc_u32_e32 v28, 28, v5
	v_sub_nc_u32_e32 v5, 29, v5
	v_lshlrev_b32_sdwa v28, v28, v39 dst_sel:DWORD dst_unused:UNUSED_PAD src0_sel:DWORD src1_sel:BYTE_3
	v_cndmask_b32_e32 v5, v29, v5, vcc_lo
	v_and_b32_e32 v28, 7, v28
	v_lshl_add_u32 v5, v5, 23, 0x3b800000
	v_cndmask_b32_e32 v4, v4, v28, vcc_lo
	v_and_b32_e32 v28, 0x80000000, v39
	v_lshlrev_b32_e32 v4, 20, v4
	v_or3_b32 v4, v28, v5, v4
.LBB6_11118:                            ;   in Loop: Header=BB6_10551 Depth=3
	s_or_b32 exec_lo, exec_lo, s16
	v_max_f32_e32 v4, v4, v4
	v_max_f32_e32 v1, v1, v1
	v_min_f32_e32 v1, v1, v4
.LBB6_11119:                            ;   in Loop: Header=BB6_10551 Depth=3
	v_and_b32_e32 v4, 0x7f800000, v1
	v_mov_b32_e32 v39, 0x8000
	s_mov_b32 s22, exec_lo
	v_cmpx_ne_u32_e32 0x7f800000, v4
	s_cbranch_execz .LBB6_11127
; %bb.11120:                            ;   in Loop: Header=BB6_10551 Depth=3
	v_mov_b32_e32 v39, 0
	s_mov_b32 s23, exec_lo
	v_cmpx_ne_u32_e32 0, v1
	s_cbranch_execz .LBB6_11126
; %bb.11121:                            ;   in Loop: Header=BB6_10551 Depth=3
	v_bfe_u32 v5, v1, 23, 8
	v_and_b32_e32 v4, 0x7fffff, v1
	v_cmp_gt_u32_e64 s16, 0x79, v5
	v_sub_nc_u32_e32 v28, 0x78, v5
	v_cmp_eq_u32_e32 vcc_lo, 0, v5
	v_or_b32_e32 v29, 0x800000, v4
	v_cndmask_b32_e64 v28, 0, v28, s16
	v_cndmask_b32_e32 v4, v29, v4, vcc_lo
	v_cndmask_b32_e64 v28, v28, 0x77, vcc_lo
	v_lshl_add_u32 v29, 0x100000, v28, -1
	v_lshlrev_b32_e64 v30, v28, 0x80000
	v_and_b32_e32 v29, v29, v4
	v_cmp_eq_u32_e64 s16, v29, v30
	v_lshrrev_b32_e32 v29, v28, v4
	v_add_nc_u32_e32 v4, 0xffffff89, v5
	v_lshrrev_b32_e32 v5, 23, v29
	v_cndmask_b32_e64 v4, v4, 0xffffff8a, vcc_lo
	v_xor_b32_e32 v5, 1, v5
	v_add_nc_u32_e32 v4, v28, v4
	v_bfe_u32 v28, v29, 20, 1
	v_add_nc_u32_e32 v28, -1, v28
	v_cndmask_b32_e64 v28, 0, v28, s16
	s_mov_b32 s16, exec_lo
	v_add_nc_u32_e32 v28, v28, v29
	v_and_b32_e32 v28, 0xfffff, v28
	v_add_nc_u32_e32 v28, v28, v29
                                        ; implicit-def: $vgpr29
	v_cmpx_ne_u32_e64 v4, v5
	s_xor_b32 s16, exec_lo, s16
; %bb.11122:                            ;   in Loop: Header=BB6_10551 Depth=3
	v_cmp_lt_u32_e32 vcc_lo, 0xffffff, v28
	v_sub_nc_u32_e32 v4, v4, v5
	v_cndmask_b32_e64 v5, 0, 1, vcc_lo
	v_add_co_ci_u32_e64 v29, null, 0, v4, vcc_lo
	v_lshrrev_b32_e32 v28, v5, v28
; %bb.11123:                            ;   in Loop: Header=BB6_10551 Depth=3
	s_andn2_saveexec_b32 s16, s16
; %bb.11124:                            ;   in Loop: Header=BB6_10551 Depth=3
	v_bfe_u32 v29, v28, 23, 1
; %bb.11125:                            ;   in Loop: Header=BB6_10551 Depth=3
	s_or_b32 exec_lo, exec_lo, s16
	v_lshrrev_b32_e32 v4, 20, v28
	v_min_i32_e32 v5, 15, v29
	v_cmp_gt_i32_e32 vcc_lo, 16, v29
	v_and_b32_sdwa v1, v1, v62 dst_sel:DWORD dst_unused:UNUSED_PAD src0_sel:BYTE_3 src1_sel:DWORD
	v_lshlrev_b32_e32 v5, 3, v5
	v_cndmask_b32_e32 v4, 7, v4, vcc_lo
	v_and_b32_e32 v5, 0xf8, v5
	v_or_b32_e32 v28, v29, v4
	v_and_b32_e32 v4, 7, v4
	v_cmp_ne_u32_e32 vcc_lo, 0, v28
	v_or3_b32 v1, v1, v5, v4
	v_lshlrev_b32_e32 v1, 8, v1
	v_cndmask_b32_e32 v39, 0, v1, vcc_lo
.LBB6_11126:                            ;   in Loop: Header=BB6_10551 Depth=3
	s_or_b32 exec_lo, exec_lo, s23
.LBB6_11127:                            ;   in Loop: Header=BB6_10551 Depth=3
	s_or_b32 exec_lo, exec_lo, s22
	v_cmp_gt_i16_sdwa s23, v32, v61 src0_sel:BYTE_0 src1_sel:DWORD
	s_andn2_b32 vcc_lo, exec_lo, s19
	s_mov_b32 s16, -1
                                        ; implicit-def: $vgpr1
	s_cbranch_vccnz .LBB6_11141
; %bb.11128:                            ;   in Loop: Header=BB6_10551 Depth=3
	s_mov_b32 s22, 0
	s_and_saveexec_b32 s16, s23
	s_xor_b32 s16, exec_lo, s16
	s_cbranch_execz .LBB6_12981
; %bb.11129:                            ;   in Loop: Header=BB6_10551 Depth=3
	v_cmp_eq_u16_sdwa s73, v32, v62 src0_sel:BYTE_0 src1_sel:DWORD
	s_mov_b32 s22, -1
	s_and_saveexec_b32 s23, s73
; %bb.11130:                            ;   in Loop: Header=BB6_10551 Depth=3
	s_xor_b32 s22, exec_lo, -1
; %bb.11131:                            ;   in Loop: Header=BB6_10551 Depth=3
	s_or_b32 exec_lo, exec_lo, s23
	s_and_b32 s22, s22, exec_lo
	s_or_saveexec_b32 s16, s16
	v_mov_b32_e32 v1, 0x7f800001
	s_xor_b32 exec_lo, exec_lo, s16
	s_cbranch_execnz .LBB6_12982
.LBB6_11132:                            ;   in Loop: Header=BB6_10551 Depth=3
	s_or_b32 exec_lo, exec_lo, s16
	s_and_saveexec_b32 s16, s22
	s_cbranch_execz .LBB6_11134
.LBB6_11133:                            ;   in Loop: Header=BB6_10551 Depth=3
	v_and_b32_e32 v1, 7, v32
	v_bfe_u32 v4, v32, 3, 4
	v_ffbh_u32_e32 v5, v1
	v_cmp_eq_u32_e32 vcc_lo, 0, v4
	v_min_u32_e32 v5, 32, v5
	v_subrev_nc_u32_e32 v28, 28, v5
	v_sub_nc_u32_e32 v5, 29, v5
	v_lshlrev_b32_e32 v28, v28, v32
	v_cndmask_b32_e32 v4, v4, v5, vcc_lo
	v_lshlrev_b32_e32 v5, 24, v32
	v_and_b32_e32 v28, 7, v28
	v_lshl_add_u32 v4, v4, 23, 0x3b800000
	v_and_b32_e32 v5, 0x80000000, v5
	v_cndmask_b32_e32 v1, v1, v28, vcc_lo
	v_lshlrev_b32_e32 v1, 20, v1
	v_or3_b32 v1, v5, v4, v1
.LBB6_11134:                            ;   in Loop: Header=BB6_10551 Depth=3
	s_or_b32 exec_lo, exec_lo, s16
	s_waitcnt vmcnt(2)
	v_cmp_gt_i16_sdwa s16, v24, v61 src0_sel:BYTE_0 src1_sel:DWORD
	s_mov_b32 s22, 0
	s_and_saveexec_b32 s23, s16
	s_xor_b32 s16, exec_lo, s23
	s_cbranch_execz .LBB6_12983
; %bb.11135:                            ;   in Loop: Header=BB6_10551 Depth=3
	v_cmp_eq_u16_sdwa s73, v24, v62 src0_sel:BYTE_0 src1_sel:DWORD
	s_mov_b32 s22, -1
	s_and_saveexec_b32 s23, s73
; %bb.11136:                            ;   in Loop: Header=BB6_10551 Depth=3
	s_xor_b32 s22, exec_lo, -1
; %bb.11137:                            ;   in Loop: Header=BB6_10551 Depth=3
	s_or_b32 exec_lo, exec_lo, s23
	s_and_b32 s22, s22, exec_lo
	s_or_saveexec_b32 s16, s16
	v_mov_b32_e32 v4, 0x7f800001
	s_xor_b32 exec_lo, exec_lo, s16
	s_cbranch_execnz .LBB6_12984
.LBB6_11138:                            ;   in Loop: Header=BB6_10551 Depth=3
	s_or_b32 exec_lo, exec_lo, s16
	s_and_saveexec_b32 s16, s22
	s_cbranch_execz .LBB6_11140
.LBB6_11139:                            ;   in Loop: Header=BB6_10551 Depth=3
	v_and_b32_e32 v4, 7, v24
	v_bfe_u32 v5, v24, 3, 4
	v_ffbh_u32_e32 v28, v4
	v_cmp_eq_u32_e32 vcc_lo, 0, v5
	v_min_u32_e32 v28, 32, v28
	v_subrev_nc_u32_e32 v29, 28, v28
	v_sub_nc_u32_e32 v28, 29, v28
	v_lshlrev_b32_e32 v29, v29, v24
	v_cndmask_b32_e32 v5, v5, v28, vcc_lo
	v_lshlrev_b32_e32 v28, 24, v24
	v_and_b32_e32 v29, 7, v29
	v_lshl_add_u32 v5, v5, 23, 0x3b800000
	v_and_b32_e32 v28, 0x80000000, v28
	v_cndmask_b32_e32 v4, v4, v29, vcc_lo
	v_lshlrev_b32_e32 v4, 20, v4
	v_or3_b32 v4, v28, v5, v4
.LBB6_11140:                            ;   in Loop: Header=BB6_10551 Depth=3
	s_or_b32 exec_lo, exec_lo, s16
	v_max_f32_e32 v4, v4, v4
	v_max_f32_e32 v1, v1, v1
	s_mov_b32 s16, 0
	v_max_f32_e32 v1, v1, v4
.LBB6_11141:                            ;   in Loop: Header=BB6_10551 Depth=3
	s_and_b32 vcc_lo, exec_lo, s16
	s_cbranch_vccz .LBB6_11155
; %bb.11142:                            ;   in Loop: Header=BB6_10551 Depth=3
	v_cmp_gt_i16_sdwa s16, v32, v61 src0_sel:BYTE_0 src1_sel:DWORD
	s_mov_b32 s22, 0
	s_and_saveexec_b32 s23, s16
	s_xor_b32 s16, exec_lo, s23
	s_cbranch_execz .LBB6_12985
; %bb.11143:                            ;   in Loop: Header=BB6_10551 Depth=3
	v_cmp_eq_u16_sdwa s73, v32, v62 src0_sel:BYTE_0 src1_sel:DWORD
	s_mov_b32 s22, -1
	s_and_saveexec_b32 s23, s73
; %bb.11144:                            ;   in Loop: Header=BB6_10551 Depth=3
	s_xor_b32 s22, exec_lo, -1
; %bb.11145:                            ;   in Loop: Header=BB6_10551 Depth=3
	s_or_b32 exec_lo, exec_lo, s23
	s_and_b32 s22, s22, exec_lo
	s_or_saveexec_b32 s16, s16
	v_mov_b32_e32 v1, 0x7f800001
	s_xor_b32 exec_lo, exec_lo, s16
	s_cbranch_execnz .LBB6_12986
.LBB6_11146:                            ;   in Loop: Header=BB6_10551 Depth=3
	s_or_b32 exec_lo, exec_lo, s16
	s_and_saveexec_b32 s16, s22
	s_cbranch_execz .LBB6_11148
.LBB6_11147:                            ;   in Loop: Header=BB6_10551 Depth=3
	v_and_b32_e32 v1, 7, v32
	v_bfe_u32 v4, v32, 3, 4
	v_ffbh_u32_e32 v5, v1
	v_cmp_eq_u32_e32 vcc_lo, 0, v4
	v_min_u32_e32 v5, 32, v5
	v_subrev_nc_u32_e32 v28, 28, v5
	v_sub_nc_u32_e32 v5, 29, v5
	v_lshlrev_b32_e32 v28, v28, v32
	v_cndmask_b32_e32 v4, v4, v5, vcc_lo
	v_lshlrev_b32_e32 v5, 24, v32
	v_and_b32_e32 v28, 7, v28
	v_lshl_add_u32 v4, v4, 23, 0x3b800000
	v_and_b32_e32 v5, 0x80000000, v5
	v_cndmask_b32_e32 v1, v1, v28, vcc_lo
	v_lshlrev_b32_e32 v1, 20, v1
	v_or3_b32 v1, v5, v4, v1
.LBB6_11148:                            ;   in Loop: Header=BB6_10551 Depth=3
	s_or_b32 exec_lo, exec_lo, s16
	s_waitcnt vmcnt(2)
	v_cmp_gt_i16_sdwa s16, v24, v61 src0_sel:BYTE_0 src1_sel:DWORD
	s_mov_b32 s22, 0
	s_and_saveexec_b32 s23, s16
	s_xor_b32 s16, exec_lo, s23
	s_cbranch_execz .LBB6_12987
; %bb.11149:                            ;   in Loop: Header=BB6_10551 Depth=3
	v_cmp_eq_u16_sdwa s73, v24, v62 src0_sel:BYTE_0 src1_sel:DWORD
	s_mov_b32 s22, -1
	s_and_saveexec_b32 s23, s73
; %bb.11150:                            ;   in Loop: Header=BB6_10551 Depth=3
	s_xor_b32 s22, exec_lo, -1
; %bb.11151:                            ;   in Loop: Header=BB6_10551 Depth=3
	s_or_b32 exec_lo, exec_lo, s23
	s_and_b32 s22, s22, exec_lo
	s_or_saveexec_b32 s16, s16
	v_mov_b32_e32 v4, 0x7f800001
	s_xor_b32 exec_lo, exec_lo, s16
	s_cbranch_execnz .LBB6_12988
.LBB6_11152:                            ;   in Loop: Header=BB6_10551 Depth=3
	s_or_b32 exec_lo, exec_lo, s16
	s_and_saveexec_b32 s16, s22
	s_cbranch_execz .LBB6_11154
.LBB6_11153:                            ;   in Loop: Header=BB6_10551 Depth=3
	v_and_b32_e32 v4, 7, v24
	v_bfe_u32 v5, v24, 3, 4
	v_ffbh_u32_e32 v28, v4
	v_cmp_eq_u32_e32 vcc_lo, 0, v5
	v_min_u32_e32 v28, 32, v28
	v_subrev_nc_u32_e32 v29, 28, v28
	v_sub_nc_u32_e32 v28, 29, v28
	v_lshlrev_b32_e32 v29, v29, v24
	v_cndmask_b32_e32 v5, v5, v28, vcc_lo
	v_lshlrev_b32_e32 v28, 24, v24
	v_and_b32_e32 v29, 7, v29
	v_lshl_add_u32 v5, v5, 23, 0x3b800000
	v_and_b32_e32 v28, 0x80000000, v28
	v_cndmask_b32_e32 v4, v4, v29, vcc_lo
	v_lshlrev_b32_e32 v4, 20, v4
	v_or3_b32 v4, v28, v5, v4
.LBB6_11154:                            ;   in Loop: Header=BB6_10551 Depth=3
	s_or_b32 exec_lo, exec_lo, s16
	v_max_f32_e32 v4, v4, v4
	v_max_f32_e32 v1, v1, v1
	v_min_f32_e32 v1, v1, v4
.LBB6_11155:                            ;   in Loop: Header=BB6_10551 Depth=3
	v_and_b32_e32 v4, 0x7f800000, v1
	v_mov_b32_e32 v51, 0x80
	s_mov_b32 s22, exec_lo
	v_cmpx_ne_u32_e32 0x7f800000, v4
	s_cbranch_execz .LBB6_11163
; %bb.11156:                            ;   in Loop: Header=BB6_10551 Depth=3
	v_mov_b32_e32 v51, 0
	s_mov_b32 s23, exec_lo
	v_cmpx_ne_u32_e32 0, v1
	s_cbranch_execz .LBB6_11162
; %bb.11157:                            ;   in Loop: Header=BB6_10551 Depth=3
	v_bfe_u32 v5, v1, 23, 8
	v_and_b32_e32 v4, 0x7fffff, v1
	v_cmp_gt_u32_e64 s16, 0x79, v5
	v_sub_nc_u32_e32 v28, 0x78, v5
	v_cmp_eq_u32_e32 vcc_lo, 0, v5
	v_or_b32_e32 v29, 0x800000, v4
	v_cndmask_b32_e64 v28, 0, v28, s16
	v_cndmask_b32_e32 v4, v29, v4, vcc_lo
	v_cndmask_b32_e64 v28, v28, 0x77, vcc_lo
	v_lshl_add_u32 v29, 0x100000, v28, -1
	v_lshlrev_b32_e64 v30, v28, 0x80000
	v_and_b32_e32 v29, v29, v4
	v_cmp_eq_u32_e64 s16, v29, v30
	v_lshrrev_b32_e32 v29, v28, v4
	v_add_nc_u32_e32 v4, 0xffffff89, v5
	v_lshrrev_b32_e32 v5, 23, v29
	v_cndmask_b32_e64 v4, v4, 0xffffff8a, vcc_lo
	v_xor_b32_e32 v5, 1, v5
	v_add_nc_u32_e32 v4, v28, v4
	v_bfe_u32 v28, v29, 20, 1
	v_add_nc_u32_e32 v28, -1, v28
	v_cndmask_b32_e64 v28, 0, v28, s16
	s_mov_b32 s16, exec_lo
	v_add_nc_u32_e32 v28, v28, v29
	v_and_b32_e32 v28, 0xfffff, v28
	v_add_nc_u32_e32 v28, v28, v29
                                        ; implicit-def: $vgpr29
	v_cmpx_ne_u32_e64 v4, v5
	s_xor_b32 s16, exec_lo, s16
; %bb.11158:                            ;   in Loop: Header=BB6_10551 Depth=3
	v_cmp_lt_u32_e32 vcc_lo, 0xffffff, v28
	v_sub_nc_u32_e32 v4, v4, v5
	v_cndmask_b32_e64 v5, 0, 1, vcc_lo
	v_add_co_ci_u32_e64 v29, null, 0, v4, vcc_lo
	v_lshrrev_b32_e32 v28, v5, v28
; %bb.11159:                            ;   in Loop: Header=BB6_10551 Depth=3
	s_andn2_saveexec_b32 s16, s16
; %bb.11160:                            ;   in Loop: Header=BB6_10551 Depth=3
	v_bfe_u32 v29, v28, 23, 1
; %bb.11161:                            ;   in Loop: Header=BB6_10551 Depth=3
	s_or_b32 exec_lo, exec_lo, s16
	v_lshrrev_b32_e32 v4, 20, v28
	v_min_i32_e32 v5, 15, v29
	v_cmp_gt_i32_e32 vcc_lo, 16, v29
	v_and_b32_sdwa v1, v1, v62 dst_sel:DWORD dst_unused:UNUSED_PAD src0_sel:BYTE_3 src1_sel:DWORD
	v_lshlrev_b32_e32 v5, 3, v5
	v_cndmask_b32_e32 v4, 7, v4, vcc_lo
	v_and_b32_e32 v5, 0xf8, v5
	v_or_b32_e32 v28, v29, v4
	v_and_b32_e32 v4, 7, v4
	v_cmp_ne_u32_e32 vcc_lo, 0, v28
	v_or3_b32 v1, v5, v1, v4
	v_cndmask_b32_e32 v51, 0, v1, vcc_lo
.LBB6_11162:                            ;   in Loop: Header=BB6_10551 Depth=3
	s_or_b32 exec_lo, exec_lo, s23
.LBB6_11163:                            ;   in Loop: Header=BB6_10551 Depth=3
	s_or_b32 exec_lo, exec_lo, s22
	v_cmp_gt_i16_sdwa s22, v32, v61 src0_sel:BYTE_1 src1_sel:DWORD
	s_andn2_b32 vcc_lo, exec_lo, s19
	s_mov_b32 s16, -1
                                        ; implicit-def: $vgpr1
	s_cbranch_vccnz .LBB6_11177
; %bb.11164:                            ;   in Loop: Header=BB6_10551 Depth=3
	s_mov_b32 s16, 0
	s_and_saveexec_b32 s23, s22
	s_xor_b32 s22, exec_lo, s23
	s_cbranch_execz .LBB6_12989
; %bb.11165:                            ;   in Loop: Header=BB6_10551 Depth=3
	v_cmp_eq_u16_sdwa s73, v32, v62 src0_sel:BYTE_1 src1_sel:DWORD
	s_mov_b32 s16, -1
	s_and_saveexec_b32 s23, s73
; %bb.11166:                            ;   in Loop: Header=BB6_10551 Depth=3
	s_xor_b32 s16, exec_lo, -1
; %bb.11167:                            ;   in Loop: Header=BB6_10551 Depth=3
	s_or_b32 exec_lo, exec_lo, s23
	s_and_b32 s16, s16, exec_lo
	s_or_saveexec_b32 s22, s22
	v_mov_b32_e32 v1, 0x7f800001
	s_xor_b32 exec_lo, exec_lo, s22
	s_cbranch_execnz .LBB6_12990
.LBB6_11168:                            ;   in Loop: Header=BB6_10551 Depth=3
	s_or_b32 exec_lo, exec_lo, s22
	s_and_saveexec_b32 s22, s16
	s_cbranch_execz .LBB6_11170
.LBB6_11169:                            ;   in Loop: Header=BB6_10551 Depth=3
	v_and_b32_sdwa v1, v63, v32 dst_sel:DWORD dst_unused:UNUSED_PAD src0_sel:DWORD src1_sel:BYTE_1
	v_and_b32_e32 v4, 7, v1
	v_bfe_u32 v29, v1, 3, 4
	v_ffbh_u32_e32 v5, v4
	v_cmp_eq_u32_e32 vcc_lo, 0, v29
	v_min_u32_e32 v5, 32, v5
	v_subrev_nc_u32_e32 v28, 28, v5
	v_sub_nc_u32_e32 v5, 29, v5
	v_lshlrev_b32_e32 v1, v28, v1
	v_lshlrev_b32_e32 v28, 16, v32
	v_cndmask_b32_e32 v5, v29, v5, vcc_lo
	v_and_b32_e32 v1, 7, v1
	v_lshl_add_u32 v5, v5, 23, 0x3b800000
	v_cndmask_b32_e32 v1, v4, v1, vcc_lo
	v_and_b32_e32 v4, 0x80000000, v28
	v_lshlrev_b32_e32 v1, 20, v1
	v_or3_b32 v1, v4, v5, v1
.LBB6_11170:                            ;   in Loop: Header=BB6_10551 Depth=3
	s_or_b32 exec_lo, exec_lo, s22
	s_waitcnt vmcnt(2)
	v_cmp_gt_i16_sdwa s22, v24, v61 src0_sel:BYTE_1 src1_sel:DWORD
	s_mov_b32 s16, 0
	s_and_saveexec_b32 s23, s22
	s_xor_b32 s22, exec_lo, s23
	s_cbranch_execz .LBB6_12991
; %bb.11171:                            ;   in Loop: Header=BB6_10551 Depth=3
	v_cmp_eq_u16_sdwa s73, v24, v62 src0_sel:BYTE_1 src1_sel:DWORD
	s_mov_b32 s16, -1
	s_and_saveexec_b32 s23, s73
; %bb.11172:                            ;   in Loop: Header=BB6_10551 Depth=3
	s_xor_b32 s16, exec_lo, -1
; %bb.11173:                            ;   in Loop: Header=BB6_10551 Depth=3
	s_or_b32 exec_lo, exec_lo, s23
	s_and_b32 s16, s16, exec_lo
	s_or_saveexec_b32 s22, s22
	v_mov_b32_e32 v4, 0x7f800001
	s_xor_b32 exec_lo, exec_lo, s22
	s_cbranch_execnz .LBB6_12992
.LBB6_11174:                            ;   in Loop: Header=BB6_10551 Depth=3
	s_or_b32 exec_lo, exec_lo, s22
	s_and_saveexec_b32 s22, s16
	s_cbranch_execz .LBB6_11176
.LBB6_11175:                            ;   in Loop: Header=BB6_10551 Depth=3
	v_and_b32_sdwa v4, v63, v24 dst_sel:DWORD dst_unused:UNUSED_PAD src0_sel:DWORD src1_sel:BYTE_1
	v_and_b32_e32 v5, 7, v4
	v_bfe_u32 v30, v4, 3, 4
	v_ffbh_u32_e32 v28, v5
	v_cmp_eq_u32_e32 vcc_lo, 0, v30
	v_min_u32_e32 v28, 32, v28
	v_subrev_nc_u32_e32 v29, 28, v28
	v_sub_nc_u32_e32 v28, 29, v28
	v_lshlrev_b32_e32 v4, v29, v4
	v_lshlrev_b32_e32 v29, 16, v24
	v_cndmask_b32_e32 v28, v30, v28, vcc_lo
	v_and_b32_e32 v4, 7, v4
	v_lshl_add_u32 v28, v28, 23, 0x3b800000
	v_cndmask_b32_e32 v4, v5, v4, vcc_lo
	v_and_b32_e32 v5, 0x80000000, v29
	v_lshlrev_b32_e32 v4, 20, v4
	v_or3_b32 v4, v5, v28, v4
.LBB6_11176:                            ;   in Loop: Header=BB6_10551 Depth=3
	s_or_b32 exec_lo, exec_lo, s22
	v_max_f32_e32 v4, v4, v4
	v_max_f32_e32 v1, v1, v1
	s_mov_b32 s16, 0
	v_max_f32_e32 v1, v1, v4
.LBB6_11177:                            ;   in Loop: Header=BB6_10551 Depth=3
	s_and_b32 vcc_lo, exec_lo, s16
	s_cbranch_vccz .LBB6_11191
; %bb.11178:                            ;   in Loop: Header=BB6_10551 Depth=3
	v_cmp_gt_i16_sdwa s22, v32, v61 src0_sel:BYTE_1 src1_sel:DWORD
	s_mov_b32 s16, 0
	s_and_saveexec_b32 s23, s22
	s_xor_b32 s22, exec_lo, s23
	s_cbranch_execz .LBB6_12993
; %bb.11179:                            ;   in Loop: Header=BB6_10551 Depth=3
	v_cmp_eq_u16_sdwa s73, v32, v62 src0_sel:BYTE_1 src1_sel:DWORD
	s_mov_b32 s16, -1
	s_and_saveexec_b32 s23, s73
; %bb.11180:                            ;   in Loop: Header=BB6_10551 Depth=3
	s_xor_b32 s16, exec_lo, -1
; %bb.11181:                            ;   in Loop: Header=BB6_10551 Depth=3
	s_or_b32 exec_lo, exec_lo, s23
	s_and_b32 s16, s16, exec_lo
	s_or_saveexec_b32 s22, s22
	v_mov_b32_e32 v1, 0x7f800001
	s_xor_b32 exec_lo, exec_lo, s22
	s_cbranch_execnz .LBB6_12994
.LBB6_11182:                            ;   in Loop: Header=BB6_10551 Depth=3
	s_or_b32 exec_lo, exec_lo, s22
	s_and_saveexec_b32 s22, s16
	s_cbranch_execz .LBB6_11184
.LBB6_11183:                            ;   in Loop: Header=BB6_10551 Depth=3
	v_and_b32_sdwa v1, v63, v32 dst_sel:DWORD dst_unused:UNUSED_PAD src0_sel:DWORD src1_sel:BYTE_1
	v_and_b32_e32 v4, 7, v1
	v_bfe_u32 v29, v1, 3, 4
	v_ffbh_u32_e32 v5, v4
	v_cmp_eq_u32_e32 vcc_lo, 0, v29
	v_min_u32_e32 v5, 32, v5
	v_subrev_nc_u32_e32 v28, 28, v5
	v_sub_nc_u32_e32 v5, 29, v5
	v_lshlrev_b32_e32 v1, v28, v1
	v_lshlrev_b32_e32 v28, 16, v32
	v_cndmask_b32_e32 v5, v29, v5, vcc_lo
	v_and_b32_e32 v1, 7, v1
	v_lshl_add_u32 v5, v5, 23, 0x3b800000
	v_cndmask_b32_e32 v1, v4, v1, vcc_lo
	v_and_b32_e32 v4, 0x80000000, v28
	v_lshlrev_b32_e32 v1, 20, v1
	v_or3_b32 v1, v4, v5, v1
.LBB6_11184:                            ;   in Loop: Header=BB6_10551 Depth=3
	s_or_b32 exec_lo, exec_lo, s22
	s_waitcnt vmcnt(2)
	v_cmp_gt_i16_sdwa s22, v24, v61 src0_sel:BYTE_1 src1_sel:DWORD
	s_mov_b32 s16, 0
	s_and_saveexec_b32 s23, s22
	s_xor_b32 s22, exec_lo, s23
	s_cbranch_execz .LBB6_12995
; %bb.11185:                            ;   in Loop: Header=BB6_10551 Depth=3
	v_cmp_eq_u16_sdwa s73, v24, v62 src0_sel:BYTE_1 src1_sel:DWORD
	s_mov_b32 s16, -1
	s_and_saveexec_b32 s23, s73
; %bb.11186:                            ;   in Loop: Header=BB6_10551 Depth=3
	s_xor_b32 s16, exec_lo, -1
; %bb.11187:                            ;   in Loop: Header=BB6_10551 Depth=3
	s_or_b32 exec_lo, exec_lo, s23
	s_and_b32 s16, s16, exec_lo
	s_or_saveexec_b32 s22, s22
	v_mov_b32_e32 v4, 0x7f800001
	s_xor_b32 exec_lo, exec_lo, s22
	s_cbranch_execnz .LBB6_12996
.LBB6_11188:                            ;   in Loop: Header=BB6_10551 Depth=3
	s_or_b32 exec_lo, exec_lo, s22
	s_and_saveexec_b32 s22, s16
	s_cbranch_execz .LBB6_11190
.LBB6_11189:                            ;   in Loop: Header=BB6_10551 Depth=3
	v_and_b32_sdwa v4, v63, v24 dst_sel:DWORD dst_unused:UNUSED_PAD src0_sel:DWORD src1_sel:BYTE_1
	v_and_b32_e32 v5, 7, v4
	v_bfe_u32 v30, v4, 3, 4
	v_ffbh_u32_e32 v28, v5
	v_cmp_eq_u32_e32 vcc_lo, 0, v30
	v_min_u32_e32 v28, 32, v28
	v_subrev_nc_u32_e32 v29, 28, v28
	v_sub_nc_u32_e32 v28, 29, v28
	v_lshlrev_b32_e32 v4, v29, v4
	v_lshlrev_b32_e32 v29, 16, v24
	v_cndmask_b32_e32 v28, v30, v28, vcc_lo
	v_and_b32_e32 v4, 7, v4
	v_lshl_add_u32 v28, v28, 23, 0x3b800000
	v_cndmask_b32_e32 v4, v5, v4, vcc_lo
	v_and_b32_e32 v5, 0x80000000, v29
	v_lshlrev_b32_e32 v4, 20, v4
	v_or3_b32 v4, v5, v28, v4
.LBB6_11190:                            ;   in Loop: Header=BB6_10551 Depth=3
	s_or_b32 exec_lo, exec_lo, s22
	v_max_f32_e32 v4, v4, v4
	v_max_f32_e32 v1, v1, v1
	v_min_f32_e32 v1, v1, v4
.LBB6_11191:                            ;   in Loop: Header=BB6_10551 Depth=3
	v_and_b32_e32 v4, 0x7f800000, v1
	v_mov_b32_e32 v123, 0x8000
	s_mov_b32 s22, exec_lo
	v_cmpx_ne_u32_e32 0x7f800000, v4
	s_cbranch_execz .LBB6_11199
; %bb.11192:                            ;   in Loop: Header=BB6_10551 Depth=3
	v_mov_b32_e32 v123, 0
	s_mov_b32 s23, exec_lo
	v_cmpx_ne_u32_e32 0, v1
	s_cbranch_execz .LBB6_11198
; %bb.11193:                            ;   in Loop: Header=BB6_10551 Depth=3
	v_bfe_u32 v5, v1, 23, 8
	v_and_b32_e32 v4, 0x7fffff, v1
	v_cmp_gt_u32_e64 s16, 0x79, v5
	v_sub_nc_u32_e32 v28, 0x78, v5
	v_cmp_eq_u32_e32 vcc_lo, 0, v5
	v_or_b32_e32 v29, 0x800000, v4
	v_cndmask_b32_e64 v28, 0, v28, s16
	v_cndmask_b32_e32 v4, v29, v4, vcc_lo
	v_cndmask_b32_e64 v28, v28, 0x77, vcc_lo
	v_lshl_add_u32 v29, 0x100000, v28, -1
	v_lshlrev_b32_e64 v30, v28, 0x80000
	v_and_b32_e32 v29, v29, v4
	v_cmp_eq_u32_e64 s16, v29, v30
	v_lshrrev_b32_e32 v29, v28, v4
	v_add_nc_u32_e32 v4, 0xffffff89, v5
	v_lshrrev_b32_e32 v5, 23, v29
	v_cndmask_b32_e64 v4, v4, 0xffffff8a, vcc_lo
	v_xor_b32_e32 v5, 1, v5
	v_add_nc_u32_e32 v4, v28, v4
	v_bfe_u32 v28, v29, 20, 1
	v_add_nc_u32_e32 v28, -1, v28
	v_cndmask_b32_e64 v28, 0, v28, s16
	s_mov_b32 s16, exec_lo
	v_add_nc_u32_e32 v28, v28, v29
	v_and_b32_e32 v28, 0xfffff, v28
	v_add_nc_u32_e32 v28, v28, v29
                                        ; implicit-def: $vgpr29
	v_cmpx_ne_u32_e64 v4, v5
	s_xor_b32 s16, exec_lo, s16
; %bb.11194:                            ;   in Loop: Header=BB6_10551 Depth=3
	v_cmp_lt_u32_e32 vcc_lo, 0xffffff, v28
	v_sub_nc_u32_e32 v4, v4, v5
	v_cndmask_b32_e64 v5, 0, 1, vcc_lo
	v_add_co_ci_u32_e64 v29, null, 0, v4, vcc_lo
	v_lshrrev_b32_e32 v28, v5, v28
; %bb.11195:                            ;   in Loop: Header=BB6_10551 Depth=3
	s_andn2_saveexec_b32 s16, s16
; %bb.11196:                            ;   in Loop: Header=BB6_10551 Depth=3
	v_bfe_u32 v29, v28, 23, 1
; %bb.11197:                            ;   in Loop: Header=BB6_10551 Depth=3
	s_or_b32 exec_lo, exec_lo, s16
	v_lshrrev_b32_e32 v4, 20, v28
	v_min_i32_e32 v5, 15, v29
	v_cmp_gt_i32_e32 vcc_lo, 16, v29
	v_and_b32_sdwa v1, v1, v62 dst_sel:DWORD dst_unused:UNUSED_PAD src0_sel:BYTE_3 src1_sel:DWORD
	v_lshlrev_b32_e32 v5, 3, v5
	v_cndmask_b32_e32 v4, 7, v4, vcc_lo
	v_and_b32_e32 v5, 0xf8, v5
	v_or_b32_e32 v28, v29, v4
	v_and_b32_e32 v4, 7, v4
	v_cmp_ne_u32_e32 vcc_lo, 0, v28
	v_or3_b32 v1, v1, v5, v4
	v_lshlrev_b32_e32 v1, 8, v1
	v_cndmask_b32_e32 v123, 0, v1, vcc_lo
.LBB6_11198:                            ;   in Loop: Header=BB6_10551 Depth=3
	s_or_b32 exec_lo, exec_lo, s23
.LBB6_11199:                            ;   in Loop: Header=BB6_10551 Depth=3
	s_or_b32 exec_lo, exec_lo, s22
	v_and_b32_sdwa v1, v32, v72 dst_sel:DWORD dst_unused:UNUSED_PAD src0_sel:WORD_1 src1_sel:DWORD
	s_andn2_b32 vcc_lo, exec_lo, s19
	s_mov_b32 s22, -1
                                        ; implicit-def: $vgpr4
	v_cmp_lt_i16_e64 s16, 0x7f, v1
	s_cbranch_vccnz .LBB6_11213
; %bb.11200:                            ;   in Loop: Header=BB6_10551 Depth=3
	s_mov_b32 s22, 0
	s_and_saveexec_b32 s23, s16
	s_xor_b32 s16, exec_lo, s23
	s_cbranch_execz .LBB6_12997
; %bb.11201:                            ;   in Loop: Header=BB6_10551 Depth=3
	s_mov_b32 s22, -1
	s_mov_b32 s23, exec_lo
	v_cmpx_eq_u16_e32 0x80, v1
; %bb.11202:                            ;   in Loop: Header=BB6_10551 Depth=3
	s_xor_b32 s22, exec_lo, -1
; %bb.11203:                            ;   in Loop: Header=BB6_10551 Depth=3
	s_or_b32 exec_lo, exec_lo, s23
	s_and_b32 s22, s22, exec_lo
	s_or_saveexec_b32 s16, s16
	v_mov_b32_e32 v4, 0x7f800001
	s_xor_b32 exec_lo, exec_lo, s16
	s_cbranch_execnz .LBB6_12998
.LBB6_11204:                            ;   in Loop: Header=BB6_10551 Depth=3
	s_or_b32 exec_lo, exec_lo, s16
	s_and_saveexec_b32 s16, s22
	s_cbranch_execz .LBB6_11206
.LBB6_11205:                            ;   in Loop: Header=BB6_10551 Depth=3
	v_bfe_u32 v4, v32, 16, 3
	v_bfe_u32 v5, v32, 19, 4
	v_ffbh_u32_e32 v28, v4
	v_cmp_eq_u32_e32 vcc_lo, 0, v5
	v_min_u32_e32 v28, 32, v28
	v_subrev_nc_u32_e32 v29, 28, v28
	v_sub_nc_u32_e32 v28, 29, v28
	v_lshlrev_b32_sdwa v29, v29, v32 dst_sel:DWORD dst_unused:UNUSED_PAD src0_sel:DWORD src1_sel:WORD_1
	v_cndmask_b32_e32 v5, v5, v28, vcc_lo
	v_lshlrev_b32_sdwa v28, v73, v32 dst_sel:DWORD dst_unused:UNUSED_PAD src0_sel:DWORD src1_sel:WORD_1
	v_and_b32_e32 v29, 7, v29
	v_lshl_add_u32 v5, v5, 23, 0x3b800000
	v_and_b32_e32 v28, 0x80000000, v28
	v_cndmask_b32_e32 v4, v4, v29, vcc_lo
	v_lshlrev_b32_e32 v4, 20, v4
	v_or3_b32 v4, v28, v5, v4
.LBB6_11206:                            ;   in Loop: Header=BB6_10551 Depth=3
	s_or_b32 exec_lo, exec_lo, s16
	s_waitcnt vmcnt(2)
	v_and_b32_sdwa v28, v24, v72 dst_sel:DWORD dst_unused:UNUSED_PAD src0_sel:WORD_1 src1_sel:DWORD
	s_mov_b32 s22, 0
	s_mov_b32 s16, exec_lo
	v_cmpx_lt_i16_e32 0x7f, v28
	s_xor_b32 s16, exec_lo, s16
	s_cbranch_execz .LBB6_12999
; %bb.11207:                            ;   in Loop: Header=BB6_10551 Depth=3
	s_mov_b32 s22, -1
	s_mov_b32 s23, exec_lo
	v_cmpx_eq_u16_e32 0x80, v28
; %bb.11208:                            ;   in Loop: Header=BB6_10551 Depth=3
	s_xor_b32 s22, exec_lo, -1
; %bb.11209:                            ;   in Loop: Header=BB6_10551 Depth=3
	s_or_b32 exec_lo, exec_lo, s23
	s_and_b32 s22, s22, exec_lo
                                        ; implicit-def: $vgpr28
	s_or_saveexec_b32 s16, s16
	v_mov_b32_e32 v5, 0x7f800001
	s_xor_b32 exec_lo, exec_lo, s16
	s_cbranch_execnz .LBB6_13000
.LBB6_11210:                            ;   in Loop: Header=BB6_10551 Depth=3
	s_or_b32 exec_lo, exec_lo, s16
	s_and_saveexec_b32 s16, s22
	s_cbranch_execz .LBB6_11212
.LBB6_11211:                            ;   in Loop: Header=BB6_10551 Depth=3
	v_bfe_u32 v5, v24, 16, 3
	v_bfe_u32 v28, v24, 19, 4
	v_ffbh_u32_e32 v29, v5
	v_cmp_eq_u32_e32 vcc_lo, 0, v28
	v_min_u32_e32 v29, 32, v29
	v_subrev_nc_u32_e32 v30, 28, v29
	v_sub_nc_u32_e32 v29, 29, v29
	v_lshlrev_b32_sdwa v30, v30, v24 dst_sel:DWORD dst_unused:UNUSED_PAD src0_sel:DWORD src1_sel:WORD_1
	v_cndmask_b32_e32 v28, v28, v29, vcc_lo
	v_lshlrev_b32_sdwa v29, v73, v24 dst_sel:DWORD dst_unused:UNUSED_PAD src0_sel:DWORD src1_sel:WORD_1
	v_and_b32_e32 v30, 7, v30
	v_lshl_add_u32 v28, v28, 23, 0x3b800000
	v_and_b32_e32 v29, 0x80000000, v29
	v_cndmask_b32_e32 v5, v5, v30, vcc_lo
	v_lshlrev_b32_e32 v5, 20, v5
	v_or3_b32 v5, v29, v28, v5
.LBB6_11212:                            ;   in Loop: Header=BB6_10551 Depth=3
	s_or_b32 exec_lo, exec_lo, s16
	v_max_f32_e32 v5, v5, v5
	v_max_f32_e32 v4, v4, v4
	s_mov_b32 s22, 0
	v_max_f32_e32 v4, v4, v5
.LBB6_11213:                            ;   in Loop: Header=BB6_10551 Depth=3
	s_and_b32 vcc_lo, exec_lo, s22
	s_cbranch_vccz .LBB6_11227
; %bb.11214:                            ;   in Loop: Header=BB6_10551 Depth=3
	s_mov_b32 s22, 0
	s_mov_b32 s16, exec_lo
	v_cmpx_lt_i16_e32 0x7f, v1
	s_xor_b32 s16, exec_lo, s16
	s_cbranch_execz .LBB6_13001
; %bb.11215:                            ;   in Loop: Header=BB6_10551 Depth=3
	s_mov_b32 s22, -1
	s_mov_b32 s23, exec_lo
	v_cmpx_eq_u16_e32 0x80, v1
; %bb.11216:                            ;   in Loop: Header=BB6_10551 Depth=3
	s_xor_b32 s22, exec_lo, -1
; %bb.11217:                            ;   in Loop: Header=BB6_10551 Depth=3
	s_or_b32 exec_lo, exec_lo, s23
	s_and_b32 s22, s22, exec_lo
                                        ; implicit-def: $vgpr1
	s_or_saveexec_b32 s16, s16
	v_mov_b32_e32 v4, 0x7f800001
	s_xor_b32 exec_lo, exec_lo, s16
	s_cbranch_execnz .LBB6_13002
.LBB6_11218:                            ;   in Loop: Header=BB6_10551 Depth=3
	s_or_b32 exec_lo, exec_lo, s16
	s_and_saveexec_b32 s16, s22
	s_cbranch_execz .LBB6_11220
.LBB6_11219:                            ;   in Loop: Header=BB6_10551 Depth=3
	v_bfe_u32 v1, v32, 16, 3
	v_bfe_u32 v4, v32, 19, 4
	v_ffbh_u32_e32 v5, v1
	v_cmp_eq_u32_e32 vcc_lo, 0, v4
	v_min_u32_e32 v5, 32, v5
	v_subrev_nc_u32_e32 v28, 28, v5
	v_sub_nc_u32_e32 v5, 29, v5
	v_lshlrev_b32_sdwa v28, v28, v32 dst_sel:DWORD dst_unused:UNUSED_PAD src0_sel:DWORD src1_sel:WORD_1
	v_cndmask_b32_e32 v4, v4, v5, vcc_lo
	v_lshlrev_b32_sdwa v5, v73, v32 dst_sel:DWORD dst_unused:UNUSED_PAD src0_sel:DWORD src1_sel:WORD_1
	v_and_b32_e32 v28, 7, v28
	v_lshl_add_u32 v4, v4, 23, 0x3b800000
	v_and_b32_e32 v5, 0x80000000, v5
	v_cndmask_b32_e32 v1, v1, v28, vcc_lo
	v_lshlrev_b32_e32 v1, 20, v1
	v_or3_b32 v4, v5, v4, v1
.LBB6_11220:                            ;   in Loop: Header=BB6_10551 Depth=3
	s_or_b32 exec_lo, exec_lo, s16
	s_waitcnt vmcnt(2)
	v_and_b32_sdwa v5, v24, v72 dst_sel:DWORD dst_unused:UNUSED_PAD src0_sel:WORD_1 src1_sel:DWORD
	s_mov_b32 s22, 0
	s_mov_b32 s16, exec_lo
	v_cmpx_lt_i16_e32 0x7f, v5
	s_xor_b32 s16, exec_lo, s16
	s_cbranch_execz .LBB6_13003
; %bb.11221:                            ;   in Loop: Header=BB6_10551 Depth=3
	s_mov_b32 s22, -1
	s_mov_b32 s23, exec_lo
	v_cmpx_eq_u16_e32 0x80, v5
; %bb.11222:                            ;   in Loop: Header=BB6_10551 Depth=3
	s_xor_b32 s22, exec_lo, -1
; %bb.11223:                            ;   in Loop: Header=BB6_10551 Depth=3
	s_or_b32 exec_lo, exec_lo, s23
	s_and_b32 s22, s22, exec_lo
                                        ; implicit-def: $vgpr5
	s_or_saveexec_b32 s16, s16
	v_mov_b32_e32 v1, 0x7f800001
	s_xor_b32 exec_lo, exec_lo, s16
	s_cbranch_execnz .LBB6_13004
.LBB6_11224:                            ;   in Loop: Header=BB6_10551 Depth=3
	s_or_b32 exec_lo, exec_lo, s16
	s_and_saveexec_b32 s16, s22
	s_cbranch_execz .LBB6_11226
.LBB6_11225:                            ;   in Loop: Header=BB6_10551 Depth=3
	v_bfe_u32 v1, v24, 16, 3
	v_bfe_u32 v5, v24, 19, 4
	v_ffbh_u32_e32 v28, v1
	v_cmp_eq_u32_e32 vcc_lo, 0, v5
	v_min_u32_e32 v28, 32, v28
	v_subrev_nc_u32_e32 v29, 28, v28
	v_sub_nc_u32_e32 v28, 29, v28
	v_lshlrev_b32_sdwa v29, v29, v24 dst_sel:DWORD dst_unused:UNUSED_PAD src0_sel:DWORD src1_sel:WORD_1
	v_cndmask_b32_e32 v5, v5, v28, vcc_lo
	v_lshlrev_b32_sdwa v28, v73, v24 dst_sel:DWORD dst_unused:UNUSED_PAD src0_sel:DWORD src1_sel:WORD_1
	v_and_b32_e32 v29, 7, v29
	v_lshl_add_u32 v5, v5, 23, 0x3b800000
	v_and_b32_e32 v28, 0x80000000, v28
	v_cndmask_b32_e32 v1, v1, v29, vcc_lo
	v_lshlrev_b32_e32 v1, 20, v1
	v_or3_b32 v1, v28, v5, v1
.LBB6_11226:                            ;   in Loop: Header=BB6_10551 Depth=3
	s_or_b32 exec_lo, exec_lo, s16
	v_max_f32_e32 v1, v1, v1
	v_max_f32_e32 v4, v4, v4
	v_min_f32_e32 v4, v4, v1
.LBB6_11227:                            ;   in Loop: Header=BB6_10551 Depth=3
	v_and_b32_e32 v1, 0x7f800000, v4
	v_mov_b32_e32 v30, 0x80
	s_mov_b32 s22, exec_lo
	v_cmpx_ne_u32_e32 0x7f800000, v1
	s_cbranch_execz .LBB6_11235
; %bb.11228:                            ;   in Loop: Header=BB6_10551 Depth=3
	v_mov_b32_e32 v30, 0
	s_mov_b32 s23, exec_lo
	v_cmpx_ne_u32_e32 0, v4
	s_cbranch_execz .LBB6_11234
; %bb.11229:                            ;   in Loop: Header=BB6_10551 Depth=3
	v_bfe_u32 v5, v4, 23, 8
	v_and_b32_e32 v1, 0x7fffff, v4
	v_cmp_gt_u32_e64 s16, 0x79, v5
	v_sub_nc_u32_e32 v28, 0x78, v5
	v_cmp_eq_u32_e32 vcc_lo, 0, v5
	v_or_b32_e32 v29, 0x800000, v1
	v_cndmask_b32_e64 v28, 0, v28, s16
	v_cndmask_b32_e32 v1, v29, v1, vcc_lo
	v_cndmask_b32_e64 v28, v28, 0x77, vcc_lo
	v_lshl_add_u32 v29, 0x100000, v28, -1
	v_lshlrev_b32_e64 v30, v28, 0x80000
	v_and_b32_e32 v29, v29, v1
	v_cmp_eq_u32_e64 s16, v29, v30
	v_lshrrev_b32_e32 v29, v28, v1
	v_add_nc_u32_e32 v1, 0xffffff89, v5
	v_lshrrev_b32_e32 v5, 23, v29
	v_cndmask_b32_e64 v1, v1, 0xffffff8a, vcc_lo
	v_xor_b32_e32 v5, 1, v5
	v_add_nc_u32_e32 v1, v28, v1
	v_bfe_u32 v28, v29, 20, 1
	v_add_nc_u32_e32 v28, -1, v28
	v_cndmask_b32_e64 v28, 0, v28, s16
	s_mov_b32 s16, exec_lo
	v_add_nc_u32_e32 v28, v28, v29
	v_and_b32_e32 v28, 0xfffff, v28
	v_add_nc_u32_e32 v28, v28, v29
                                        ; implicit-def: $vgpr29
	v_cmpx_ne_u32_e64 v1, v5
	s_xor_b32 s16, exec_lo, s16
; %bb.11230:                            ;   in Loop: Header=BB6_10551 Depth=3
	v_cmp_lt_u32_e32 vcc_lo, 0xffffff, v28
	v_sub_nc_u32_e32 v1, v1, v5
	v_cndmask_b32_e64 v5, 0, 1, vcc_lo
	v_add_co_ci_u32_e64 v29, null, 0, v1, vcc_lo
	v_lshrrev_b32_e32 v28, v5, v28
; %bb.11231:                            ;   in Loop: Header=BB6_10551 Depth=3
	s_andn2_saveexec_b32 s16, s16
; %bb.11232:                            ;   in Loop: Header=BB6_10551 Depth=3
	v_bfe_u32 v29, v28, 23, 1
; %bb.11233:                            ;   in Loop: Header=BB6_10551 Depth=3
	s_or_b32 exec_lo, exec_lo, s16
	v_and_b32_sdwa v1, v4, v62 dst_sel:DWORD dst_unused:UNUSED_PAD src0_sel:BYTE_3 src1_sel:DWORD
	v_lshrrev_b32_e32 v4, 20, v28
	v_min_i32_e32 v5, 15, v29
	v_cmp_gt_i32_e32 vcc_lo, 16, v29
	v_lshlrev_b32_e32 v5, 3, v5
	v_cndmask_b32_e32 v4, 7, v4, vcc_lo
	v_and_b32_e32 v5, 0xf8, v5
	v_or_b32_e32 v28, v29, v4
	v_and_b32_e32 v4, 7, v4
	v_cmp_ne_u32_e32 vcc_lo, 0, v28
	v_or3_b32 v1, v5, v1, v4
	v_cndmask_b32_e32 v30, 0, v1, vcc_lo
.LBB6_11234:                            ;   in Loop: Header=BB6_10551 Depth=3
	s_or_b32 exec_lo, exec_lo, s23
.LBB6_11235:                            ;   in Loop: Header=BB6_10551 Depth=3
	s_or_b32 exec_lo, exec_lo, s22
	v_cmp_gt_i16_sdwa s22, v32, v61 src0_sel:BYTE_3 src1_sel:DWORD
	s_andn2_b32 vcc_lo, exec_lo, s19
	s_mov_b32 s16, -1
                                        ; implicit-def: $vgpr1
	s_cbranch_vccnz .LBB6_11249
; %bb.11236:                            ;   in Loop: Header=BB6_10551 Depth=3
	s_mov_b32 s16, 0
	s_and_saveexec_b32 s23, s22
	s_xor_b32 s22, exec_lo, s23
	s_cbranch_execz .LBB6_13005
; %bb.11237:                            ;   in Loop: Header=BB6_10551 Depth=3
	v_cmp_eq_u16_sdwa s73, v32, v62 src0_sel:BYTE_3 src1_sel:DWORD
	s_mov_b32 s16, -1
	s_and_saveexec_b32 s23, s73
; %bb.11238:                            ;   in Loop: Header=BB6_10551 Depth=3
	s_xor_b32 s16, exec_lo, -1
; %bb.11239:                            ;   in Loop: Header=BB6_10551 Depth=3
	s_or_b32 exec_lo, exec_lo, s23
	s_and_b32 s16, s16, exec_lo
	s_or_saveexec_b32 s22, s22
	v_mov_b32_e32 v1, 0x7f800001
	s_xor_b32 exec_lo, exec_lo, s22
	s_cbranch_execnz .LBB6_13006
.LBB6_11240:                            ;   in Loop: Header=BB6_10551 Depth=3
	s_or_b32 exec_lo, exec_lo, s22
	s_and_saveexec_b32 s22, s16
	s_cbranch_execz .LBB6_11242
.LBB6_11241:                            ;   in Loop: Header=BB6_10551 Depth=3
	v_bfe_u32 v1, v32, 24, 3
	v_bfe_u32 v28, v32, 27, 4
	v_ffbh_u32_e32 v4, v1
	v_cmp_eq_u32_e32 vcc_lo, 0, v28
	v_min_u32_e32 v4, 32, v4
	v_subrev_nc_u32_e32 v5, 28, v4
	v_sub_nc_u32_e32 v4, 29, v4
	v_lshlrev_b32_sdwa v5, v5, v32 dst_sel:DWORD dst_unused:UNUSED_PAD src0_sel:DWORD src1_sel:BYTE_3
	v_cndmask_b32_e32 v4, v28, v4, vcc_lo
	v_and_b32_e32 v5, 7, v5
	v_lshl_add_u32 v4, v4, 23, 0x3b800000
	v_cndmask_b32_e32 v1, v1, v5, vcc_lo
	v_and_b32_e32 v5, 0x80000000, v32
	v_lshlrev_b32_e32 v1, 20, v1
	v_or3_b32 v1, v5, v4, v1
.LBB6_11242:                            ;   in Loop: Header=BB6_10551 Depth=3
	s_or_b32 exec_lo, exec_lo, s22
	s_waitcnt vmcnt(2)
	v_cmp_gt_i16_sdwa s22, v24, v61 src0_sel:BYTE_3 src1_sel:DWORD
	s_mov_b32 s16, 0
	s_and_saveexec_b32 s23, s22
	s_xor_b32 s22, exec_lo, s23
	s_cbranch_execz .LBB6_13007
; %bb.11243:                            ;   in Loop: Header=BB6_10551 Depth=3
	v_cmp_eq_u16_sdwa s73, v24, v62 src0_sel:BYTE_3 src1_sel:DWORD
	s_mov_b32 s16, -1
	s_and_saveexec_b32 s23, s73
; %bb.11244:                            ;   in Loop: Header=BB6_10551 Depth=3
	s_xor_b32 s16, exec_lo, -1
; %bb.11245:                            ;   in Loop: Header=BB6_10551 Depth=3
	s_or_b32 exec_lo, exec_lo, s23
	s_and_b32 s16, s16, exec_lo
	s_or_saveexec_b32 s22, s22
	v_mov_b32_e32 v4, 0x7f800001
	s_xor_b32 exec_lo, exec_lo, s22
	s_cbranch_execnz .LBB6_13008
.LBB6_11246:                            ;   in Loop: Header=BB6_10551 Depth=3
	s_or_b32 exec_lo, exec_lo, s22
	s_and_saveexec_b32 s22, s16
	s_cbranch_execz .LBB6_11248
.LBB6_11247:                            ;   in Loop: Header=BB6_10551 Depth=3
	v_bfe_u32 v4, v24, 24, 3
	v_bfe_u32 v29, v24, 27, 4
	v_ffbh_u32_e32 v5, v4
	v_cmp_eq_u32_e32 vcc_lo, 0, v29
	v_min_u32_e32 v5, 32, v5
	v_subrev_nc_u32_e32 v28, 28, v5
	v_sub_nc_u32_e32 v5, 29, v5
	v_lshlrev_b32_sdwa v28, v28, v24 dst_sel:DWORD dst_unused:UNUSED_PAD src0_sel:DWORD src1_sel:BYTE_3
	v_cndmask_b32_e32 v5, v29, v5, vcc_lo
	v_and_b32_e32 v28, 7, v28
	v_lshl_add_u32 v5, v5, 23, 0x3b800000
	v_cndmask_b32_e32 v4, v4, v28, vcc_lo
	v_and_b32_e32 v28, 0x80000000, v24
	v_lshlrev_b32_e32 v4, 20, v4
	v_or3_b32 v4, v28, v5, v4
.LBB6_11248:                            ;   in Loop: Header=BB6_10551 Depth=3
	s_or_b32 exec_lo, exec_lo, s22
	v_max_f32_e32 v4, v4, v4
	v_max_f32_e32 v1, v1, v1
	s_mov_b32 s16, 0
	v_max_f32_e32 v1, v1, v4
.LBB6_11249:                            ;   in Loop: Header=BB6_10551 Depth=3
	s_and_b32 vcc_lo, exec_lo, s16
	s_cbranch_vccz .LBB6_11263
; %bb.11250:                            ;   in Loop: Header=BB6_10551 Depth=3
	v_cmp_gt_i16_sdwa s22, v32, v61 src0_sel:BYTE_3 src1_sel:DWORD
	s_mov_b32 s16, 0
	s_and_saveexec_b32 s23, s22
	s_xor_b32 s22, exec_lo, s23
	s_cbranch_execz .LBB6_13009
; %bb.11251:                            ;   in Loop: Header=BB6_10551 Depth=3
	v_cmp_eq_u16_sdwa s73, v32, v62 src0_sel:BYTE_3 src1_sel:DWORD
	s_mov_b32 s16, -1
	s_and_saveexec_b32 s23, s73
; %bb.11252:                            ;   in Loop: Header=BB6_10551 Depth=3
	s_xor_b32 s16, exec_lo, -1
; %bb.11253:                            ;   in Loop: Header=BB6_10551 Depth=3
	s_or_b32 exec_lo, exec_lo, s23
	s_and_b32 s16, s16, exec_lo
	s_or_saveexec_b32 s22, s22
	v_mov_b32_e32 v1, 0x7f800001
	s_xor_b32 exec_lo, exec_lo, s22
	s_cbranch_execnz .LBB6_13010
.LBB6_11254:                            ;   in Loop: Header=BB6_10551 Depth=3
	s_or_b32 exec_lo, exec_lo, s22
	s_and_saveexec_b32 s22, s16
	s_cbranch_execz .LBB6_11256
.LBB6_11255:                            ;   in Loop: Header=BB6_10551 Depth=3
	v_bfe_u32 v1, v32, 24, 3
	v_bfe_u32 v28, v32, 27, 4
	v_ffbh_u32_e32 v4, v1
	v_cmp_eq_u32_e32 vcc_lo, 0, v28
	v_min_u32_e32 v4, 32, v4
	v_subrev_nc_u32_e32 v5, 28, v4
	v_sub_nc_u32_e32 v4, 29, v4
	v_lshlrev_b32_sdwa v5, v5, v32 dst_sel:DWORD dst_unused:UNUSED_PAD src0_sel:DWORD src1_sel:BYTE_3
	v_cndmask_b32_e32 v4, v28, v4, vcc_lo
	v_and_b32_e32 v5, 7, v5
	v_lshl_add_u32 v4, v4, 23, 0x3b800000
	v_cndmask_b32_e32 v1, v1, v5, vcc_lo
	v_and_b32_e32 v5, 0x80000000, v32
	v_lshlrev_b32_e32 v1, 20, v1
	v_or3_b32 v1, v5, v4, v1
.LBB6_11256:                            ;   in Loop: Header=BB6_10551 Depth=3
	s_or_b32 exec_lo, exec_lo, s22
	s_waitcnt vmcnt(2)
	v_cmp_gt_i16_sdwa s22, v24, v61 src0_sel:BYTE_3 src1_sel:DWORD
	s_mov_b32 s16, 0
	s_and_saveexec_b32 s23, s22
	s_xor_b32 s22, exec_lo, s23
	s_cbranch_execz .LBB6_13011
; %bb.11257:                            ;   in Loop: Header=BB6_10551 Depth=3
	v_cmp_eq_u16_sdwa s73, v24, v62 src0_sel:BYTE_3 src1_sel:DWORD
	s_mov_b32 s16, -1
	s_and_saveexec_b32 s23, s73
; %bb.11258:                            ;   in Loop: Header=BB6_10551 Depth=3
	s_xor_b32 s16, exec_lo, -1
; %bb.11259:                            ;   in Loop: Header=BB6_10551 Depth=3
	s_or_b32 exec_lo, exec_lo, s23
	s_and_b32 s16, s16, exec_lo
	s_or_saveexec_b32 s22, s22
	v_mov_b32_e32 v4, 0x7f800001
	s_xor_b32 exec_lo, exec_lo, s22
	s_cbranch_execnz .LBB6_13012
.LBB6_11260:                            ;   in Loop: Header=BB6_10551 Depth=3
	s_or_b32 exec_lo, exec_lo, s22
	s_and_saveexec_b32 s22, s16
	s_cbranch_execz .LBB6_11262
.LBB6_11261:                            ;   in Loop: Header=BB6_10551 Depth=3
	v_bfe_u32 v4, v24, 24, 3
	v_bfe_u32 v29, v24, 27, 4
	v_ffbh_u32_e32 v5, v4
	v_cmp_eq_u32_e32 vcc_lo, 0, v29
	v_min_u32_e32 v5, 32, v5
	v_subrev_nc_u32_e32 v28, 28, v5
	v_sub_nc_u32_e32 v5, 29, v5
	v_lshlrev_b32_sdwa v28, v28, v24 dst_sel:DWORD dst_unused:UNUSED_PAD src0_sel:DWORD src1_sel:BYTE_3
	v_cndmask_b32_e32 v5, v29, v5, vcc_lo
	v_and_b32_e32 v24, 0x80000000, v24
	v_and_b32_e32 v28, 7, v28
	v_lshl_add_u32 v5, v5, 23, 0x3b800000
	v_cndmask_b32_e32 v4, v4, v28, vcc_lo
	v_lshlrev_b32_e32 v4, 20, v4
	v_or3_b32 v4, v24, v5, v4
.LBB6_11262:                            ;   in Loop: Header=BB6_10551 Depth=3
	s_or_b32 exec_lo, exec_lo, s22
	v_max_f32_e32 v4, v4, v4
	v_max_f32_e32 v1, v1, v1
	v_min_f32_e32 v1, v1, v4
.LBB6_11263:                            ;   in Loop: Header=BB6_10551 Depth=3
	v_and_b32_e32 v4, 0x7f800000, v1
	s_waitcnt vmcnt(2)
	v_mov_b32_e32 v24, 0x8000
	s_mov_b32 s22, exec_lo
	v_cmpx_ne_u32_e32 0x7f800000, v4
	s_cbranch_execz .LBB6_11271
; %bb.11264:                            ;   in Loop: Header=BB6_10551 Depth=3
	v_mov_b32_e32 v24, 0
	s_mov_b32 s23, exec_lo
	v_cmpx_ne_u32_e32 0, v1
	s_cbranch_execz .LBB6_11270
; %bb.11265:                            ;   in Loop: Header=BB6_10551 Depth=3
	v_bfe_u32 v5, v1, 23, 8
	v_and_b32_e32 v4, 0x7fffff, v1
	v_cmp_gt_u32_e64 s16, 0x79, v5
	v_sub_nc_u32_e32 v24, 0x78, v5
	v_cmp_eq_u32_e32 vcc_lo, 0, v5
	v_or_b32_e32 v28, 0x800000, v4
	v_cndmask_b32_e64 v24, 0, v24, s16
	v_cndmask_b32_e32 v4, v28, v4, vcc_lo
	v_cndmask_b32_e64 v24, v24, 0x77, vcc_lo
	v_lshl_add_u32 v28, 0x100000, v24, -1
	v_lshlrev_b32_e64 v29, v24, 0x80000
	v_and_b32_e32 v28, v28, v4
	v_cmp_eq_u32_e64 s16, v28, v29
	v_lshrrev_b32_e32 v28, v24, v4
	v_add_nc_u32_e32 v4, 0xffffff89, v5
	v_lshrrev_b32_e32 v5, 23, v28
	v_cndmask_b32_e64 v4, v4, 0xffffff8a, vcc_lo
	v_xor_b32_e32 v5, 1, v5
	v_add_nc_u32_e32 v4, v24, v4
	v_bfe_u32 v24, v28, 20, 1
	v_add_nc_u32_e32 v24, -1, v24
	v_cndmask_b32_e64 v24, 0, v24, s16
	s_mov_b32 s16, exec_lo
	v_add_nc_u32_e32 v24, v24, v28
	v_and_b32_e32 v24, 0xfffff, v24
	v_add_nc_u32_e32 v24, v24, v28
                                        ; implicit-def: $vgpr28
	v_cmpx_ne_u32_e64 v4, v5
	s_xor_b32 s16, exec_lo, s16
; %bb.11266:                            ;   in Loop: Header=BB6_10551 Depth=3
	v_cmp_lt_u32_e32 vcc_lo, 0xffffff, v24
	v_sub_nc_u32_e32 v4, v4, v5
	v_cndmask_b32_e64 v5, 0, 1, vcc_lo
	v_add_co_ci_u32_e64 v28, null, 0, v4, vcc_lo
	v_lshrrev_b32_e32 v24, v5, v24
; %bb.11267:                            ;   in Loop: Header=BB6_10551 Depth=3
	s_andn2_saveexec_b32 s16, s16
; %bb.11268:                            ;   in Loop: Header=BB6_10551 Depth=3
	v_bfe_u32 v28, v24, 23, 1
; %bb.11269:                            ;   in Loop: Header=BB6_10551 Depth=3
	s_or_b32 exec_lo, exec_lo, s16
	v_lshrrev_b32_e32 v4, 20, v24
	v_min_i32_e32 v5, 15, v28
	v_cmp_gt_i32_e32 vcc_lo, 16, v28
	v_and_b32_sdwa v1, v1, v62 dst_sel:DWORD dst_unused:UNUSED_PAD src0_sel:BYTE_3 src1_sel:DWORD
	v_lshlrev_b32_e32 v5, 3, v5
	v_cndmask_b32_e32 v4, 7, v4, vcc_lo
	v_and_b32_e32 v5, 0xf8, v5
	v_or_b32_e32 v24, v28, v4
	v_and_b32_e32 v4, 7, v4
	v_cmp_ne_u32_e32 vcc_lo, 0, v24
	v_or3_b32 v1, v1, v5, v4
	v_lshlrev_b32_e32 v1, 8, v1
	v_cndmask_b32_e32 v24, 0, v1, vcc_lo
.LBB6_11270:                            ;   in Loop: Header=BB6_10551 Depth=3
	s_or_b32 exec_lo, exec_lo, s23
.LBB6_11271:                            ;   in Loop: Header=BB6_10551 Depth=3
	s_or_b32 exec_lo, exec_lo, s22
	v_cmp_gt_i16_sdwa s23, v33, v61 src0_sel:BYTE_0 src1_sel:DWORD
	s_andn2_b32 vcc_lo, exec_lo, s19
	s_mov_b32 s16, -1
                                        ; implicit-def: $vgpr1
	s_cbranch_vccnz .LBB6_11285
; %bb.11272:                            ;   in Loop: Header=BB6_10551 Depth=3
	s_mov_b32 s22, 0
	s_and_saveexec_b32 s16, s23
	s_xor_b32 s16, exec_lo, s16
	s_cbranch_execz .LBB6_13013
; %bb.11273:                            ;   in Loop: Header=BB6_10551 Depth=3
	v_cmp_eq_u16_sdwa s73, v33, v62 src0_sel:BYTE_0 src1_sel:DWORD
	s_mov_b32 s22, -1
	s_and_saveexec_b32 s23, s73
; %bb.11274:                            ;   in Loop: Header=BB6_10551 Depth=3
	s_xor_b32 s22, exec_lo, -1
; %bb.11275:                            ;   in Loop: Header=BB6_10551 Depth=3
	s_or_b32 exec_lo, exec_lo, s23
	s_and_b32 s22, s22, exec_lo
	s_or_saveexec_b32 s16, s16
	v_mov_b32_e32 v1, 0x7f800001
	s_xor_b32 exec_lo, exec_lo, s16
	s_cbranch_execnz .LBB6_13014
.LBB6_11276:                            ;   in Loop: Header=BB6_10551 Depth=3
	s_or_b32 exec_lo, exec_lo, s16
	s_and_saveexec_b32 s16, s22
	s_cbranch_execz .LBB6_11278
.LBB6_11277:                            ;   in Loop: Header=BB6_10551 Depth=3
	v_and_b32_e32 v1, 7, v33
	v_bfe_u32 v4, v33, 3, 4
	v_ffbh_u32_e32 v5, v1
	v_cmp_eq_u32_e32 vcc_lo, 0, v4
	v_min_u32_e32 v5, 32, v5
	v_subrev_nc_u32_e32 v28, 28, v5
	v_sub_nc_u32_e32 v5, 29, v5
	v_lshlrev_b32_e32 v28, v28, v33
	v_cndmask_b32_e32 v4, v4, v5, vcc_lo
	v_lshlrev_b32_e32 v5, 24, v33
	v_and_b32_e32 v28, 7, v28
	v_lshl_add_u32 v4, v4, 23, 0x3b800000
	v_and_b32_e32 v5, 0x80000000, v5
	v_cndmask_b32_e32 v1, v1, v28, vcc_lo
	v_lshlrev_b32_e32 v1, 20, v1
	v_or3_b32 v1, v5, v4, v1
.LBB6_11278:                            ;   in Loop: Header=BB6_10551 Depth=3
	s_or_b32 exec_lo, exec_lo, s16
	v_cmp_gt_i16_sdwa s16, v25, v61 src0_sel:BYTE_0 src1_sel:DWORD
	s_mov_b32 s22, 0
	s_and_saveexec_b32 s23, s16
	s_xor_b32 s16, exec_lo, s23
	s_cbranch_execz .LBB6_13015
; %bb.11279:                            ;   in Loop: Header=BB6_10551 Depth=3
	v_cmp_eq_u16_sdwa s73, v25, v62 src0_sel:BYTE_0 src1_sel:DWORD
	s_mov_b32 s22, -1
	s_and_saveexec_b32 s23, s73
; %bb.11280:                            ;   in Loop: Header=BB6_10551 Depth=3
	s_xor_b32 s22, exec_lo, -1
; %bb.11281:                            ;   in Loop: Header=BB6_10551 Depth=3
	s_or_b32 exec_lo, exec_lo, s23
	s_and_b32 s22, s22, exec_lo
	s_or_saveexec_b32 s16, s16
	v_mov_b32_e32 v4, 0x7f800001
	s_xor_b32 exec_lo, exec_lo, s16
	s_cbranch_execnz .LBB6_13016
.LBB6_11282:                            ;   in Loop: Header=BB6_10551 Depth=3
	s_or_b32 exec_lo, exec_lo, s16
	s_and_saveexec_b32 s16, s22
	s_cbranch_execz .LBB6_11284
.LBB6_11283:                            ;   in Loop: Header=BB6_10551 Depth=3
	v_and_b32_e32 v4, 7, v25
	v_bfe_u32 v5, v25, 3, 4
	v_ffbh_u32_e32 v28, v4
	v_cmp_eq_u32_e32 vcc_lo, 0, v5
	v_min_u32_e32 v28, 32, v28
	v_subrev_nc_u32_e32 v29, 28, v28
	v_sub_nc_u32_e32 v28, 29, v28
	v_lshlrev_b32_e32 v29, v29, v25
	v_cndmask_b32_e32 v5, v5, v28, vcc_lo
	v_lshlrev_b32_e32 v28, 24, v25
	v_and_b32_e32 v29, 7, v29
	v_lshl_add_u32 v5, v5, 23, 0x3b800000
	v_and_b32_e32 v28, 0x80000000, v28
	v_cndmask_b32_e32 v4, v4, v29, vcc_lo
	v_lshlrev_b32_e32 v4, 20, v4
	v_or3_b32 v4, v28, v5, v4
.LBB6_11284:                            ;   in Loop: Header=BB6_10551 Depth=3
	s_or_b32 exec_lo, exec_lo, s16
	v_max_f32_e32 v4, v4, v4
	v_max_f32_e32 v1, v1, v1
	s_mov_b32 s16, 0
	v_max_f32_e32 v1, v1, v4
.LBB6_11285:                            ;   in Loop: Header=BB6_10551 Depth=3
	s_and_b32 vcc_lo, exec_lo, s16
	s_cbranch_vccz .LBB6_11299
; %bb.11286:                            ;   in Loop: Header=BB6_10551 Depth=3
	v_cmp_gt_i16_sdwa s16, v33, v61 src0_sel:BYTE_0 src1_sel:DWORD
	s_mov_b32 s22, 0
	s_and_saveexec_b32 s23, s16
	s_xor_b32 s16, exec_lo, s23
	s_cbranch_execz .LBB6_13017
; %bb.11287:                            ;   in Loop: Header=BB6_10551 Depth=3
	v_cmp_eq_u16_sdwa s73, v33, v62 src0_sel:BYTE_0 src1_sel:DWORD
	s_mov_b32 s22, -1
	s_and_saveexec_b32 s23, s73
; %bb.11288:                            ;   in Loop: Header=BB6_10551 Depth=3
	s_xor_b32 s22, exec_lo, -1
; %bb.11289:                            ;   in Loop: Header=BB6_10551 Depth=3
	s_or_b32 exec_lo, exec_lo, s23
	s_and_b32 s22, s22, exec_lo
	s_or_saveexec_b32 s16, s16
	v_mov_b32_e32 v1, 0x7f800001
	s_xor_b32 exec_lo, exec_lo, s16
	s_cbranch_execnz .LBB6_13018
.LBB6_11290:                            ;   in Loop: Header=BB6_10551 Depth=3
	s_or_b32 exec_lo, exec_lo, s16
	s_and_saveexec_b32 s16, s22
	s_cbranch_execz .LBB6_11292
.LBB6_11291:                            ;   in Loop: Header=BB6_10551 Depth=3
	v_and_b32_e32 v1, 7, v33
	v_bfe_u32 v4, v33, 3, 4
	v_ffbh_u32_e32 v5, v1
	v_cmp_eq_u32_e32 vcc_lo, 0, v4
	v_min_u32_e32 v5, 32, v5
	v_subrev_nc_u32_e32 v28, 28, v5
	v_sub_nc_u32_e32 v5, 29, v5
	v_lshlrev_b32_e32 v28, v28, v33
	v_cndmask_b32_e32 v4, v4, v5, vcc_lo
	v_lshlrev_b32_e32 v5, 24, v33
	v_and_b32_e32 v28, 7, v28
	v_lshl_add_u32 v4, v4, 23, 0x3b800000
	v_and_b32_e32 v5, 0x80000000, v5
	v_cndmask_b32_e32 v1, v1, v28, vcc_lo
	v_lshlrev_b32_e32 v1, 20, v1
	v_or3_b32 v1, v5, v4, v1
.LBB6_11292:                            ;   in Loop: Header=BB6_10551 Depth=3
	s_or_b32 exec_lo, exec_lo, s16
	v_cmp_gt_i16_sdwa s16, v25, v61 src0_sel:BYTE_0 src1_sel:DWORD
	s_mov_b32 s22, 0
	s_and_saveexec_b32 s23, s16
	s_xor_b32 s16, exec_lo, s23
	s_cbranch_execz .LBB6_13019
; %bb.11293:                            ;   in Loop: Header=BB6_10551 Depth=3
	v_cmp_eq_u16_sdwa s73, v25, v62 src0_sel:BYTE_0 src1_sel:DWORD
	s_mov_b32 s22, -1
	s_and_saveexec_b32 s23, s73
; %bb.11294:                            ;   in Loop: Header=BB6_10551 Depth=3
	s_xor_b32 s22, exec_lo, -1
; %bb.11295:                            ;   in Loop: Header=BB6_10551 Depth=3
	s_or_b32 exec_lo, exec_lo, s23
	s_and_b32 s22, s22, exec_lo
	s_or_saveexec_b32 s16, s16
	v_mov_b32_e32 v4, 0x7f800001
	s_xor_b32 exec_lo, exec_lo, s16
	s_cbranch_execnz .LBB6_13020
.LBB6_11296:                            ;   in Loop: Header=BB6_10551 Depth=3
	s_or_b32 exec_lo, exec_lo, s16
	s_and_saveexec_b32 s16, s22
	s_cbranch_execz .LBB6_11298
.LBB6_11297:                            ;   in Loop: Header=BB6_10551 Depth=3
	v_and_b32_e32 v4, 7, v25
	v_bfe_u32 v5, v25, 3, 4
	v_ffbh_u32_e32 v28, v4
	v_cmp_eq_u32_e32 vcc_lo, 0, v5
	v_min_u32_e32 v28, 32, v28
	v_subrev_nc_u32_e32 v29, 28, v28
	v_sub_nc_u32_e32 v28, 29, v28
	v_lshlrev_b32_e32 v29, v29, v25
	v_cndmask_b32_e32 v5, v5, v28, vcc_lo
	v_lshlrev_b32_e32 v28, 24, v25
	v_and_b32_e32 v29, 7, v29
	v_lshl_add_u32 v5, v5, 23, 0x3b800000
	v_and_b32_e32 v28, 0x80000000, v28
	v_cndmask_b32_e32 v4, v4, v29, vcc_lo
	v_lshlrev_b32_e32 v4, 20, v4
	v_or3_b32 v4, v28, v5, v4
.LBB6_11298:                            ;   in Loop: Header=BB6_10551 Depth=3
	s_or_b32 exec_lo, exec_lo, s16
	v_max_f32_e32 v4, v4, v4
	v_max_f32_e32 v1, v1, v1
	v_min_f32_e32 v1, v1, v4
.LBB6_11299:                            ;   in Loop: Header=BB6_10551 Depth=3
	v_and_b32_e32 v4, 0x7f800000, v1
	v_mov_b32_e32 v32, 0x80
	s_mov_b32 s22, exec_lo
	v_cmpx_ne_u32_e32 0x7f800000, v4
	s_cbranch_execz .LBB6_11307
; %bb.11300:                            ;   in Loop: Header=BB6_10551 Depth=3
	v_mov_b32_e32 v32, 0
	s_mov_b32 s23, exec_lo
	v_cmpx_ne_u32_e32 0, v1
	s_cbranch_execz .LBB6_11306
; %bb.11301:                            ;   in Loop: Header=BB6_10551 Depth=3
	v_bfe_u32 v5, v1, 23, 8
	v_and_b32_e32 v4, 0x7fffff, v1
	v_cmp_gt_u32_e64 s16, 0x79, v5
	v_sub_nc_u32_e32 v28, 0x78, v5
	v_cmp_eq_u32_e32 vcc_lo, 0, v5
	v_or_b32_e32 v29, 0x800000, v4
	v_cndmask_b32_e64 v28, 0, v28, s16
	v_cndmask_b32_e32 v4, v29, v4, vcc_lo
	v_cndmask_b32_e64 v28, v28, 0x77, vcc_lo
	v_lshl_add_u32 v29, 0x100000, v28, -1
	v_lshlrev_b32_e64 v31, v28, 0x80000
	v_and_b32_e32 v29, v29, v4
	v_cmp_eq_u32_e64 s16, v29, v31
	v_lshrrev_b32_e32 v29, v28, v4
	v_add_nc_u32_e32 v4, 0xffffff89, v5
	v_lshrrev_b32_e32 v5, 23, v29
	v_cndmask_b32_e64 v4, v4, 0xffffff8a, vcc_lo
	v_xor_b32_e32 v5, 1, v5
	v_add_nc_u32_e32 v4, v28, v4
	v_bfe_u32 v28, v29, 20, 1
	v_add_nc_u32_e32 v28, -1, v28
	v_cndmask_b32_e64 v28, 0, v28, s16
	s_mov_b32 s16, exec_lo
	v_add_nc_u32_e32 v28, v28, v29
	v_and_b32_e32 v28, 0xfffff, v28
	v_add_nc_u32_e32 v28, v28, v29
                                        ; implicit-def: $vgpr29
	v_cmpx_ne_u32_e64 v4, v5
	s_xor_b32 s16, exec_lo, s16
; %bb.11302:                            ;   in Loop: Header=BB6_10551 Depth=3
	v_cmp_lt_u32_e32 vcc_lo, 0xffffff, v28
	v_sub_nc_u32_e32 v4, v4, v5
	v_cndmask_b32_e64 v5, 0, 1, vcc_lo
	v_add_co_ci_u32_e64 v29, null, 0, v4, vcc_lo
	v_lshrrev_b32_e32 v28, v5, v28
; %bb.11303:                            ;   in Loop: Header=BB6_10551 Depth=3
	s_andn2_saveexec_b32 s16, s16
; %bb.11304:                            ;   in Loop: Header=BB6_10551 Depth=3
	v_bfe_u32 v29, v28, 23, 1
; %bb.11305:                            ;   in Loop: Header=BB6_10551 Depth=3
	s_or_b32 exec_lo, exec_lo, s16
	v_lshrrev_b32_e32 v4, 20, v28
	v_min_i32_e32 v5, 15, v29
	v_cmp_gt_i32_e32 vcc_lo, 16, v29
	v_and_b32_sdwa v1, v1, v62 dst_sel:DWORD dst_unused:UNUSED_PAD src0_sel:BYTE_3 src1_sel:DWORD
	v_lshlrev_b32_e32 v5, 3, v5
	v_cndmask_b32_e32 v4, 7, v4, vcc_lo
	v_and_b32_e32 v5, 0xf8, v5
	v_or_b32_e32 v28, v29, v4
	v_and_b32_e32 v4, 7, v4
	v_cmp_ne_u32_e32 vcc_lo, 0, v28
	v_or3_b32 v1, v5, v1, v4
	v_cndmask_b32_e32 v32, 0, v1, vcc_lo
.LBB6_11306:                            ;   in Loop: Header=BB6_10551 Depth=3
	s_or_b32 exec_lo, exec_lo, s23
.LBB6_11307:                            ;   in Loop: Header=BB6_10551 Depth=3
	s_or_b32 exec_lo, exec_lo, s22
	v_cmp_gt_i16_sdwa s22, v33, v61 src0_sel:BYTE_1 src1_sel:DWORD
	s_andn2_b32 vcc_lo, exec_lo, s19
	s_mov_b32 s16, -1
                                        ; implicit-def: $vgpr1
	s_cbranch_vccnz .LBB6_11321
; %bb.11308:                            ;   in Loop: Header=BB6_10551 Depth=3
	s_mov_b32 s16, 0
	s_and_saveexec_b32 s23, s22
	s_xor_b32 s22, exec_lo, s23
	s_cbranch_execz .LBB6_13021
; %bb.11309:                            ;   in Loop: Header=BB6_10551 Depth=3
	v_cmp_eq_u16_sdwa s73, v33, v62 src0_sel:BYTE_1 src1_sel:DWORD
	s_mov_b32 s16, -1
	s_and_saveexec_b32 s23, s73
; %bb.11310:                            ;   in Loop: Header=BB6_10551 Depth=3
	s_xor_b32 s16, exec_lo, -1
; %bb.11311:                            ;   in Loop: Header=BB6_10551 Depth=3
	s_or_b32 exec_lo, exec_lo, s23
	s_and_b32 s16, s16, exec_lo
	s_or_saveexec_b32 s22, s22
	v_mov_b32_e32 v1, 0x7f800001
	s_xor_b32 exec_lo, exec_lo, s22
	s_cbranch_execnz .LBB6_13022
.LBB6_11312:                            ;   in Loop: Header=BB6_10551 Depth=3
	s_or_b32 exec_lo, exec_lo, s22
	s_and_saveexec_b32 s22, s16
	s_cbranch_execz .LBB6_11314
.LBB6_11313:                            ;   in Loop: Header=BB6_10551 Depth=3
	v_and_b32_sdwa v1, v63, v33 dst_sel:DWORD dst_unused:UNUSED_PAD src0_sel:DWORD src1_sel:BYTE_1
	v_and_b32_e32 v4, 7, v1
	v_bfe_u32 v29, v1, 3, 4
	v_ffbh_u32_e32 v5, v4
	v_cmp_eq_u32_e32 vcc_lo, 0, v29
	v_min_u32_e32 v5, 32, v5
	v_subrev_nc_u32_e32 v28, 28, v5
	v_sub_nc_u32_e32 v5, 29, v5
	v_lshlrev_b32_e32 v1, v28, v1
	v_lshlrev_b32_e32 v28, 16, v33
	v_cndmask_b32_e32 v5, v29, v5, vcc_lo
	v_and_b32_e32 v1, 7, v1
	v_lshl_add_u32 v5, v5, 23, 0x3b800000
	v_cndmask_b32_e32 v1, v4, v1, vcc_lo
	v_and_b32_e32 v4, 0x80000000, v28
	v_lshlrev_b32_e32 v1, 20, v1
	v_or3_b32 v1, v4, v5, v1
.LBB6_11314:                            ;   in Loop: Header=BB6_10551 Depth=3
	s_or_b32 exec_lo, exec_lo, s22
	v_cmp_gt_i16_sdwa s22, v25, v61 src0_sel:BYTE_1 src1_sel:DWORD
	s_mov_b32 s16, 0
	s_and_saveexec_b32 s23, s22
	s_xor_b32 s22, exec_lo, s23
	s_cbranch_execz .LBB6_13023
; %bb.11315:                            ;   in Loop: Header=BB6_10551 Depth=3
	v_cmp_eq_u16_sdwa s73, v25, v62 src0_sel:BYTE_1 src1_sel:DWORD
	s_mov_b32 s16, -1
	s_and_saveexec_b32 s23, s73
; %bb.11316:                            ;   in Loop: Header=BB6_10551 Depth=3
	s_xor_b32 s16, exec_lo, -1
; %bb.11317:                            ;   in Loop: Header=BB6_10551 Depth=3
	s_or_b32 exec_lo, exec_lo, s23
	s_and_b32 s16, s16, exec_lo
	s_or_saveexec_b32 s22, s22
	v_mov_b32_e32 v4, 0x7f800001
	s_xor_b32 exec_lo, exec_lo, s22
	s_cbranch_execnz .LBB6_13024
.LBB6_11318:                            ;   in Loop: Header=BB6_10551 Depth=3
	s_or_b32 exec_lo, exec_lo, s22
	s_and_saveexec_b32 s22, s16
	s_cbranch_execz .LBB6_11320
.LBB6_11319:                            ;   in Loop: Header=BB6_10551 Depth=3
	v_and_b32_sdwa v4, v63, v25 dst_sel:DWORD dst_unused:UNUSED_PAD src0_sel:DWORD src1_sel:BYTE_1
	v_and_b32_e32 v5, 7, v4
	v_bfe_u32 v31, v4, 3, 4
	v_ffbh_u32_e32 v28, v5
	v_cmp_eq_u32_e32 vcc_lo, 0, v31
	v_min_u32_e32 v28, 32, v28
	v_subrev_nc_u32_e32 v29, 28, v28
	v_sub_nc_u32_e32 v28, 29, v28
	v_lshlrev_b32_e32 v4, v29, v4
	v_lshlrev_b32_e32 v29, 16, v25
	v_cndmask_b32_e32 v28, v31, v28, vcc_lo
	v_and_b32_e32 v4, 7, v4
	v_lshl_add_u32 v28, v28, 23, 0x3b800000
	v_cndmask_b32_e32 v4, v5, v4, vcc_lo
	v_and_b32_e32 v5, 0x80000000, v29
	v_lshlrev_b32_e32 v4, 20, v4
	v_or3_b32 v4, v5, v28, v4
.LBB6_11320:                            ;   in Loop: Header=BB6_10551 Depth=3
	s_or_b32 exec_lo, exec_lo, s22
	v_max_f32_e32 v4, v4, v4
	v_max_f32_e32 v1, v1, v1
	s_mov_b32 s16, 0
	v_max_f32_e32 v1, v1, v4
.LBB6_11321:                            ;   in Loop: Header=BB6_10551 Depth=3
	s_and_b32 vcc_lo, exec_lo, s16
	s_cbranch_vccz .LBB6_11335
; %bb.11322:                            ;   in Loop: Header=BB6_10551 Depth=3
	v_cmp_gt_i16_sdwa s22, v33, v61 src0_sel:BYTE_1 src1_sel:DWORD
	s_mov_b32 s16, 0
	s_and_saveexec_b32 s23, s22
	s_xor_b32 s22, exec_lo, s23
	s_cbranch_execz .LBB6_13025
; %bb.11323:                            ;   in Loop: Header=BB6_10551 Depth=3
	v_cmp_eq_u16_sdwa s73, v33, v62 src0_sel:BYTE_1 src1_sel:DWORD
	s_mov_b32 s16, -1
	s_and_saveexec_b32 s23, s73
; %bb.11324:                            ;   in Loop: Header=BB6_10551 Depth=3
	s_xor_b32 s16, exec_lo, -1
; %bb.11325:                            ;   in Loop: Header=BB6_10551 Depth=3
	s_or_b32 exec_lo, exec_lo, s23
	s_and_b32 s16, s16, exec_lo
	s_or_saveexec_b32 s22, s22
	v_mov_b32_e32 v1, 0x7f800001
	s_xor_b32 exec_lo, exec_lo, s22
	s_cbranch_execnz .LBB6_13026
.LBB6_11326:                            ;   in Loop: Header=BB6_10551 Depth=3
	s_or_b32 exec_lo, exec_lo, s22
	s_and_saveexec_b32 s22, s16
	s_cbranch_execz .LBB6_11328
.LBB6_11327:                            ;   in Loop: Header=BB6_10551 Depth=3
	v_and_b32_sdwa v1, v63, v33 dst_sel:DWORD dst_unused:UNUSED_PAD src0_sel:DWORD src1_sel:BYTE_1
	v_and_b32_e32 v4, 7, v1
	v_bfe_u32 v29, v1, 3, 4
	v_ffbh_u32_e32 v5, v4
	v_cmp_eq_u32_e32 vcc_lo, 0, v29
	v_min_u32_e32 v5, 32, v5
	v_subrev_nc_u32_e32 v28, 28, v5
	v_sub_nc_u32_e32 v5, 29, v5
	v_lshlrev_b32_e32 v1, v28, v1
	v_lshlrev_b32_e32 v28, 16, v33
	v_cndmask_b32_e32 v5, v29, v5, vcc_lo
	v_and_b32_e32 v1, 7, v1
	v_lshl_add_u32 v5, v5, 23, 0x3b800000
	v_cndmask_b32_e32 v1, v4, v1, vcc_lo
	v_and_b32_e32 v4, 0x80000000, v28
	v_lshlrev_b32_e32 v1, 20, v1
	v_or3_b32 v1, v4, v5, v1
.LBB6_11328:                            ;   in Loop: Header=BB6_10551 Depth=3
	s_or_b32 exec_lo, exec_lo, s22
	v_cmp_gt_i16_sdwa s22, v25, v61 src0_sel:BYTE_1 src1_sel:DWORD
	s_mov_b32 s16, 0
	s_and_saveexec_b32 s23, s22
	s_xor_b32 s22, exec_lo, s23
	s_cbranch_execz .LBB6_13027
; %bb.11329:                            ;   in Loop: Header=BB6_10551 Depth=3
	v_cmp_eq_u16_sdwa s73, v25, v62 src0_sel:BYTE_1 src1_sel:DWORD
	s_mov_b32 s16, -1
	s_and_saveexec_b32 s23, s73
; %bb.11330:                            ;   in Loop: Header=BB6_10551 Depth=3
	s_xor_b32 s16, exec_lo, -1
; %bb.11331:                            ;   in Loop: Header=BB6_10551 Depth=3
	s_or_b32 exec_lo, exec_lo, s23
	s_and_b32 s16, s16, exec_lo
	s_or_saveexec_b32 s22, s22
	v_mov_b32_e32 v4, 0x7f800001
	s_xor_b32 exec_lo, exec_lo, s22
	s_cbranch_execnz .LBB6_13028
.LBB6_11332:                            ;   in Loop: Header=BB6_10551 Depth=3
	s_or_b32 exec_lo, exec_lo, s22
	s_and_saveexec_b32 s22, s16
	s_cbranch_execz .LBB6_11334
.LBB6_11333:                            ;   in Loop: Header=BB6_10551 Depth=3
	v_and_b32_sdwa v4, v63, v25 dst_sel:DWORD dst_unused:UNUSED_PAD src0_sel:DWORD src1_sel:BYTE_1
	v_and_b32_e32 v5, 7, v4
	v_bfe_u32 v31, v4, 3, 4
	v_ffbh_u32_e32 v28, v5
	v_cmp_eq_u32_e32 vcc_lo, 0, v31
	v_min_u32_e32 v28, 32, v28
	v_subrev_nc_u32_e32 v29, 28, v28
	v_sub_nc_u32_e32 v28, 29, v28
	v_lshlrev_b32_e32 v4, v29, v4
	v_lshlrev_b32_e32 v29, 16, v25
	v_cndmask_b32_e32 v28, v31, v28, vcc_lo
	v_and_b32_e32 v4, 7, v4
	v_lshl_add_u32 v28, v28, 23, 0x3b800000
	v_cndmask_b32_e32 v4, v5, v4, vcc_lo
	v_and_b32_e32 v5, 0x80000000, v29
	v_lshlrev_b32_e32 v4, 20, v4
	v_or3_b32 v4, v5, v28, v4
.LBB6_11334:                            ;   in Loop: Header=BB6_10551 Depth=3
	s_or_b32 exec_lo, exec_lo, s22
	v_max_f32_e32 v4, v4, v4
	v_max_f32_e32 v1, v1, v1
	v_min_f32_e32 v1, v1, v4
.LBB6_11335:                            ;   in Loop: Header=BB6_10551 Depth=3
	v_and_b32_e32 v4, 0x7f800000, v1
	v_mov_b32_e32 v54, 0x8000
	s_mov_b32 s22, exec_lo
	v_cmpx_ne_u32_e32 0x7f800000, v4
	s_cbranch_execz .LBB6_11343
; %bb.11336:                            ;   in Loop: Header=BB6_10551 Depth=3
	v_mov_b32_e32 v54, 0
	s_mov_b32 s23, exec_lo
	v_cmpx_ne_u32_e32 0, v1
	s_cbranch_execz .LBB6_11342
; %bb.11337:                            ;   in Loop: Header=BB6_10551 Depth=3
	v_bfe_u32 v5, v1, 23, 8
	v_and_b32_e32 v4, 0x7fffff, v1
	v_cmp_gt_u32_e64 s16, 0x79, v5
	v_sub_nc_u32_e32 v28, 0x78, v5
	v_cmp_eq_u32_e32 vcc_lo, 0, v5
	v_or_b32_e32 v29, 0x800000, v4
	v_cndmask_b32_e64 v28, 0, v28, s16
	v_cndmask_b32_e32 v4, v29, v4, vcc_lo
	v_cndmask_b32_e64 v28, v28, 0x77, vcc_lo
	v_lshl_add_u32 v29, 0x100000, v28, -1
	v_lshlrev_b32_e64 v31, v28, 0x80000
	v_and_b32_e32 v29, v29, v4
	v_cmp_eq_u32_e64 s16, v29, v31
	v_lshrrev_b32_e32 v29, v28, v4
	v_add_nc_u32_e32 v4, 0xffffff89, v5
	v_lshrrev_b32_e32 v5, 23, v29
	v_cndmask_b32_e64 v4, v4, 0xffffff8a, vcc_lo
	v_xor_b32_e32 v5, 1, v5
	v_add_nc_u32_e32 v4, v28, v4
	v_bfe_u32 v28, v29, 20, 1
	v_add_nc_u32_e32 v28, -1, v28
	v_cndmask_b32_e64 v28, 0, v28, s16
	s_mov_b32 s16, exec_lo
	v_add_nc_u32_e32 v28, v28, v29
	v_and_b32_e32 v28, 0xfffff, v28
	v_add_nc_u32_e32 v28, v28, v29
                                        ; implicit-def: $vgpr29
	v_cmpx_ne_u32_e64 v4, v5
	s_xor_b32 s16, exec_lo, s16
; %bb.11338:                            ;   in Loop: Header=BB6_10551 Depth=3
	v_cmp_lt_u32_e32 vcc_lo, 0xffffff, v28
	v_sub_nc_u32_e32 v4, v4, v5
	v_cndmask_b32_e64 v5, 0, 1, vcc_lo
	v_add_co_ci_u32_e64 v29, null, 0, v4, vcc_lo
	v_lshrrev_b32_e32 v28, v5, v28
; %bb.11339:                            ;   in Loop: Header=BB6_10551 Depth=3
	s_andn2_saveexec_b32 s16, s16
; %bb.11340:                            ;   in Loop: Header=BB6_10551 Depth=3
	v_bfe_u32 v29, v28, 23, 1
; %bb.11341:                            ;   in Loop: Header=BB6_10551 Depth=3
	s_or_b32 exec_lo, exec_lo, s16
	v_lshrrev_b32_e32 v4, 20, v28
	v_min_i32_e32 v5, 15, v29
	v_cmp_gt_i32_e32 vcc_lo, 16, v29
	v_and_b32_sdwa v1, v1, v62 dst_sel:DWORD dst_unused:UNUSED_PAD src0_sel:BYTE_3 src1_sel:DWORD
	v_lshlrev_b32_e32 v5, 3, v5
	v_cndmask_b32_e32 v4, 7, v4, vcc_lo
	v_and_b32_e32 v5, 0xf8, v5
	v_or_b32_e32 v28, v29, v4
	v_and_b32_e32 v4, 7, v4
	v_cmp_ne_u32_e32 vcc_lo, 0, v28
	v_or3_b32 v1, v1, v5, v4
	v_lshlrev_b32_e32 v1, 8, v1
	v_cndmask_b32_e32 v54, 0, v1, vcc_lo
.LBB6_11342:                            ;   in Loop: Header=BB6_10551 Depth=3
	s_or_b32 exec_lo, exec_lo, s23
.LBB6_11343:                            ;   in Loop: Header=BB6_10551 Depth=3
	s_or_b32 exec_lo, exec_lo, s22
	v_and_b32_sdwa v1, v33, v72 dst_sel:DWORD dst_unused:UNUSED_PAD src0_sel:WORD_1 src1_sel:DWORD
	s_andn2_b32 vcc_lo, exec_lo, s19
	s_mov_b32 s22, -1
                                        ; implicit-def: $vgpr4
	v_cmp_lt_i16_e64 s16, 0x7f, v1
	s_cbranch_vccnz .LBB6_11357
; %bb.11344:                            ;   in Loop: Header=BB6_10551 Depth=3
	s_mov_b32 s22, 0
	s_and_saveexec_b32 s23, s16
	s_xor_b32 s16, exec_lo, s23
	s_cbranch_execz .LBB6_13029
; %bb.11345:                            ;   in Loop: Header=BB6_10551 Depth=3
	s_mov_b32 s22, -1
	s_mov_b32 s23, exec_lo
	v_cmpx_eq_u16_e32 0x80, v1
; %bb.11346:                            ;   in Loop: Header=BB6_10551 Depth=3
	s_xor_b32 s22, exec_lo, -1
; %bb.11347:                            ;   in Loop: Header=BB6_10551 Depth=3
	s_or_b32 exec_lo, exec_lo, s23
	s_and_b32 s22, s22, exec_lo
	s_or_saveexec_b32 s16, s16
	v_mov_b32_e32 v4, 0x7f800001
	s_xor_b32 exec_lo, exec_lo, s16
	s_cbranch_execnz .LBB6_13030
.LBB6_11348:                            ;   in Loop: Header=BB6_10551 Depth=3
	s_or_b32 exec_lo, exec_lo, s16
	s_and_saveexec_b32 s16, s22
	s_cbranch_execz .LBB6_11350
.LBB6_11349:                            ;   in Loop: Header=BB6_10551 Depth=3
	v_bfe_u32 v4, v33, 16, 3
	v_bfe_u32 v5, v33, 19, 4
	v_ffbh_u32_e32 v28, v4
	v_cmp_eq_u32_e32 vcc_lo, 0, v5
	v_min_u32_e32 v28, 32, v28
	v_subrev_nc_u32_e32 v29, 28, v28
	v_sub_nc_u32_e32 v28, 29, v28
	v_lshlrev_b32_sdwa v29, v29, v33 dst_sel:DWORD dst_unused:UNUSED_PAD src0_sel:DWORD src1_sel:WORD_1
	v_cndmask_b32_e32 v5, v5, v28, vcc_lo
	v_lshlrev_b32_sdwa v28, v73, v33 dst_sel:DWORD dst_unused:UNUSED_PAD src0_sel:DWORD src1_sel:WORD_1
	v_and_b32_e32 v29, 7, v29
	v_lshl_add_u32 v5, v5, 23, 0x3b800000
	v_and_b32_e32 v28, 0x80000000, v28
	v_cndmask_b32_e32 v4, v4, v29, vcc_lo
	v_lshlrev_b32_e32 v4, 20, v4
	v_or3_b32 v4, v28, v5, v4
.LBB6_11350:                            ;   in Loop: Header=BB6_10551 Depth=3
	s_or_b32 exec_lo, exec_lo, s16
	v_and_b32_sdwa v28, v25, v72 dst_sel:DWORD dst_unused:UNUSED_PAD src0_sel:WORD_1 src1_sel:DWORD
	s_mov_b32 s22, 0
	s_mov_b32 s16, exec_lo
	v_cmpx_lt_i16_e32 0x7f, v28
	s_xor_b32 s16, exec_lo, s16
	s_cbranch_execz .LBB6_13031
; %bb.11351:                            ;   in Loop: Header=BB6_10551 Depth=3
	s_mov_b32 s22, -1
	s_mov_b32 s23, exec_lo
	v_cmpx_eq_u16_e32 0x80, v28
; %bb.11352:                            ;   in Loop: Header=BB6_10551 Depth=3
	s_xor_b32 s22, exec_lo, -1
; %bb.11353:                            ;   in Loop: Header=BB6_10551 Depth=3
	s_or_b32 exec_lo, exec_lo, s23
	s_and_b32 s22, s22, exec_lo
                                        ; implicit-def: $vgpr28
	s_or_saveexec_b32 s16, s16
	v_mov_b32_e32 v5, 0x7f800001
	s_xor_b32 exec_lo, exec_lo, s16
	s_cbranch_execnz .LBB6_13032
.LBB6_11354:                            ;   in Loop: Header=BB6_10551 Depth=3
	s_or_b32 exec_lo, exec_lo, s16
	s_and_saveexec_b32 s16, s22
	s_cbranch_execz .LBB6_11356
.LBB6_11355:                            ;   in Loop: Header=BB6_10551 Depth=3
	v_bfe_u32 v5, v25, 16, 3
	v_bfe_u32 v28, v25, 19, 4
	v_ffbh_u32_e32 v29, v5
	v_cmp_eq_u32_e32 vcc_lo, 0, v28
	v_min_u32_e32 v29, 32, v29
	v_subrev_nc_u32_e32 v31, 28, v29
	v_sub_nc_u32_e32 v29, 29, v29
	v_lshlrev_b32_sdwa v31, v31, v25 dst_sel:DWORD dst_unused:UNUSED_PAD src0_sel:DWORD src1_sel:WORD_1
	v_cndmask_b32_e32 v28, v28, v29, vcc_lo
	v_lshlrev_b32_sdwa v29, v73, v25 dst_sel:DWORD dst_unused:UNUSED_PAD src0_sel:DWORD src1_sel:WORD_1
	v_and_b32_e32 v31, 7, v31
	v_lshl_add_u32 v28, v28, 23, 0x3b800000
	v_and_b32_e32 v29, 0x80000000, v29
	v_cndmask_b32_e32 v5, v5, v31, vcc_lo
	v_lshlrev_b32_e32 v5, 20, v5
	v_or3_b32 v5, v29, v28, v5
.LBB6_11356:                            ;   in Loop: Header=BB6_10551 Depth=3
	s_or_b32 exec_lo, exec_lo, s16
	v_max_f32_e32 v5, v5, v5
	v_max_f32_e32 v4, v4, v4
	s_mov_b32 s22, 0
	v_max_f32_e32 v4, v4, v5
.LBB6_11357:                            ;   in Loop: Header=BB6_10551 Depth=3
	s_and_b32 vcc_lo, exec_lo, s22
	s_cbranch_vccz .LBB6_11371
; %bb.11358:                            ;   in Loop: Header=BB6_10551 Depth=3
	s_mov_b32 s22, 0
	s_mov_b32 s16, exec_lo
	v_cmpx_lt_i16_e32 0x7f, v1
	s_xor_b32 s16, exec_lo, s16
	s_cbranch_execz .LBB6_13033
; %bb.11359:                            ;   in Loop: Header=BB6_10551 Depth=3
	s_mov_b32 s22, -1
	s_mov_b32 s23, exec_lo
	v_cmpx_eq_u16_e32 0x80, v1
; %bb.11360:                            ;   in Loop: Header=BB6_10551 Depth=3
	s_xor_b32 s22, exec_lo, -1
; %bb.11361:                            ;   in Loop: Header=BB6_10551 Depth=3
	s_or_b32 exec_lo, exec_lo, s23
	s_and_b32 s22, s22, exec_lo
                                        ; implicit-def: $vgpr1
	s_or_saveexec_b32 s16, s16
	v_mov_b32_e32 v4, 0x7f800001
	s_xor_b32 exec_lo, exec_lo, s16
	s_cbranch_execnz .LBB6_13034
.LBB6_11362:                            ;   in Loop: Header=BB6_10551 Depth=3
	s_or_b32 exec_lo, exec_lo, s16
	s_and_saveexec_b32 s16, s22
	s_cbranch_execz .LBB6_11364
.LBB6_11363:                            ;   in Loop: Header=BB6_10551 Depth=3
	v_bfe_u32 v1, v33, 16, 3
	v_bfe_u32 v4, v33, 19, 4
	v_ffbh_u32_e32 v5, v1
	v_cmp_eq_u32_e32 vcc_lo, 0, v4
	v_min_u32_e32 v5, 32, v5
	v_subrev_nc_u32_e32 v28, 28, v5
	v_sub_nc_u32_e32 v5, 29, v5
	v_lshlrev_b32_sdwa v28, v28, v33 dst_sel:DWORD dst_unused:UNUSED_PAD src0_sel:DWORD src1_sel:WORD_1
	v_cndmask_b32_e32 v4, v4, v5, vcc_lo
	v_lshlrev_b32_sdwa v5, v73, v33 dst_sel:DWORD dst_unused:UNUSED_PAD src0_sel:DWORD src1_sel:WORD_1
	v_and_b32_e32 v28, 7, v28
	v_lshl_add_u32 v4, v4, 23, 0x3b800000
	v_and_b32_e32 v5, 0x80000000, v5
	v_cndmask_b32_e32 v1, v1, v28, vcc_lo
	v_lshlrev_b32_e32 v1, 20, v1
	v_or3_b32 v4, v5, v4, v1
.LBB6_11364:                            ;   in Loop: Header=BB6_10551 Depth=3
	s_or_b32 exec_lo, exec_lo, s16
	v_and_b32_sdwa v5, v25, v72 dst_sel:DWORD dst_unused:UNUSED_PAD src0_sel:WORD_1 src1_sel:DWORD
	s_mov_b32 s22, 0
	s_mov_b32 s16, exec_lo
	v_cmpx_lt_i16_e32 0x7f, v5
	s_xor_b32 s16, exec_lo, s16
	s_cbranch_execz .LBB6_13035
; %bb.11365:                            ;   in Loop: Header=BB6_10551 Depth=3
	s_mov_b32 s22, -1
	s_mov_b32 s23, exec_lo
	v_cmpx_eq_u16_e32 0x80, v5
; %bb.11366:                            ;   in Loop: Header=BB6_10551 Depth=3
	s_xor_b32 s22, exec_lo, -1
; %bb.11367:                            ;   in Loop: Header=BB6_10551 Depth=3
	s_or_b32 exec_lo, exec_lo, s23
	s_and_b32 s22, s22, exec_lo
                                        ; implicit-def: $vgpr5
	s_or_saveexec_b32 s16, s16
	v_mov_b32_e32 v1, 0x7f800001
	s_xor_b32 exec_lo, exec_lo, s16
	s_cbranch_execnz .LBB6_13036
.LBB6_11368:                            ;   in Loop: Header=BB6_10551 Depth=3
	s_or_b32 exec_lo, exec_lo, s16
	s_and_saveexec_b32 s16, s22
	s_cbranch_execz .LBB6_11370
.LBB6_11369:                            ;   in Loop: Header=BB6_10551 Depth=3
	v_bfe_u32 v1, v25, 16, 3
	v_bfe_u32 v5, v25, 19, 4
	v_ffbh_u32_e32 v28, v1
	v_cmp_eq_u32_e32 vcc_lo, 0, v5
	v_min_u32_e32 v28, 32, v28
	v_subrev_nc_u32_e32 v29, 28, v28
	v_sub_nc_u32_e32 v28, 29, v28
	v_lshlrev_b32_sdwa v29, v29, v25 dst_sel:DWORD dst_unused:UNUSED_PAD src0_sel:DWORD src1_sel:WORD_1
	v_cndmask_b32_e32 v5, v5, v28, vcc_lo
	v_lshlrev_b32_sdwa v28, v73, v25 dst_sel:DWORD dst_unused:UNUSED_PAD src0_sel:DWORD src1_sel:WORD_1
	v_and_b32_e32 v29, 7, v29
	v_lshl_add_u32 v5, v5, 23, 0x3b800000
	v_and_b32_e32 v28, 0x80000000, v28
	v_cndmask_b32_e32 v1, v1, v29, vcc_lo
	v_lshlrev_b32_e32 v1, 20, v1
	v_or3_b32 v1, v28, v5, v1
.LBB6_11370:                            ;   in Loop: Header=BB6_10551 Depth=3
	s_or_b32 exec_lo, exec_lo, s16
	v_max_f32_e32 v1, v1, v1
	v_max_f32_e32 v4, v4, v4
	v_min_f32_e32 v4, v4, v1
.LBB6_11371:                            ;   in Loop: Header=BB6_10551 Depth=3
	v_and_b32_e32 v1, 0x7f800000, v4
	v_mov_b32_e32 v55, 0x80
	s_mov_b32 s22, exec_lo
	v_cmpx_ne_u32_e32 0x7f800000, v1
	s_cbranch_execz .LBB6_11379
; %bb.11372:                            ;   in Loop: Header=BB6_10551 Depth=3
	v_mov_b32_e32 v55, 0
	s_mov_b32 s23, exec_lo
	v_cmpx_ne_u32_e32 0, v4
	s_cbranch_execz .LBB6_11378
; %bb.11373:                            ;   in Loop: Header=BB6_10551 Depth=3
	v_bfe_u32 v5, v4, 23, 8
	v_and_b32_e32 v1, 0x7fffff, v4
	v_cmp_gt_u32_e64 s16, 0x79, v5
	v_sub_nc_u32_e32 v28, 0x78, v5
	v_cmp_eq_u32_e32 vcc_lo, 0, v5
	v_or_b32_e32 v29, 0x800000, v1
	v_cndmask_b32_e64 v28, 0, v28, s16
	v_cndmask_b32_e32 v1, v29, v1, vcc_lo
	v_cndmask_b32_e64 v28, v28, 0x77, vcc_lo
	v_lshl_add_u32 v29, 0x100000, v28, -1
	v_lshlrev_b32_e64 v31, v28, 0x80000
	v_and_b32_e32 v29, v29, v1
	v_cmp_eq_u32_e64 s16, v29, v31
	v_lshrrev_b32_e32 v29, v28, v1
	v_add_nc_u32_e32 v1, 0xffffff89, v5
	v_lshrrev_b32_e32 v5, 23, v29
	v_cndmask_b32_e64 v1, v1, 0xffffff8a, vcc_lo
	v_xor_b32_e32 v5, 1, v5
	v_add_nc_u32_e32 v1, v28, v1
	v_bfe_u32 v28, v29, 20, 1
	v_add_nc_u32_e32 v28, -1, v28
	v_cndmask_b32_e64 v28, 0, v28, s16
	s_mov_b32 s16, exec_lo
	v_add_nc_u32_e32 v28, v28, v29
	v_and_b32_e32 v28, 0xfffff, v28
	v_add_nc_u32_e32 v28, v28, v29
                                        ; implicit-def: $vgpr29
	v_cmpx_ne_u32_e64 v1, v5
	s_xor_b32 s16, exec_lo, s16
; %bb.11374:                            ;   in Loop: Header=BB6_10551 Depth=3
	v_cmp_lt_u32_e32 vcc_lo, 0xffffff, v28
	v_sub_nc_u32_e32 v1, v1, v5
	v_cndmask_b32_e64 v5, 0, 1, vcc_lo
	v_add_co_ci_u32_e64 v29, null, 0, v1, vcc_lo
	v_lshrrev_b32_e32 v28, v5, v28
; %bb.11375:                            ;   in Loop: Header=BB6_10551 Depth=3
	s_andn2_saveexec_b32 s16, s16
; %bb.11376:                            ;   in Loop: Header=BB6_10551 Depth=3
	v_bfe_u32 v29, v28, 23, 1
; %bb.11377:                            ;   in Loop: Header=BB6_10551 Depth=3
	s_or_b32 exec_lo, exec_lo, s16
	v_and_b32_sdwa v1, v4, v62 dst_sel:DWORD dst_unused:UNUSED_PAD src0_sel:BYTE_3 src1_sel:DWORD
	v_lshrrev_b32_e32 v4, 20, v28
	v_min_i32_e32 v5, 15, v29
	v_cmp_gt_i32_e32 vcc_lo, 16, v29
	v_lshlrev_b32_e32 v5, 3, v5
	v_cndmask_b32_e32 v4, 7, v4, vcc_lo
	v_and_b32_e32 v5, 0xf8, v5
	v_or_b32_e32 v28, v29, v4
	v_and_b32_e32 v4, 7, v4
	v_cmp_ne_u32_e32 vcc_lo, 0, v28
	v_or3_b32 v1, v5, v1, v4
	v_cndmask_b32_e32 v55, 0, v1, vcc_lo
.LBB6_11378:                            ;   in Loop: Header=BB6_10551 Depth=3
	s_or_b32 exec_lo, exec_lo, s23
.LBB6_11379:                            ;   in Loop: Header=BB6_10551 Depth=3
	s_or_b32 exec_lo, exec_lo, s22
	v_cmp_gt_i16_sdwa s22, v33, v61 src0_sel:BYTE_3 src1_sel:DWORD
	s_andn2_b32 vcc_lo, exec_lo, s19
	s_mov_b32 s16, -1
                                        ; implicit-def: $vgpr1
	s_cbranch_vccnz .LBB6_11393
; %bb.11380:                            ;   in Loop: Header=BB6_10551 Depth=3
	s_mov_b32 s16, 0
	s_and_saveexec_b32 s23, s22
	s_xor_b32 s22, exec_lo, s23
	s_cbranch_execz .LBB6_13037
; %bb.11381:                            ;   in Loop: Header=BB6_10551 Depth=3
	v_cmp_eq_u16_sdwa s73, v33, v62 src0_sel:BYTE_3 src1_sel:DWORD
	s_mov_b32 s16, -1
	s_and_saveexec_b32 s23, s73
; %bb.11382:                            ;   in Loop: Header=BB6_10551 Depth=3
	s_xor_b32 s16, exec_lo, -1
; %bb.11383:                            ;   in Loop: Header=BB6_10551 Depth=3
	s_or_b32 exec_lo, exec_lo, s23
	s_and_b32 s16, s16, exec_lo
	s_or_saveexec_b32 s22, s22
	v_mov_b32_e32 v1, 0x7f800001
	s_xor_b32 exec_lo, exec_lo, s22
	s_cbranch_execnz .LBB6_13038
.LBB6_11384:                            ;   in Loop: Header=BB6_10551 Depth=3
	s_or_b32 exec_lo, exec_lo, s22
	s_and_saveexec_b32 s22, s16
	s_cbranch_execz .LBB6_11386
.LBB6_11385:                            ;   in Loop: Header=BB6_10551 Depth=3
	v_bfe_u32 v1, v33, 24, 3
	v_bfe_u32 v28, v33, 27, 4
	v_ffbh_u32_e32 v4, v1
	v_cmp_eq_u32_e32 vcc_lo, 0, v28
	v_min_u32_e32 v4, 32, v4
	v_subrev_nc_u32_e32 v5, 28, v4
	v_sub_nc_u32_e32 v4, 29, v4
	v_lshlrev_b32_sdwa v5, v5, v33 dst_sel:DWORD dst_unused:UNUSED_PAD src0_sel:DWORD src1_sel:BYTE_3
	v_cndmask_b32_e32 v4, v28, v4, vcc_lo
	v_and_b32_e32 v5, 7, v5
	v_lshl_add_u32 v4, v4, 23, 0x3b800000
	v_cndmask_b32_e32 v1, v1, v5, vcc_lo
	v_and_b32_e32 v5, 0x80000000, v33
	v_lshlrev_b32_e32 v1, 20, v1
	v_or3_b32 v1, v5, v4, v1
.LBB6_11386:                            ;   in Loop: Header=BB6_10551 Depth=3
	s_or_b32 exec_lo, exec_lo, s22
	v_cmp_gt_i16_sdwa s22, v25, v61 src0_sel:BYTE_3 src1_sel:DWORD
	s_mov_b32 s16, 0
	s_and_saveexec_b32 s23, s22
	s_xor_b32 s22, exec_lo, s23
	s_cbranch_execz .LBB6_13039
; %bb.11387:                            ;   in Loop: Header=BB6_10551 Depth=3
	v_cmp_eq_u16_sdwa s73, v25, v62 src0_sel:BYTE_3 src1_sel:DWORD
	s_mov_b32 s16, -1
	s_and_saveexec_b32 s23, s73
; %bb.11388:                            ;   in Loop: Header=BB6_10551 Depth=3
	s_xor_b32 s16, exec_lo, -1
; %bb.11389:                            ;   in Loop: Header=BB6_10551 Depth=3
	s_or_b32 exec_lo, exec_lo, s23
	s_and_b32 s16, s16, exec_lo
	s_or_saveexec_b32 s22, s22
	v_mov_b32_e32 v4, 0x7f800001
	s_xor_b32 exec_lo, exec_lo, s22
	s_cbranch_execnz .LBB6_13040
.LBB6_11390:                            ;   in Loop: Header=BB6_10551 Depth=3
	s_or_b32 exec_lo, exec_lo, s22
	s_and_saveexec_b32 s22, s16
	s_cbranch_execz .LBB6_11392
.LBB6_11391:                            ;   in Loop: Header=BB6_10551 Depth=3
	v_bfe_u32 v4, v25, 24, 3
	v_bfe_u32 v29, v25, 27, 4
	v_ffbh_u32_e32 v5, v4
	v_cmp_eq_u32_e32 vcc_lo, 0, v29
	v_min_u32_e32 v5, 32, v5
	v_subrev_nc_u32_e32 v28, 28, v5
	v_sub_nc_u32_e32 v5, 29, v5
	v_lshlrev_b32_sdwa v28, v28, v25 dst_sel:DWORD dst_unused:UNUSED_PAD src0_sel:DWORD src1_sel:BYTE_3
	v_cndmask_b32_e32 v5, v29, v5, vcc_lo
	v_and_b32_e32 v28, 7, v28
	v_lshl_add_u32 v5, v5, 23, 0x3b800000
	v_cndmask_b32_e32 v4, v4, v28, vcc_lo
	v_and_b32_e32 v28, 0x80000000, v25
	v_lshlrev_b32_e32 v4, 20, v4
	v_or3_b32 v4, v28, v5, v4
.LBB6_11392:                            ;   in Loop: Header=BB6_10551 Depth=3
	s_or_b32 exec_lo, exec_lo, s22
	v_max_f32_e32 v4, v4, v4
	v_max_f32_e32 v1, v1, v1
	s_mov_b32 s16, 0
	v_max_f32_e32 v1, v1, v4
.LBB6_11393:                            ;   in Loop: Header=BB6_10551 Depth=3
	s_and_b32 vcc_lo, exec_lo, s16
	s_cbranch_vccz .LBB6_11407
; %bb.11394:                            ;   in Loop: Header=BB6_10551 Depth=3
	v_cmp_gt_i16_sdwa s22, v33, v61 src0_sel:BYTE_3 src1_sel:DWORD
	s_mov_b32 s16, 0
	s_and_saveexec_b32 s23, s22
	s_xor_b32 s22, exec_lo, s23
	s_cbranch_execz .LBB6_13041
; %bb.11395:                            ;   in Loop: Header=BB6_10551 Depth=3
	v_cmp_eq_u16_sdwa s73, v33, v62 src0_sel:BYTE_3 src1_sel:DWORD
	s_mov_b32 s16, -1
	s_and_saveexec_b32 s23, s73
; %bb.11396:                            ;   in Loop: Header=BB6_10551 Depth=3
	s_xor_b32 s16, exec_lo, -1
; %bb.11397:                            ;   in Loop: Header=BB6_10551 Depth=3
	s_or_b32 exec_lo, exec_lo, s23
	s_and_b32 s16, s16, exec_lo
	s_or_saveexec_b32 s22, s22
	v_mov_b32_e32 v1, 0x7f800001
	s_xor_b32 exec_lo, exec_lo, s22
	s_cbranch_execnz .LBB6_13042
.LBB6_11398:                            ;   in Loop: Header=BB6_10551 Depth=3
	s_or_b32 exec_lo, exec_lo, s22
	s_and_saveexec_b32 s22, s16
	s_cbranch_execz .LBB6_11400
.LBB6_11399:                            ;   in Loop: Header=BB6_10551 Depth=3
	v_bfe_u32 v1, v33, 24, 3
	v_bfe_u32 v28, v33, 27, 4
	v_ffbh_u32_e32 v4, v1
	v_cmp_eq_u32_e32 vcc_lo, 0, v28
	v_min_u32_e32 v4, 32, v4
	v_subrev_nc_u32_e32 v5, 28, v4
	v_sub_nc_u32_e32 v4, 29, v4
	v_lshlrev_b32_sdwa v5, v5, v33 dst_sel:DWORD dst_unused:UNUSED_PAD src0_sel:DWORD src1_sel:BYTE_3
	v_cndmask_b32_e32 v4, v28, v4, vcc_lo
	v_and_b32_e32 v5, 7, v5
	v_lshl_add_u32 v4, v4, 23, 0x3b800000
	v_cndmask_b32_e32 v1, v1, v5, vcc_lo
	v_and_b32_e32 v5, 0x80000000, v33
	v_lshlrev_b32_e32 v1, 20, v1
	v_or3_b32 v1, v5, v4, v1
.LBB6_11400:                            ;   in Loop: Header=BB6_10551 Depth=3
	s_or_b32 exec_lo, exec_lo, s22
	v_cmp_gt_i16_sdwa s22, v25, v61 src0_sel:BYTE_3 src1_sel:DWORD
	s_mov_b32 s16, 0
	s_and_saveexec_b32 s23, s22
	s_xor_b32 s22, exec_lo, s23
	s_cbranch_execz .LBB6_13043
; %bb.11401:                            ;   in Loop: Header=BB6_10551 Depth=3
	v_cmp_eq_u16_sdwa s73, v25, v62 src0_sel:BYTE_3 src1_sel:DWORD
	s_mov_b32 s16, -1
	s_and_saveexec_b32 s23, s73
; %bb.11402:                            ;   in Loop: Header=BB6_10551 Depth=3
	s_xor_b32 s16, exec_lo, -1
; %bb.11403:                            ;   in Loop: Header=BB6_10551 Depth=3
	s_or_b32 exec_lo, exec_lo, s23
	s_and_b32 s16, s16, exec_lo
	s_or_saveexec_b32 s22, s22
	v_mov_b32_e32 v4, 0x7f800001
	s_xor_b32 exec_lo, exec_lo, s22
	s_cbranch_execnz .LBB6_13044
.LBB6_11404:                            ;   in Loop: Header=BB6_10551 Depth=3
	s_or_b32 exec_lo, exec_lo, s22
	s_and_saveexec_b32 s22, s16
	s_cbranch_execz .LBB6_11406
.LBB6_11405:                            ;   in Loop: Header=BB6_10551 Depth=3
	v_bfe_u32 v4, v25, 24, 3
	v_bfe_u32 v29, v25, 27, 4
	v_ffbh_u32_e32 v5, v4
	v_cmp_eq_u32_e32 vcc_lo, 0, v29
	v_min_u32_e32 v5, 32, v5
	v_subrev_nc_u32_e32 v28, 28, v5
	v_sub_nc_u32_e32 v5, 29, v5
	v_lshlrev_b32_sdwa v28, v28, v25 dst_sel:DWORD dst_unused:UNUSED_PAD src0_sel:DWORD src1_sel:BYTE_3
	v_cndmask_b32_e32 v5, v29, v5, vcc_lo
	v_and_b32_e32 v25, 0x80000000, v25
	v_and_b32_e32 v28, 7, v28
	v_lshl_add_u32 v5, v5, 23, 0x3b800000
	v_cndmask_b32_e32 v4, v4, v28, vcc_lo
	v_lshlrev_b32_e32 v4, 20, v4
	v_or3_b32 v4, v25, v5, v4
.LBB6_11406:                            ;   in Loop: Header=BB6_10551 Depth=3
	s_or_b32 exec_lo, exec_lo, s22
	v_max_f32_e32 v4, v4, v4
	v_max_f32_e32 v1, v1, v1
	v_min_f32_e32 v1, v1, v4
.LBB6_11407:                            ;   in Loop: Header=BB6_10551 Depth=3
	v_and_b32_e32 v4, 0x7f800000, v1
	v_mov_b32_e32 v25, 0x8000
	s_mov_b32 s22, exec_lo
	v_cmpx_ne_u32_e32 0x7f800000, v4
	s_cbranch_execz .LBB6_11415
; %bb.11408:                            ;   in Loop: Header=BB6_10551 Depth=3
	v_mov_b32_e32 v25, 0
	s_mov_b32 s23, exec_lo
	v_cmpx_ne_u32_e32 0, v1
	s_cbranch_execz .LBB6_11414
; %bb.11409:                            ;   in Loop: Header=BB6_10551 Depth=3
	v_bfe_u32 v5, v1, 23, 8
	v_and_b32_e32 v4, 0x7fffff, v1
	v_cmp_gt_u32_e64 s16, 0x79, v5
	v_sub_nc_u32_e32 v25, 0x78, v5
	v_cmp_eq_u32_e32 vcc_lo, 0, v5
	v_or_b32_e32 v28, 0x800000, v4
	v_cndmask_b32_e64 v25, 0, v25, s16
	v_cndmask_b32_e32 v4, v28, v4, vcc_lo
	v_cndmask_b32_e64 v25, v25, 0x77, vcc_lo
	v_lshl_add_u32 v28, 0x100000, v25, -1
	v_lshlrev_b32_e64 v29, v25, 0x80000
	v_and_b32_e32 v28, v28, v4
	v_cmp_eq_u32_e64 s16, v28, v29
	v_lshrrev_b32_e32 v28, v25, v4
	v_add_nc_u32_e32 v4, 0xffffff89, v5
	v_lshrrev_b32_e32 v5, 23, v28
	v_cndmask_b32_e64 v4, v4, 0xffffff8a, vcc_lo
	v_xor_b32_e32 v5, 1, v5
	v_add_nc_u32_e32 v4, v25, v4
	v_bfe_u32 v25, v28, 20, 1
	v_add_nc_u32_e32 v25, -1, v25
	v_cndmask_b32_e64 v25, 0, v25, s16
	s_mov_b32 s16, exec_lo
	v_add_nc_u32_e32 v25, v25, v28
	v_and_b32_e32 v25, 0xfffff, v25
	v_add_nc_u32_e32 v25, v25, v28
                                        ; implicit-def: $vgpr28
	v_cmpx_ne_u32_e64 v4, v5
	s_xor_b32 s16, exec_lo, s16
; %bb.11410:                            ;   in Loop: Header=BB6_10551 Depth=3
	v_cmp_lt_u32_e32 vcc_lo, 0xffffff, v25
	v_sub_nc_u32_e32 v4, v4, v5
	v_cndmask_b32_e64 v5, 0, 1, vcc_lo
	v_add_co_ci_u32_e64 v28, null, 0, v4, vcc_lo
	v_lshrrev_b32_e32 v25, v5, v25
; %bb.11411:                            ;   in Loop: Header=BB6_10551 Depth=3
	s_andn2_saveexec_b32 s16, s16
; %bb.11412:                            ;   in Loop: Header=BB6_10551 Depth=3
	v_bfe_u32 v28, v25, 23, 1
; %bb.11413:                            ;   in Loop: Header=BB6_10551 Depth=3
	s_or_b32 exec_lo, exec_lo, s16
	v_lshrrev_b32_e32 v4, 20, v25
	v_min_i32_e32 v5, 15, v28
	v_cmp_gt_i32_e32 vcc_lo, 16, v28
	v_and_b32_sdwa v1, v1, v62 dst_sel:DWORD dst_unused:UNUSED_PAD src0_sel:BYTE_3 src1_sel:DWORD
	v_lshlrev_b32_e32 v5, 3, v5
	v_cndmask_b32_e32 v4, 7, v4, vcc_lo
	v_and_b32_e32 v5, 0xf8, v5
	v_or_b32_e32 v25, v28, v4
	v_and_b32_e32 v4, 7, v4
	v_cmp_ne_u32_e32 vcc_lo, 0, v25
	v_or3_b32 v1, v1, v5, v4
	v_lshlrev_b32_e32 v1, 8, v1
	v_cndmask_b32_e32 v25, 0, v1, vcc_lo
.LBB6_11414:                            ;   in Loop: Header=BB6_10551 Depth=3
	s_or_b32 exec_lo, exec_lo, s23
.LBB6_11415:                            ;   in Loop: Header=BB6_10551 Depth=3
	s_or_b32 exec_lo, exec_lo, s22
	v_cmp_gt_i16_sdwa s23, v34, v61 src0_sel:BYTE_0 src1_sel:DWORD
	s_andn2_b32 vcc_lo, exec_lo, s19
	s_mov_b32 s16, -1
                                        ; implicit-def: $vgpr1
	s_cbranch_vccnz .LBB6_11429
; %bb.11416:                            ;   in Loop: Header=BB6_10551 Depth=3
	s_mov_b32 s22, 0
	s_and_saveexec_b32 s16, s23
	s_xor_b32 s16, exec_lo, s16
	s_cbranch_execz .LBB6_13045
; %bb.11417:                            ;   in Loop: Header=BB6_10551 Depth=3
	v_cmp_eq_u16_sdwa s73, v34, v62 src0_sel:BYTE_0 src1_sel:DWORD
	s_mov_b32 s22, -1
	s_and_saveexec_b32 s23, s73
; %bb.11418:                            ;   in Loop: Header=BB6_10551 Depth=3
	s_xor_b32 s22, exec_lo, -1
; %bb.11419:                            ;   in Loop: Header=BB6_10551 Depth=3
	s_or_b32 exec_lo, exec_lo, s23
	s_and_b32 s22, s22, exec_lo
	s_or_saveexec_b32 s16, s16
	v_mov_b32_e32 v1, 0x7f800001
	s_xor_b32 exec_lo, exec_lo, s16
	s_cbranch_execnz .LBB6_13046
.LBB6_11420:                            ;   in Loop: Header=BB6_10551 Depth=3
	s_or_b32 exec_lo, exec_lo, s16
	s_and_saveexec_b32 s16, s22
	s_cbranch_execz .LBB6_11422
.LBB6_11421:                            ;   in Loop: Header=BB6_10551 Depth=3
	v_and_b32_e32 v1, 7, v34
	v_bfe_u32 v4, v34, 3, 4
	v_ffbh_u32_e32 v5, v1
	v_cmp_eq_u32_e32 vcc_lo, 0, v4
	v_min_u32_e32 v5, 32, v5
	v_subrev_nc_u32_e32 v28, 28, v5
	v_sub_nc_u32_e32 v5, 29, v5
	v_lshlrev_b32_e32 v28, v28, v34
	v_cndmask_b32_e32 v4, v4, v5, vcc_lo
	v_lshlrev_b32_e32 v5, 24, v34
	v_and_b32_e32 v28, 7, v28
	v_lshl_add_u32 v4, v4, 23, 0x3b800000
	v_and_b32_e32 v5, 0x80000000, v5
	v_cndmask_b32_e32 v1, v1, v28, vcc_lo
	v_lshlrev_b32_e32 v1, 20, v1
	v_or3_b32 v1, v5, v4, v1
.LBB6_11422:                            ;   in Loop: Header=BB6_10551 Depth=3
	s_or_b32 exec_lo, exec_lo, s16
	v_cmp_gt_i16_sdwa s16, v26, v61 src0_sel:BYTE_0 src1_sel:DWORD
	s_mov_b32 s22, 0
	s_and_saveexec_b32 s23, s16
	s_xor_b32 s16, exec_lo, s23
	s_cbranch_execz .LBB6_13047
; %bb.11423:                            ;   in Loop: Header=BB6_10551 Depth=3
	v_cmp_eq_u16_sdwa s73, v26, v62 src0_sel:BYTE_0 src1_sel:DWORD
	s_mov_b32 s22, -1
	s_and_saveexec_b32 s23, s73
; %bb.11424:                            ;   in Loop: Header=BB6_10551 Depth=3
	s_xor_b32 s22, exec_lo, -1
; %bb.11425:                            ;   in Loop: Header=BB6_10551 Depth=3
	s_or_b32 exec_lo, exec_lo, s23
	s_and_b32 s22, s22, exec_lo
	s_or_saveexec_b32 s16, s16
	v_mov_b32_e32 v4, 0x7f800001
	s_xor_b32 exec_lo, exec_lo, s16
	s_cbranch_execnz .LBB6_13048
.LBB6_11426:                            ;   in Loop: Header=BB6_10551 Depth=3
	s_or_b32 exec_lo, exec_lo, s16
	s_and_saveexec_b32 s16, s22
	s_cbranch_execz .LBB6_11428
.LBB6_11427:                            ;   in Loop: Header=BB6_10551 Depth=3
	v_and_b32_e32 v4, 7, v26
	v_bfe_u32 v5, v26, 3, 4
	v_ffbh_u32_e32 v28, v4
	v_cmp_eq_u32_e32 vcc_lo, 0, v5
	v_min_u32_e32 v28, 32, v28
	v_subrev_nc_u32_e32 v29, 28, v28
	v_sub_nc_u32_e32 v28, 29, v28
	v_lshlrev_b32_e32 v29, v29, v26
	v_cndmask_b32_e32 v5, v5, v28, vcc_lo
	v_lshlrev_b32_e32 v28, 24, v26
	v_and_b32_e32 v29, 7, v29
	v_lshl_add_u32 v5, v5, 23, 0x3b800000
	v_and_b32_e32 v28, 0x80000000, v28
	v_cndmask_b32_e32 v4, v4, v29, vcc_lo
	v_lshlrev_b32_e32 v4, 20, v4
	v_or3_b32 v4, v28, v5, v4
.LBB6_11428:                            ;   in Loop: Header=BB6_10551 Depth=3
	s_or_b32 exec_lo, exec_lo, s16
	v_max_f32_e32 v4, v4, v4
	v_max_f32_e32 v1, v1, v1
	s_mov_b32 s16, 0
	v_max_f32_e32 v1, v1, v4
.LBB6_11429:                            ;   in Loop: Header=BB6_10551 Depth=3
	s_and_b32 vcc_lo, exec_lo, s16
	s_cbranch_vccz .LBB6_11443
; %bb.11430:                            ;   in Loop: Header=BB6_10551 Depth=3
	v_cmp_gt_i16_sdwa s16, v34, v61 src0_sel:BYTE_0 src1_sel:DWORD
	s_mov_b32 s22, 0
	s_and_saveexec_b32 s23, s16
	s_xor_b32 s16, exec_lo, s23
	s_cbranch_execz .LBB6_13049
; %bb.11431:                            ;   in Loop: Header=BB6_10551 Depth=3
	v_cmp_eq_u16_sdwa s73, v34, v62 src0_sel:BYTE_0 src1_sel:DWORD
	s_mov_b32 s22, -1
	s_and_saveexec_b32 s23, s73
; %bb.11432:                            ;   in Loop: Header=BB6_10551 Depth=3
	s_xor_b32 s22, exec_lo, -1
; %bb.11433:                            ;   in Loop: Header=BB6_10551 Depth=3
	s_or_b32 exec_lo, exec_lo, s23
	s_and_b32 s22, s22, exec_lo
	s_or_saveexec_b32 s16, s16
	v_mov_b32_e32 v1, 0x7f800001
	s_xor_b32 exec_lo, exec_lo, s16
	s_cbranch_execnz .LBB6_13050
.LBB6_11434:                            ;   in Loop: Header=BB6_10551 Depth=3
	s_or_b32 exec_lo, exec_lo, s16
	s_and_saveexec_b32 s16, s22
	s_cbranch_execz .LBB6_11436
.LBB6_11435:                            ;   in Loop: Header=BB6_10551 Depth=3
	v_and_b32_e32 v1, 7, v34
	v_bfe_u32 v4, v34, 3, 4
	v_ffbh_u32_e32 v5, v1
	v_cmp_eq_u32_e32 vcc_lo, 0, v4
	v_min_u32_e32 v5, 32, v5
	v_subrev_nc_u32_e32 v28, 28, v5
	v_sub_nc_u32_e32 v5, 29, v5
	v_lshlrev_b32_e32 v28, v28, v34
	v_cndmask_b32_e32 v4, v4, v5, vcc_lo
	v_lshlrev_b32_e32 v5, 24, v34
	v_and_b32_e32 v28, 7, v28
	v_lshl_add_u32 v4, v4, 23, 0x3b800000
	v_and_b32_e32 v5, 0x80000000, v5
	v_cndmask_b32_e32 v1, v1, v28, vcc_lo
	v_lshlrev_b32_e32 v1, 20, v1
	v_or3_b32 v1, v5, v4, v1
.LBB6_11436:                            ;   in Loop: Header=BB6_10551 Depth=3
	s_or_b32 exec_lo, exec_lo, s16
	v_cmp_gt_i16_sdwa s16, v26, v61 src0_sel:BYTE_0 src1_sel:DWORD
	s_mov_b32 s22, 0
	s_and_saveexec_b32 s23, s16
	s_xor_b32 s16, exec_lo, s23
	s_cbranch_execz .LBB6_13051
; %bb.11437:                            ;   in Loop: Header=BB6_10551 Depth=3
	v_cmp_eq_u16_sdwa s73, v26, v62 src0_sel:BYTE_0 src1_sel:DWORD
	s_mov_b32 s22, -1
	s_and_saveexec_b32 s23, s73
; %bb.11438:                            ;   in Loop: Header=BB6_10551 Depth=3
	s_xor_b32 s22, exec_lo, -1
; %bb.11439:                            ;   in Loop: Header=BB6_10551 Depth=3
	s_or_b32 exec_lo, exec_lo, s23
	s_and_b32 s22, s22, exec_lo
	s_or_saveexec_b32 s16, s16
	v_mov_b32_e32 v4, 0x7f800001
	s_xor_b32 exec_lo, exec_lo, s16
	s_cbranch_execnz .LBB6_13052
.LBB6_11440:                            ;   in Loop: Header=BB6_10551 Depth=3
	s_or_b32 exec_lo, exec_lo, s16
	s_and_saveexec_b32 s16, s22
	s_cbranch_execz .LBB6_11442
.LBB6_11441:                            ;   in Loop: Header=BB6_10551 Depth=3
	v_and_b32_e32 v4, 7, v26
	v_bfe_u32 v5, v26, 3, 4
	v_ffbh_u32_e32 v28, v4
	v_cmp_eq_u32_e32 vcc_lo, 0, v5
	v_min_u32_e32 v28, 32, v28
	v_subrev_nc_u32_e32 v29, 28, v28
	v_sub_nc_u32_e32 v28, 29, v28
	v_lshlrev_b32_e32 v29, v29, v26
	v_cndmask_b32_e32 v5, v5, v28, vcc_lo
	v_lshlrev_b32_e32 v28, 24, v26
	v_and_b32_e32 v29, 7, v29
	v_lshl_add_u32 v5, v5, 23, 0x3b800000
	v_and_b32_e32 v28, 0x80000000, v28
	v_cndmask_b32_e32 v4, v4, v29, vcc_lo
	v_lshlrev_b32_e32 v4, 20, v4
	v_or3_b32 v4, v28, v5, v4
.LBB6_11442:                            ;   in Loop: Header=BB6_10551 Depth=3
	s_or_b32 exec_lo, exec_lo, s16
	v_max_f32_e32 v4, v4, v4
	v_max_f32_e32 v1, v1, v1
	v_min_f32_e32 v1, v1, v4
.LBB6_11443:                            ;   in Loop: Header=BB6_10551 Depth=3
	v_and_b32_e32 v4, 0x7f800000, v1
	v_mov_b32_e32 v28, 0x80
	s_mov_b32 s22, exec_lo
	v_cmpx_ne_u32_e32 0x7f800000, v4
	s_cbranch_execz .LBB6_11451
; %bb.11444:                            ;   in Loop: Header=BB6_10551 Depth=3
	v_mov_b32_e32 v28, 0
	s_mov_b32 s23, exec_lo
	v_cmpx_ne_u32_e32 0, v1
	s_cbranch_execz .LBB6_11450
; %bb.11445:                            ;   in Loop: Header=BB6_10551 Depth=3
	v_bfe_u32 v5, v1, 23, 8
	v_and_b32_e32 v4, 0x7fffff, v1
	v_cmp_gt_u32_e64 s16, 0x79, v5
	v_sub_nc_u32_e32 v28, 0x78, v5
	v_cmp_eq_u32_e32 vcc_lo, 0, v5
	v_or_b32_e32 v29, 0x800000, v4
	v_cndmask_b32_e64 v28, 0, v28, s16
	v_cndmask_b32_e32 v4, v29, v4, vcc_lo
	v_cndmask_b32_e64 v28, v28, 0x77, vcc_lo
	v_lshl_add_u32 v29, 0x100000, v28, -1
	v_lshlrev_b32_e64 v31, v28, 0x80000
	v_and_b32_e32 v29, v29, v4
	v_cmp_eq_u32_e64 s16, v29, v31
	v_lshrrev_b32_e32 v29, v28, v4
	v_add_nc_u32_e32 v4, 0xffffff89, v5
	v_lshrrev_b32_e32 v5, 23, v29
	v_cndmask_b32_e64 v4, v4, 0xffffff8a, vcc_lo
	v_xor_b32_e32 v5, 1, v5
	v_add_nc_u32_e32 v4, v28, v4
	v_bfe_u32 v28, v29, 20, 1
	v_add_nc_u32_e32 v28, -1, v28
	v_cndmask_b32_e64 v28, 0, v28, s16
	s_mov_b32 s16, exec_lo
	v_add_nc_u32_e32 v28, v28, v29
	v_and_b32_e32 v28, 0xfffff, v28
	v_add_nc_u32_e32 v28, v28, v29
                                        ; implicit-def: $vgpr29
	v_cmpx_ne_u32_e64 v4, v5
	s_xor_b32 s16, exec_lo, s16
; %bb.11446:                            ;   in Loop: Header=BB6_10551 Depth=3
	v_cmp_lt_u32_e32 vcc_lo, 0xffffff, v28
	v_sub_nc_u32_e32 v4, v4, v5
	v_cndmask_b32_e64 v5, 0, 1, vcc_lo
	v_add_co_ci_u32_e64 v29, null, 0, v4, vcc_lo
	v_lshrrev_b32_e32 v28, v5, v28
; %bb.11447:                            ;   in Loop: Header=BB6_10551 Depth=3
	s_andn2_saveexec_b32 s16, s16
; %bb.11448:                            ;   in Loop: Header=BB6_10551 Depth=3
	v_bfe_u32 v29, v28, 23, 1
; %bb.11449:                            ;   in Loop: Header=BB6_10551 Depth=3
	s_or_b32 exec_lo, exec_lo, s16
	v_lshrrev_b32_e32 v4, 20, v28
	v_min_i32_e32 v5, 15, v29
	v_cmp_gt_i32_e32 vcc_lo, 16, v29
	v_and_b32_sdwa v1, v1, v62 dst_sel:DWORD dst_unused:UNUSED_PAD src0_sel:BYTE_3 src1_sel:DWORD
	v_lshlrev_b32_e32 v5, 3, v5
	v_cndmask_b32_e32 v4, 7, v4, vcc_lo
	v_and_b32_e32 v5, 0xf8, v5
	v_or_b32_e32 v28, v29, v4
	v_and_b32_e32 v4, 7, v4
	v_cmp_ne_u32_e32 vcc_lo, 0, v28
	v_or3_b32 v1, v5, v1, v4
	v_cndmask_b32_e32 v28, 0, v1, vcc_lo
.LBB6_11450:                            ;   in Loop: Header=BB6_10551 Depth=3
	s_or_b32 exec_lo, exec_lo, s23
.LBB6_11451:                            ;   in Loop: Header=BB6_10551 Depth=3
	s_or_b32 exec_lo, exec_lo, s22
	v_cmp_gt_i16_sdwa s22, v34, v61 src0_sel:BYTE_1 src1_sel:DWORD
	s_andn2_b32 vcc_lo, exec_lo, s19
	s_mov_b32 s16, -1
                                        ; implicit-def: $vgpr1
	s_cbranch_vccnz .LBB6_11465
; %bb.11452:                            ;   in Loop: Header=BB6_10551 Depth=3
	s_mov_b32 s16, 0
	s_and_saveexec_b32 s23, s22
	s_xor_b32 s22, exec_lo, s23
	s_cbranch_execz .LBB6_13053
; %bb.11453:                            ;   in Loop: Header=BB6_10551 Depth=3
	v_cmp_eq_u16_sdwa s73, v34, v62 src0_sel:BYTE_1 src1_sel:DWORD
	s_mov_b32 s16, -1
	s_and_saveexec_b32 s23, s73
; %bb.11454:                            ;   in Loop: Header=BB6_10551 Depth=3
	s_xor_b32 s16, exec_lo, -1
; %bb.11455:                            ;   in Loop: Header=BB6_10551 Depth=3
	s_or_b32 exec_lo, exec_lo, s23
	s_and_b32 s16, s16, exec_lo
	s_or_saveexec_b32 s22, s22
	v_mov_b32_e32 v1, 0x7f800001
	s_xor_b32 exec_lo, exec_lo, s22
	s_cbranch_execnz .LBB6_13054
.LBB6_11456:                            ;   in Loop: Header=BB6_10551 Depth=3
	s_or_b32 exec_lo, exec_lo, s22
	s_and_saveexec_b32 s22, s16
	s_cbranch_execz .LBB6_11458
.LBB6_11457:                            ;   in Loop: Header=BB6_10551 Depth=3
	v_and_b32_sdwa v1, v63, v34 dst_sel:DWORD dst_unused:UNUSED_PAD src0_sel:DWORD src1_sel:BYTE_1
	v_and_b32_e32 v4, 7, v1
	v_bfe_u32 v31, v1, 3, 4
	v_ffbh_u32_e32 v5, v4
	v_cmp_eq_u32_e32 vcc_lo, 0, v31
	v_min_u32_e32 v5, 32, v5
	v_subrev_nc_u32_e32 v29, 28, v5
	v_sub_nc_u32_e32 v5, 29, v5
	v_lshlrev_b32_e32 v1, v29, v1
	v_lshlrev_b32_e32 v29, 16, v34
	v_cndmask_b32_e32 v5, v31, v5, vcc_lo
	v_and_b32_e32 v1, 7, v1
	v_lshl_add_u32 v5, v5, 23, 0x3b800000
	v_cndmask_b32_e32 v1, v4, v1, vcc_lo
	v_and_b32_e32 v4, 0x80000000, v29
	v_lshlrev_b32_e32 v1, 20, v1
	v_or3_b32 v1, v4, v5, v1
.LBB6_11458:                            ;   in Loop: Header=BB6_10551 Depth=3
	s_or_b32 exec_lo, exec_lo, s22
	v_cmp_gt_i16_sdwa s22, v26, v61 src0_sel:BYTE_1 src1_sel:DWORD
	s_mov_b32 s16, 0
	s_and_saveexec_b32 s23, s22
	s_xor_b32 s22, exec_lo, s23
	s_cbranch_execz .LBB6_13055
; %bb.11459:                            ;   in Loop: Header=BB6_10551 Depth=3
	v_cmp_eq_u16_sdwa s73, v26, v62 src0_sel:BYTE_1 src1_sel:DWORD
	s_mov_b32 s16, -1
	s_and_saveexec_b32 s23, s73
; %bb.11460:                            ;   in Loop: Header=BB6_10551 Depth=3
	s_xor_b32 s16, exec_lo, -1
; %bb.11461:                            ;   in Loop: Header=BB6_10551 Depth=3
	s_or_b32 exec_lo, exec_lo, s23
	s_and_b32 s16, s16, exec_lo
	s_or_saveexec_b32 s22, s22
	v_mov_b32_e32 v4, 0x7f800001
	s_xor_b32 exec_lo, exec_lo, s22
	s_cbranch_execnz .LBB6_13056
.LBB6_11462:                            ;   in Loop: Header=BB6_10551 Depth=3
	s_or_b32 exec_lo, exec_lo, s22
	s_and_saveexec_b32 s22, s16
	s_cbranch_execz .LBB6_11464
.LBB6_11463:                            ;   in Loop: Header=BB6_10551 Depth=3
	v_and_b32_sdwa v4, v63, v26 dst_sel:DWORD dst_unused:UNUSED_PAD src0_sel:DWORD src1_sel:BYTE_1
	v_and_b32_e32 v5, 7, v4
	v_bfe_u32 v33, v4, 3, 4
	v_ffbh_u32_e32 v29, v5
	v_cmp_eq_u32_e32 vcc_lo, 0, v33
	v_min_u32_e32 v29, 32, v29
	v_subrev_nc_u32_e32 v31, 28, v29
	v_sub_nc_u32_e32 v29, 29, v29
	v_lshlrev_b32_e32 v4, v31, v4
	v_lshlrev_b32_e32 v31, 16, v26
	v_cndmask_b32_e32 v29, v33, v29, vcc_lo
	v_and_b32_e32 v4, 7, v4
	v_lshl_add_u32 v29, v29, 23, 0x3b800000
	v_cndmask_b32_e32 v4, v5, v4, vcc_lo
	v_and_b32_e32 v5, 0x80000000, v31
	v_lshlrev_b32_e32 v4, 20, v4
	v_or3_b32 v4, v5, v29, v4
.LBB6_11464:                            ;   in Loop: Header=BB6_10551 Depth=3
	s_or_b32 exec_lo, exec_lo, s22
	v_max_f32_e32 v4, v4, v4
	v_max_f32_e32 v1, v1, v1
	s_mov_b32 s16, 0
	v_max_f32_e32 v1, v1, v4
.LBB6_11465:                            ;   in Loop: Header=BB6_10551 Depth=3
	s_and_b32 vcc_lo, exec_lo, s16
	s_cbranch_vccz .LBB6_11479
; %bb.11466:                            ;   in Loop: Header=BB6_10551 Depth=3
	v_cmp_gt_i16_sdwa s22, v34, v61 src0_sel:BYTE_1 src1_sel:DWORD
	s_mov_b32 s16, 0
	s_and_saveexec_b32 s23, s22
	s_xor_b32 s22, exec_lo, s23
	s_cbranch_execz .LBB6_13057
; %bb.11467:                            ;   in Loop: Header=BB6_10551 Depth=3
	v_cmp_eq_u16_sdwa s73, v34, v62 src0_sel:BYTE_1 src1_sel:DWORD
	s_mov_b32 s16, -1
	s_and_saveexec_b32 s23, s73
; %bb.11468:                            ;   in Loop: Header=BB6_10551 Depth=3
	s_xor_b32 s16, exec_lo, -1
; %bb.11469:                            ;   in Loop: Header=BB6_10551 Depth=3
	s_or_b32 exec_lo, exec_lo, s23
	s_and_b32 s16, s16, exec_lo
	s_or_saveexec_b32 s22, s22
	v_mov_b32_e32 v1, 0x7f800001
	s_xor_b32 exec_lo, exec_lo, s22
	s_cbranch_execnz .LBB6_13058
.LBB6_11470:                            ;   in Loop: Header=BB6_10551 Depth=3
	s_or_b32 exec_lo, exec_lo, s22
	s_and_saveexec_b32 s22, s16
	s_cbranch_execz .LBB6_11472
.LBB6_11471:                            ;   in Loop: Header=BB6_10551 Depth=3
	v_and_b32_sdwa v1, v63, v34 dst_sel:DWORD dst_unused:UNUSED_PAD src0_sel:DWORD src1_sel:BYTE_1
	v_and_b32_e32 v4, 7, v1
	v_bfe_u32 v31, v1, 3, 4
	v_ffbh_u32_e32 v5, v4
	v_cmp_eq_u32_e32 vcc_lo, 0, v31
	v_min_u32_e32 v5, 32, v5
	v_subrev_nc_u32_e32 v29, 28, v5
	v_sub_nc_u32_e32 v5, 29, v5
	v_lshlrev_b32_e32 v1, v29, v1
	v_lshlrev_b32_e32 v29, 16, v34
	v_cndmask_b32_e32 v5, v31, v5, vcc_lo
	v_and_b32_e32 v1, 7, v1
	v_lshl_add_u32 v5, v5, 23, 0x3b800000
	v_cndmask_b32_e32 v1, v4, v1, vcc_lo
	v_and_b32_e32 v4, 0x80000000, v29
	v_lshlrev_b32_e32 v1, 20, v1
	v_or3_b32 v1, v4, v5, v1
.LBB6_11472:                            ;   in Loop: Header=BB6_10551 Depth=3
	s_or_b32 exec_lo, exec_lo, s22
	v_cmp_gt_i16_sdwa s22, v26, v61 src0_sel:BYTE_1 src1_sel:DWORD
	s_mov_b32 s16, 0
	s_and_saveexec_b32 s23, s22
	s_xor_b32 s22, exec_lo, s23
	s_cbranch_execz .LBB6_13059
; %bb.11473:                            ;   in Loop: Header=BB6_10551 Depth=3
	v_cmp_eq_u16_sdwa s73, v26, v62 src0_sel:BYTE_1 src1_sel:DWORD
	s_mov_b32 s16, -1
	s_and_saveexec_b32 s23, s73
; %bb.11474:                            ;   in Loop: Header=BB6_10551 Depth=3
	s_xor_b32 s16, exec_lo, -1
; %bb.11475:                            ;   in Loop: Header=BB6_10551 Depth=3
	s_or_b32 exec_lo, exec_lo, s23
	s_and_b32 s16, s16, exec_lo
	s_or_saveexec_b32 s22, s22
	v_mov_b32_e32 v4, 0x7f800001
	s_xor_b32 exec_lo, exec_lo, s22
	s_cbranch_execnz .LBB6_13060
.LBB6_11476:                            ;   in Loop: Header=BB6_10551 Depth=3
	s_or_b32 exec_lo, exec_lo, s22
	s_and_saveexec_b32 s22, s16
	s_cbranch_execz .LBB6_11478
.LBB6_11477:                            ;   in Loop: Header=BB6_10551 Depth=3
	v_and_b32_sdwa v4, v63, v26 dst_sel:DWORD dst_unused:UNUSED_PAD src0_sel:DWORD src1_sel:BYTE_1
	v_and_b32_e32 v5, 7, v4
	v_bfe_u32 v33, v4, 3, 4
	v_ffbh_u32_e32 v29, v5
	v_cmp_eq_u32_e32 vcc_lo, 0, v33
	v_min_u32_e32 v29, 32, v29
	v_subrev_nc_u32_e32 v31, 28, v29
	v_sub_nc_u32_e32 v29, 29, v29
	v_lshlrev_b32_e32 v4, v31, v4
	v_lshlrev_b32_e32 v31, 16, v26
	v_cndmask_b32_e32 v29, v33, v29, vcc_lo
	v_and_b32_e32 v4, 7, v4
	v_lshl_add_u32 v29, v29, 23, 0x3b800000
	v_cndmask_b32_e32 v4, v5, v4, vcc_lo
	v_and_b32_e32 v5, 0x80000000, v31
	v_lshlrev_b32_e32 v4, 20, v4
	v_or3_b32 v4, v5, v29, v4
.LBB6_11478:                            ;   in Loop: Header=BB6_10551 Depth=3
	s_or_b32 exec_lo, exec_lo, s22
	v_max_f32_e32 v4, v4, v4
	v_max_f32_e32 v1, v1, v1
	v_min_f32_e32 v1, v1, v4
.LBB6_11479:                            ;   in Loop: Header=BB6_10551 Depth=3
	v_and_b32_e32 v4, 0x7f800000, v1
	v_mov_b32_e32 v29, 0x8000
	s_mov_b32 s22, exec_lo
	v_cmpx_ne_u32_e32 0x7f800000, v4
	s_cbranch_execz .LBB6_11487
; %bb.11480:                            ;   in Loop: Header=BB6_10551 Depth=3
	v_mov_b32_e32 v29, 0
	s_mov_b32 s23, exec_lo
	v_cmpx_ne_u32_e32 0, v1
	s_cbranch_execz .LBB6_11486
; %bb.11481:                            ;   in Loop: Header=BB6_10551 Depth=3
	v_bfe_u32 v5, v1, 23, 8
	v_and_b32_e32 v4, 0x7fffff, v1
	v_cmp_gt_u32_e64 s16, 0x79, v5
	v_sub_nc_u32_e32 v29, 0x78, v5
	v_cmp_eq_u32_e32 vcc_lo, 0, v5
	v_or_b32_e32 v31, 0x800000, v4
	v_cndmask_b32_e64 v29, 0, v29, s16
	v_cndmask_b32_e32 v4, v31, v4, vcc_lo
	v_cndmask_b32_e64 v29, v29, 0x77, vcc_lo
	v_lshl_add_u32 v31, 0x100000, v29, -1
	v_lshlrev_b32_e64 v33, v29, 0x80000
	v_and_b32_e32 v31, v31, v4
	v_cmp_eq_u32_e64 s16, v31, v33
	v_lshrrev_b32_e32 v31, v29, v4
	v_add_nc_u32_e32 v4, 0xffffff89, v5
	v_lshrrev_b32_e32 v5, 23, v31
	v_cndmask_b32_e64 v4, v4, 0xffffff8a, vcc_lo
	v_xor_b32_e32 v5, 1, v5
	v_add_nc_u32_e32 v4, v29, v4
	v_bfe_u32 v29, v31, 20, 1
	v_add_nc_u32_e32 v29, -1, v29
	v_cndmask_b32_e64 v29, 0, v29, s16
	s_mov_b32 s16, exec_lo
	v_add_nc_u32_e32 v29, v29, v31
	v_and_b32_e32 v29, 0xfffff, v29
	v_add_nc_u32_e32 v29, v29, v31
                                        ; implicit-def: $vgpr31
	v_cmpx_ne_u32_e64 v4, v5
	s_xor_b32 s16, exec_lo, s16
; %bb.11482:                            ;   in Loop: Header=BB6_10551 Depth=3
	v_cmp_lt_u32_e32 vcc_lo, 0xffffff, v29
	v_sub_nc_u32_e32 v4, v4, v5
	v_cndmask_b32_e64 v5, 0, 1, vcc_lo
	v_add_co_ci_u32_e64 v31, null, 0, v4, vcc_lo
	v_lshrrev_b32_e32 v29, v5, v29
; %bb.11483:                            ;   in Loop: Header=BB6_10551 Depth=3
	s_andn2_saveexec_b32 s16, s16
; %bb.11484:                            ;   in Loop: Header=BB6_10551 Depth=3
	v_bfe_u32 v31, v29, 23, 1
; %bb.11485:                            ;   in Loop: Header=BB6_10551 Depth=3
	s_or_b32 exec_lo, exec_lo, s16
	v_lshrrev_b32_e32 v4, 20, v29
	v_min_i32_e32 v5, 15, v31
	v_cmp_gt_i32_e32 vcc_lo, 16, v31
	v_and_b32_sdwa v1, v1, v62 dst_sel:DWORD dst_unused:UNUSED_PAD src0_sel:BYTE_3 src1_sel:DWORD
	v_lshlrev_b32_e32 v5, 3, v5
	v_cndmask_b32_e32 v4, 7, v4, vcc_lo
	v_and_b32_e32 v5, 0xf8, v5
	v_or_b32_e32 v29, v31, v4
	v_and_b32_e32 v4, 7, v4
	v_cmp_ne_u32_e32 vcc_lo, 0, v29
	v_or3_b32 v1, v1, v5, v4
	v_lshlrev_b32_e32 v1, 8, v1
	v_cndmask_b32_e32 v29, 0, v1, vcc_lo
.LBB6_11486:                            ;   in Loop: Header=BB6_10551 Depth=3
	s_or_b32 exec_lo, exec_lo, s23
.LBB6_11487:                            ;   in Loop: Header=BB6_10551 Depth=3
	s_or_b32 exec_lo, exec_lo, s22
	v_and_b32_sdwa v1, v34, v72 dst_sel:DWORD dst_unused:UNUSED_PAD src0_sel:WORD_1 src1_sel:DWORD
	s_andn2_b32 vcc_lo, exec_lo, s19
	s_mov_b32 s22, -1
                                        ; implicit-def: $vgpr4
	v_cmp_lt_i16_e64 s16, 0x7f, v1
	s_cbranch_vccnz .LBB6_11501
; %bb.11488:                            ;   in Loop: Header=BB6_10551 Depth=3
	s_mov_b32 s22, 0
	s_and_saveexec_b32 s23, s16
	s_xor_b32 s16, exec_lo, s23
	s_cbranch_execz .LBB6_13061
; %bb.11489:                            ;   in Loop: Header=BB6_10551 Depth=3
	s_mov_b32 s22, -1
	s_mov_b32 s23, exec_lo
	v_cmpx_eq_u16_e32 0x80, v1
; %bb.11490:                            ;   in Loop: Header=BB6_10551 Depth=3
	s_xor_b32 s22, exec_lo, -1
; %bb.11491:                            ;   in Loop: Header=BB6_10551 Depth=3
	s_or_b32 exec_lo, exec_lo, s23
	s_and_b32 s22, s22, exec_lo
	s_or_saveexec_b32 s16, s16
	v_mov_b32_e32 v4, 0x7f800001
	s_xor_b32 exec_lo, exec_lo, s16
	s_cbranch_execnz .LBB6_13062
.LBB6_11492:                            ;   in Loop: Header=BB6_10551 Depth=3
	s_or_b32 exec_lo, exec_lo, s16
	s_and_saveexec_b32 s16, s22
	s_cbranch_execz .LBB6_11494
.LBB6_11493:                            ;   in Loop: Header=BB6_10551 Depth=3
	v_bfe_u32 v4, v34, 16, 3
	v_bfe_u32 v5, v34, 19, 4
	v_ffbh_u32_e32 v31, v4
	v_cmp_eq_u32_e32 vcc_lo, 0, v5
	v_min_u32_e32 v31, 32, v31
	v_subrev_nc_u32_e32 v33, 28, v31
	v_sub_nc_u32_e32 v31, 29, v31
	v_lshlrev_b32_sdwa v33, v33, v34 dst_sel:DWORD dst_unused:UNUSED_PAD src0_sel:DWORD src1_sel:WORD_1
	v_cndmask_b32_e32 v5, v5, v31, vcc_lo
	v_lshlrev_b32_sdwa v31, v73, v34 dst_sel:DWORD dst_unused:UNUSED_PAD src0_sel:DWORD src1_sel:WORD_1
	v_and_b32_e32 v33, 7, v33
	v_lshl_add_u32 v5, v5, 23, 0x3b800000
	v_and_b32_e32 v31, 0x80000000, v31
	v_cndmask_b32_e32 v4, v4, v33, vcc_lo
	v_lshlrev_b32_e32 v4, 20, v4
	v_or3_b32 v4, v31, v5, v4
.LBB6_11494:                            ;   in Loop: Header=BB6_10551 Depth=3
	s_or_b32 exec_lo, exec_lo, s16
	v_and_b32_sdwa v31, v26, v72 dst_sel:DWORD dst_unused:UNUSED_PAD src0_sel:WORD_1 src1_sel:DWORD
	s_mov_b32 s22, 0
	s_mov_b32 s16, exec_lo
	v_cmpx_lt_i16_e32 0x7f, v31
	s_xor_b32 s16, exec_lo, s16
	s_cbranch_execz .LBB6_13063
; %bb.11495:                            ;   in Loop: Header=BB6_10551 Depth=3
	s_mov_b32 s22, -1
	s_mov_b32 s23, exec_lo
	v_cmpx_eq_u16_e32 0x80, v31
; %bb.11496:                            ;   in Loop: Header=BB6_10551 Depth=3
	s_xor_b32 s22, exec_lo, -1
; %bb.11497:                            ;   in Loop: Header=BB6_10551 Depth=3
	s_or_b32 exec_lo, exec_lo, s23
	s_and_b32 s22, s22, exec_lo
                                        ; implicit-def: $vgpr31
	s_or_saveexec_b32 s16, s16
	v_mov_b32_e32 v5, 0x7f800001
	s_xor_b32 exec_lo, exec_lo, s16
	s_cbranch_execnz .LBB6_13064
.LBB6_11498:                            ;   in Loop: Header=BB6_10551 Depth=3
	s_or_b32 exec_lo, exec_lo, s16
	s_and_saveexec_b32 s16, s22
	s_cbranch_execz .LBB6_11500
.LBB6_11499:                            ;   in Loop: Header=BB6_10551 Depth=3
	v_bfe_u32 v5, v26, 16, 3
	v_bfe_u32 v31, v26, 19, 4
	v_ffbh_u32_e32 v33, v5
	v_cmp_eq_u32_e32 vcc_lo, 0, v31
	v_min_u32_e32 v33, 32, v33
	v_subrev_nc_u32_e32 v82, 28, v33
	v_sub_nc_u32_e32 v33, 29, v33
	v_lshlrev_b32_sdwa v82, v82, v26 dst_sel:DWORD dst_unused:UNUSED_PAD src0_sel:DWORD src1_sel:WORD_1
	v_cndmask_b32_e32 v31, v31, v33, vcc_lo
	v_lshlrev_b32_sdwa v33, v73, v26 dst_sel:DWORD dst_unused:UNUSED_PAD src0_sel:DWORD src1_sel:WORD_1
	v_and_b32_e32 v82, 7, v82
	v_lshl_add_u32 v31, v31, 23, 0x3b800000
	v_and_b32_e32 v33, 0x80000000, v33
	v_cndmask_b32_e32 v5, v5, v82, vcc_lo
	v_lshlrev_b32_e32 v5, 20, v5
	v_or3_b32 v5, v33, v31, v5
.LBB6_11500:                            ;   in Loop: Header=BB6_10551 Depth=3
	s_or_b32 exec_lo, exec_lo, s16
	v_max_f32_e32 v5, v5, v5
	v_max_f32_e32 v4, v4, v4
	s_mov_b32 s22, 0
	v_max_f32_e32 v4, v4, v5
.LBB6_11501:                            ;   in Loop: Header=BB6_10551 Depth=3
	s_and_b32 vcc_lo, exec_lo, s22
	s_cbranch_vccz .LBB6_11515
; %bb.11502:                            ;   in Loop: Header=BB6_10551 Depth=3
	s_mov_b32 s22, 0
	s_mov_b32 s16, exec_lo
	v_cmpx_lt_i16_e32 0x7f, v1
	s_xor_b32 s16, exec_lo, s16
	s_cbranch_execz .LBB6_13065
; %bb.11503:                            ;   in Loop: Header=BB6_10551 Depth=3
	s_mov_b32 s22, -1
	s_mov_b32 s23, exec_lo
	v_cmpx_eq_u16_e32 0x80, v1
; %bb.11504:                            ;   in Loop: Header=BB6_10551 Depth=3
	s_xor_b32 s22, exec_lo, -1
; %bb.11505:                            ;   in Loop: Header=BB6_10551 Depth=3
	s_or_b32 exec_lo, exec_lo, s23
	s_and_b32 s22, s22, exec_lo
                                        ; implicit-def: $vgpr1
	s_or_saveexec_b32 s16, s16
	v_mov_b32_e32 v4, 0x7f800001
	s_xor_b32 exec_lo, exec_lo, s16
	s_cbranch_execnz .LBB6_13066
.LBB6_11506:                            ;   in Loop: Header=BB6_10551 Depth=3
	s_or_b32 exec_lo, exec_lo, s16
	s_and_saveexec_b32 s16, s22
	s_cbranch_execz .LBB6_11508
.LBB6_11507:                            ;   in Loop: Header=BB6_10551 Depth=3
	v_bfe_u32 v1, v34, 16, 3
	v_bfe_u32 v4, v34, 19, 4
	v_ffbh_u32_e32 v5, v1
	v_cmp_eq_u32_e32 vcc_lo, 0, v4
	v_min_u32_e32 v5, 32, v5
	v_subrev_nc_u32_e32 v31, 28, v5
	v_sub_nc_u32_e32 v5, 29, v5
	v_lshlrev_b32_sdwa v31, v31, v34 dst_sel:DWORD dst_unused:UNUSED_PAD src0_sel:DWORD src1_sel:WORD_1
	v_cndmask_b32_e32 v4, v4, v5, vcc_lo
	v_lshlrev_b32_sdwa v5, v73, v34 dst_sel:DWORD dst_unused:UNUSED_PAD src0_sel:DWORD src1_sel:WORD_1
	v_and_b32_e32 v31, 7, v31
	v_lshl_add_u32 v4, v4, 23, 0x3b800000
	v_and_b32_e32 v5, 0x80000000, v5
	v_cndmask_b32_e32 v1, v1, v31, vcc_lo
	v_lshlrev_b32_e32 v1, 20, v1
	v_or3_b32 v4, v5, v4, v1
.LBB6_11508:                            ;   in Loop: Header=BB6_10551 Depth=3
	s_or_b32 exec_lo, exec_lo, s16
	v_and_b32_sdwa v5, v26, v72 dst_sel:DWORD dst_unused:UNUSED_PAD src0_sel:WORD_1 src1_sel:DWORD
	s_mov_b32 s22, 0
	s_mov_b32 s16, exec_lo
	v_cmpx_lt_i16_e32 0x7f, v5
	s_xor_b32 s16, exec_lo, s16
	s_cbranch_execz .LBB6_13067
; %bb.11509:                            ;   in Loop: Header=BB6_10551 Depth=3
	s_mov_b32 s22, -1
	s_mov_b32 s23, exec_lo
	v_cmpx_eq_u16_e32 0x80, v5
; %bb.11510:                            ;   in Loop: Header=BB6_10551 Depth=3
	s_xor_b32 s22, exec_lo, -1
; %bb.11511:                            ;   in Loop: Header=BB6_10551 Depth=3
	s_or_b32 exec_lo, exec_lo, s23
	s_and_b32 s22, s22, exec_lo
                                        ; implicit-def: $vgpr5
	s_or_saveexec_b32 s16, s16
	v_mov_b32_e32 v1, 0x7f800001
	s_xor_b32 exec_lo, exec_lo, s16
	s_cbranch_execnz .LBB6_13068
.LBB6_11512:                            ;   in Loop: Header=BB6_10551 Depth=3
	s_or_b32 exec_lo, exec_lo, s16
	s_and_saveexec_b32 s16, s22
	s_cbranch_execz .LBB6_11514
.LBB6_11513:                            ;   in Loop: Header=BB6_10551 Depth=3
	v_bfe_u32 v1, v26, 16, 3
	v_bfe_u32 v5, v26, 19, 4
	v_ffbh_u32_e32 v31, v1
	v_cmp_eq_u32_e32 vcc_lo, 0, v5
	v_min_u32_e32 v31, 32, v31
	v_subrev_nc_u32_e32 v33, 28, v31
	v_sub_nc_u32_e32 v31, 29, v31
	v_lshlrev_b32_sdwa v33, v33, v26 dst_sel:DWORD dst_unused:UNUSED_PAD src0_sel:DWORD src1_sel:WORD_1
	v_cndmask_b32_e32 v5, v5, v31, vcc_lo
	v_lshlrev_b32_sdwa v31, v73, v26 dst_sel:DWORD dst_unused:UNUSED_PAD src0_sel:DWORD src1_sel:WORD_1
	v_and_b32_e32 v33, 7, v33
	v_lshl_add_u32 v5, v5, 23, 0x3b800000
	v_and_b32_e32 v31, 0x80000000, v31
	v_cndmask_b32_e32 v1, v1, v33, vcc_lo
	v_lshlrev_b32_e32 v1, 20, v1
	v_or3_b32 v1, v31, v5, v1
.LBB6_11514:                            ;   in Loop: Header=BB6_10551 Depth=3
	s_or_b32 exec_lo, exec_lo, s16
	v_max_f32_e32 v1, v1, v1
	v_max_f32_e32 v4, v4, v4
	v_min_f32_e32 v4, v4, v1
.LBB6_11515:                            ;   in Loop: Header=BB6_10551 Depth=3
	v_and_b32_e32 v1, 0x7f800000, v4
	v_mov_b32_e32 v33, 0x80
	s_mov_b32 s22, exec_lo
	v_cmpx_ne_u32_e32 0x7f800000, v1
	s_cbranch_execz .LBB6_11523
; %bb.11516:                            ;   in Loop: Header=BB6_10551 Depth=3
	v_mov_b32_e32 v33, 0
	s_mov_b32 s23, exec_lo
	v_cmpx_ne_u32_e32 0, v4
	s_cbranch_execz .LBB6_11522
; %bb.11517:                            ;   in Loop: Header=BB6_10551 Depth=3
	v_bfe_u32 v5, v4, 23, 8
	v_and_b32_e32 v1, 0x7fffff, v4
	v_cmp_gt_u32_e64 s16, 0x79, v5
	v_sub_nc_u32_e32 v31, 0x78, v5
	v_cmp_eq_u32_e32 vcc_lo, 0, v5
	v_or_b32_e32 v33, 0x800000, v1
	v_cndmask_b32_e64 v31, 0, v31, s16
	v_cndmask_b32_e32 v1, v33, v1, vcc_lo
	v_cndmask_b32_e64 v31, v31, 0x77, vcc_lo
	v_lshl_add_u32 v33, 0x100000, v31, -1
	v_lshlrev_b32_e64 v82, v31, 0x80000
	v_and_b32_e32 v33, v33, v1
	v_cmp_eq_u32_e64 s16, v33, v82
	v_lshrrev_b32_e32 v33, v31, v1
	v_add_nc_u32_e32 v1, 0xffffff89, v5
	v_lshrrev_b32_e32 v5, 23, v33
	v_cndmask_b32_e64 v1, v1, 0xffffff8a, vcc_lo
	v_xor_b32_e32 v5, 1, v5
	v_add_nc_u32_e32 v1, v31, v1
	v_bfe_u32 v31, v33, 20, 1
	v_add_nc_u32_e32 v31, -1, v31
	v_cndmask_b32_e64 v31, 0, v31, s16
	s_mov_b32 s16, exec_lo
	v_add_nc_u32_e32 v31, v31, v33
	v_and_b32_e32 v31, 0xfffff, v31
	v_add_nc_u32_e32 v31, v31, v33
                                        ; implicit-def: $vgpr33
	v_cmpx_ne_u32_e64 v1, v5
	s_xor_b32 s16, exec_lo, s16
; %bb.11518:                            ;   in Loop: Header=BB6_10551 Depth=3
	v_cmp_lt_u32_e32 vcc_lo, 0xffffff, v31
	v_sub_nc_u32_e32 v1, v1, v5
	v_cndmask_b32_e64 v5, 0, 1, vcc_lo
	v_add_co_ci_u32_e64 v33, null, 0, v1, vcc_lo
	v_lshrrev_b32_e32 v31, v5, v31
; %bb.11519:                            ;   in Loop: Header=BB6_10551 Depth=3
	s_andn2_saveexec_b32 s16, s16
; %bb.11520:                            ;   in Loop: Header=BB6_10551 Depth=3
	v_bfe_u32 v33, v31, 23, 1
; %bb.11521:                            ;   in Loop: Header=BB6_10551 Depth=3
	s_or_b32 exec_lo, exec_lo, s16
	v_and_b32_sdwa v1, v4, v62 dst_sel:DWORD dst_unused:UNUSED_PAD src0_sel:BYTE_3 src1_sel:DWORD
	v_lshrrev_b32_e32 v4, 20, v31
	v_min_i32_e32 v5, 15, v33
	v_cmp_gt_i32_e32 vcc_lo, 16, v33
	v_lshlrev_b32_e32 v5, 3, v5
	v_cndmask_b32_e32 v4, 7, v4, vcc_lo
	v_and_b32_e32 v5, 0xf8, v5
	v_or_b32_e32 v31, v33, v4
	v_and_b32_e32 v4, 7, v4
	v_cmp_ne_u32_e32 vcc_lo, 0, v31
	v_or3_b32 v1, v5, v1, v4
	v_cndmask_b32_e32 v33, 0, v1, vcc_lo
.LBB6_11522:                            ;   in Loop: Header=BB6_10551 Depth=3
	s_or_b32 exec_lo, exec_lo, s23
.LBB6_11523:                            ;   in Loop: Header=BB6_10551 Depth=3
	s_or_b32 exec_lo, exec_lo, s22
	v_cmp_gt_i16_sdwa s22, v34, v61 src0_sel:BYTE_3 src1_sel:DWORD
	s_andn2_b32 vcc_lo, exec_lo, s19
	s_mov_b32 s16, -1
                                        ; implicit-def: $vgpr1
	s_cbranch_vccnz .LBB6_11537
; %bb.11524:                            ;   in Loop: Header=BB6_10551 Depth=3
	s_mov_b32 s16, 0
	s_and_saveexec_b32 s23, s22
	s_xor_b32 s22, exec_lo, s23
	s_cbranch_execz .LBB6_13069
; %bb.11525:                            ;   in Loop: Header=BB6_10551 Depth=3
	v_cmp_eq_u16_sdwa s73, v34, v62 src0_sel:BYTE_3 src1_sel:DWORD
	s_mov_b32 s16, -1
	s_and_saveexec_b32 s23, s73
; %bb.11526:                            ;   in Loop: Header=BB6_10551 Depth=3
	s_xor_b32 s16, exec_lo, -1
; %bb.11527:                            ;   in Loop: Header=BB6_10551 Depth=3
	s_or_b32 exec_lo, exec_lo, s23
	s_and_b32 s16, s16, exec_lo
	s_or_saveexec_b32 s22, s22
	v_mov_b32_e32 v1, 0x7f800001
	s_xor_b32 exec_lo, exec_lo, s22
	s_cbranch_execnz .LBB6_13070
.LBB6_11528:                            ;   in Loop: Header=BB6_10551 Depth=3
	s_or_b32 exec_lo, exec_lo, s22
	s_and_saveexec_b32 s22, s16
	s_cbranch_execz .LBB6_11530
.LBB6_11529:                            ;   in Loop: Header=BB6_10551 Depth=3
	v_bfe_u32 v1, v34, 24, 3
	v_bfe_u32 v31, v34, 27, 4
	v_ffbh_u32_e32 v4, v1
	v_cmp_eq_u32_e32 vcc_lo, 0, v31
	v_min_u32_e32 v4, 32, v4
	v_subrev_nc_u32_e32 v5, 28, v4
	v_sub_nc_u32_e32 v4, 29, v4
	v_lshlrev_b32_sdwa v5, v5, v34 dst_sel:DWORD dst_unused:UNUSED_PAD src0_sel:DWORD src1_sel:BYTE_3
	v_cndmask_b32_e32 v4, v31, v4, vcc_lo
	v_and_b32_e32 v5, 7, v5
	v_lshl_add_u32 v4, v4, 23, 0x3b800000
	v_cndmask_b32_e32 v1, v1, v5, vcc_lo
	v_and_b32_e32 v5, 0x80000000, v34
	v_lshlrev_b32_e32 v1, 20, v1
	v_or3_b32 v1, v5, v4, v1
.LBB6_11530:                            ;   in Loop: Header=BB6_10551 Depth=3
	s_or_b32 exec_lo, exec_lo, s22
	v_cmp_gt_i16_sdwa s22, v26, v61 src0_sel:BYTE_3 src1_sel:DWORD
	s_mov_b32 s16, 0
	s_and_saveexec_b32 s23, s22
	s_xor_b32 s22, exec_lo, s23
	s_cbranch_execz .LBB6_13071
; %bb.11531:                            ;   in Loop: Header=BB6_10551 Depth=3
	v_cmp_eq_u16_sdwa s73, v26, v62 src0_sel:BYTE_3 src1_sel:DWORD
	s_mov_b32 s16, -1
	s_and_saveexec_b32 s23, s73
; %bb.11532:                            ;   in Loop: Header=BB6_10551 Depth=3
	s_xor_b32 s16, exec_lo, -1
; %bb.11533:                            ;   in Loop: Header=BB6_10551 Depth=3
	s_or_b32 exec_lo, exec_lo, s23
	s_and_b32 s16, s16, exec_lo
	s_or_saveexec_b32 s22, s22
	v_mov_b32_e32 v4, 0x7f800001
	s_xor_b32 exec_lo, exec_lo, s22
	s_cbranch_execnz .LBB6_13072
.LBB6_11534:                            ;   in Loop: Header=BB6_10551 Depth=3
	s_or_b32 exec_lo, exec_lo, s22
	s_and_saveexec_b32 s22, s16
	s_cbranch_execz .LBB6_11536
.LBB6_11535:                            ;   in Loop: Header=BB6_10551 Depth=3
	v_bfe_u32 v4, v26, 24, 3
	v_bfe_u32 v82, v26, 27, 4
	v_ffbh_u32_e32 v5, v4
	v_cmp_eq_u32_e32 vcc_lo, 0, v82
	v_min_u32_e32 v5, 32, v5
	v_subrev_nc_u32_e32 v31, 28, v5
	v_sub_nc_u32_e32 v5, 29, v5
	v_lshlrev_b32_sdwa v31, v31, v26 dst_sel:DWORD dst_unused:UNUSED_PAD src0_sel:DWORD src1_sel:BYTE_3
	v_cndmask_b32_e32 v5, v82, v5, vcc_lo
	v_and_b32_e32 v31, 7, v31
	v_lshl_add_u32 v5, v5, 23, 0x3b800000
	v_cndmask_b32_e32 v4, v4, v31, vcc_lo
	v_and_b32_e32 v31, 0x80000000, v26
	v_lshlrev_b32_e32 v4, 20, v4
	v_or3_b32 v4, v31, v5, v4
.LBB6_11536:                            ;   in Loop: Header=BB6_10551 Depth=3
	s_or_b32 exec_lo, exec_lo, s22
	v_max_f32_e32 v4, v4, v4
	v_max_f32_e32 v1, v1, v1
	s_mov_b32 s16, 0
	v_max_f32_e32 v1, v1, v4
.LBB6_11537:                            ;   in Loop: Header=BB6_10551 Depth=3
	s_and_b32 vcc_lo, exec_lo, s16
	s_cbranch_vccz .LBB6_11551
; %bb.11538:                            ;   in Loop: Header=BB6_10551 Depth=3
	v_cmp_gt_i16_sdwa s22, v34, v61 src0_sel:BYTE_3 src1_sel:DWORD
	s_mov_b32 s16, 0
	s_and_saveexec_b32 s23, s22
	s_xor_b32 s22, exec_lo, s23
	s_cbranch_execz .LBB6_13073
; %bb.11539:                            ;   in Loop: Header=BB6_10551 Depth=3
	v_cmp_eq_u16_sdwa s73, v34, v62 src0_sel:BYTE_3 src1_sel:DWORD
	s_mov_b32 s16, -1
	s_and_saveexec_b32 s23, s73
; %bb.11540:                            ;   in Loop: Header=BB6_10551 Depth=3
	s_xor_b32 s16, exec_lo, -1
; %bb.11541:                            ;   in Loop: Header=BB6_10551 Depth=3
	s_or_b32 exec_lo, exec_lo, s23
	s_and_b32 s16, s16, exec_lo
	s_or_saveexec_b32 s22, s22
	v_mov_b32_e32 v1, 0x7f800001
	s_xor_b32 exec_lo, exec_lo, s22
	s_cbranch_execnz .LBB6_13074
.LBB6_11542:                            ;   in Loop: Header=BB6_10551 Depth=3
	s_or_b32 exec_lo, exec_lo, s22
	s_and_saveexec_b32 s22, s16
	s_cbranch_execz .LBB6_11544
.LBB6_11543:                            ;   in Loop: Header=BB6_10551 Depth=3
	v_bfe_u32 v1, v34, 24, 3
	v_bfe_u32 v31, v34, 27, 4
	v_ffbh_u32_e32 v4, v1
	v_cmp_eq_u32_e32 vcc_lo, 0, v31
	v_min_u32_e32 v4, 32, v4
	v_subrev_nc_u32_e32 v5, 28, v4
	v_sub_nc_u32_e32 v4, 29, v4
	v_lshlrev_b32_sdwa v5, v5, v34 dst_sel:DWORD dst_unused:UNUSED_PAD src0_sel:DWORD src1_sel:BYTE_3
	v_cndmask_b32_e32 v4, v31, v4, vcc_lo
	v_and_b32_e32 v5, 7, v5
	v_lshl_add_u32 v4, v4, 23, 0x3b800000
	v_cndmask_b32_e32 v1, v1, v5, vcc_lo
	v_and_b32_e32 v5, 0x80000000, v34
	v_lshlrev_b32_e32 v1, 20, v1
	v_or3_b32 v1, v5, v4, v1
.LBB6_11544:                            ;   in Loop: Header=BB6_10551 Depth=3
	s_or_b32 exec_lo, exec_lo, s22
	v_cmp_gt_i16_sdwa s22, v26, v61 src0_sel:BYTE_3 src1_sel:DWORD
	s_mov_b32 s16, 0
	s_and_saveexec_b32 s23, s22
	s_xor_b32 s22, exec_lo, s23
	s_cbranch_execz .LBB6_13075
; %bb.11545:                            ;   in Loop: Header=BB6_10551 Depth=3
	v_cmp_eq_u16_sdwa s73, v26, v62 src0_sel:BYTE_3 src1_sel:DWORD
	s_mov_b32 s16, -1
	s_and_saveexec_b32 s23, s73
; %bb.11546:                            ;   in Loop: Header=BB6_10551 Depth=3
	s_xor_b32 s16, exec_lo, -1
; %bb.11547:                            ;   in Loop: Header=BB6_10551 Depth=3
	s_or_b32 exec_lo, exec_lo, s23
	s_and_b32 s16, s16, exec_lo
	s_or_saveexec_b32 s22, s22
	v_mov_b32_e32 v4, 0x7f800001
	s_xor_b32 exec_lo, exec_lo, s22
	s_cbranch_execnz .LBB6_13076
.LBB6_11548:                            ;   in Loop: Header=BB6_10551 Depth=3
	s_or_b32 exec_lo, exec_lo, s22
	s_and_saveexec_b32 s22, s16
	s_cbranch_execz .LBB6_11550
.LBB6_11549:                            ;   in Loop: Header=BB6_10551 Depth=3
	v_bfe_u32 v4, v26, 24, 3
	v_bfe_u32 v34, v26, 27, 4
	v_ffbh_u32_e32 v5, v4
	v_cmp_eq_u32_e32 vcc_lo, 0, v34
	v_min_u32_e32 v5, 32, v5
	v_subrev_nc_u32_e32 v31, 28, v5
	v_sub_nc_u32_e32 v5, 29, v5
	v_lshlrev_b32_sdwa v31, v31, v26 dst_sel:DWORD dst_unused:UNUSED_PAD src0_sel:DWORD src1_sel:BYTE_3
	v_cndmask_b32_e32 v5, v34, v5, vcc_lo
	v_and_b32_e32 v26, 0x80000000, v26
	v_and_b32_e32 v31, 7, v31
	v_lshl_add_u32 v5, v5, 23, 0x3b800000
	v_cndmask_b32_e32 v4, v4, v31, vcc_lo
	v_lshlrev_b32_e32 v4, 20, v4
	v_or3_b32 v4, v26, v5, v4
.LBB6_11550:                            ;   in Loop: Header=BB6_10551 Depth=3
	s_or_b32 exec_lo, exec_lo, s22
	v_max_f32_e32 v4, v4, v4
	v_max_f32_e32 v1, v1, v1
	v_min_f32_e32 v1, v1, v4
.LBB6_11551:                            ;   in Loop: Header=BB6_10551 Depth=3
	v_and_b32_e32 v4, 0x7f800000, v1
	v_mov_b32_e32 v26, 0x8000
	s_mov_b32 s22, exec_lo
	v_cmpx_ne_u32_e32 0x7f800000, v4
	s_cbranch_execz .LBB6_11559
; %bb.11552:                            ;   in Loop: Header=BB6_10551 Depth=3
	v_mov_b32_e32 v26, 0
	s_mov_b32 s23, exec_lo
	v_cmpx_ne_u32_e32 0, v1
	s_cbranch_execz .LBB6_11558
; %bb.11553:                            ;   in Loop: Header=BB6_10551 Depth=3
	v_bfe_u32 v5, v1, 23, 8
	v_and_b32_e32 v4, 0x7fffff, v1
	v_cmp_gt_u32_e64 s16, 0x79, v5
	v_sub_nc_u32_e32 v26, 0x78, v5
	v_cmp_eq_u32_e32 vcc_lo, 0, v5
	v_or_b32_e32 v31, 0x800000, v4
	v_cndmask_b32_e64 v26, 0, v26, s16
	v_cndmask_b32_e32 v4, v31, v4, vcc_lo
	v_cndmask_b32_e64 v26, v26, 0x77, vcc_lo
	v_lshl_add_u32 v31, 0x100000, v26, -1
	v_lshlrev_b32_e64 v34, v26, 0x80000
	v_and_b32_e32 v31, v31, v4
	v_cmp_eq_u32_e64 s16, v31, v34
	v_lshrrev_b32_e32 v31, v26, v4
	v_add_nc_u32_e32 v4, 0xffffff89, v5
	v_lshrrev_b32_e32 v5, 23, v31
	v_cndmask_b32_e64 v4, v4, 0xffffff8a, vcc_lo
	v_xor_b32_e32 v5, 1, v5
	v_add_nc_u32_e32 v4, v26, v4
	v_bfe_u32 v26, v31, 20, 1
	v_add_nc_u32_e32 v26, -1, v26
	v_cndmask_b32_e64 v26, 0, v26, s16
	s_mov_b32 s16, exec_lo
	v_add_nc_u32_e32 v26, v26, v31
	v_and_b32_e32 v26, 0xfffff, v26
	v_add_nc_u32_e32 v26, v26, v31
                                        ; implicit-def: $vgpr31
	v_cmpx_ne_u32_e64 v4, v5
	s_xor_b32 s16, exec_lo, s16
; %bb.11554:                            ;   in Loop: Header=BB6_10551 Depth=3
	v_cmp_lt_u32_e32 vcc_lo, 0xffffff, v26
	v_sub_nc_u32_e32 v4, v4, v5
	v_cndmask_b32_e64 v5, 0, 1, vcc_lo
	v_add_co_ci_u32_e64 v31, null, 0, v4, vcc_lo
	v_lshrrev_b32_e32 v26, v5, v26
; %bb.11555:                            ;   in Loop: Header=BB6_10551 Depth=3
	s_andn2_saveexec_b32 s16, s16
; %bb.11556:                            ;   in Loop: Header=BB6_10551 Depth=3
	v_bfe_u32 v31, v26, 23, 1
; %bb.11557:                            ;   in Loop: Header=BB6_10551 Depth=3
	s_or_b32 exec_lo, exec_lo, s16
	v_lshrrev_b32_e32 v4, 20, v26
	v_min_i32_e32 v5, 15, v31
	v_cmp_gt_i32_e32 vcc_lo, 16, v31
	v_and_b32_sdwa v1, v1, v62 dst_sel:DWORD dst_unused:UNUSED_PAD src0_sel:BYTE_3 src1_sel:DWORD
	v_lshlrev_b32_e32 v5, 3, v5
	v_cndmask_b32_e32 v4, 7, v4, vcc_lo
	v_and_b32_e32 v5, 0xf8, v5
	v_or_b32_e32 v26, v31, v4
	v_and_b32_e32 v4, 7, v4
	v_cmp_ne_u32_e32 vcc_lo, 0, v26
	v_or3_b32 v1, v1, v5, v4
	v_lshlrev_b32_e32 v1, 8, v1
	v_cndmask_b32_e32 v26, 0, v1, vcc_lo
.LBB6_11558:                            ;   in Loop: Header=BB6_10551 Depth=3
	s_or_b32 exec_lo, exec_lo, s23
.LBB6_11559:                            ;   in Loop: Header=BB6_10551 Depth=3
	s_or_b32 exec_lo, exec_lo, s22
	v_cmp_gt_i16_sdwa s23, v35, v61 src0_sel:BYTE_0 src1_sel:DWORD
	s_andn2_b32 vcc_lo, exec_lo, s19
	s_mov_b32 s16, -1
                                        ; implicit-def: $vgpr1
	s_cbranch_vccnz .LBB6_11573
; %bb.11560:                            ;   in Loop: Header=BB6_10551 Depth=3
	s_mov_b32 s22, 0
	s_and_saveexec_b32 s16, s23
	s_xor_b32 s16, exec_lo, s16
	s_cbranch_execz .LBB6_13077
; %bb.11561:                            ;   in Loop: Header=BB6_10551 Depth=3
	v_cmp_eq_u16_sdwa s73, v35, v62 src0_sel:BYTE_0 src1_sel:DWORD
	s_mov_b32 s22, -1
	s_and_saveexec_b32 s23, s73
; %bb.11562:                            ;   in Loop: Header=BB6_10551 Depth=3
	s_xor_b32 s22, exec_lo, -1
; %bb.11563:                            ;   in Loop: Header=BB6_10551 Depth=3
	s_or_b32 exec_lo, exec_lo, s23
	s_and_b32 s22, s22, exec_lo
	s_or_saveexec_b32 s16, s16
	v_mov_b32_e32 v1, 0x7f800001
	s_xor_b32 exec_lo, exec_lo, s16
	s_cbranch_execnz .LBB6_13078
.LBB6_11564:                            ;   in Loop: Header=BB6_10551 Depth=3
	s_or_b32 exec_lo, exec_lo, s16
	s_and_saveexec_b32 s16, s22
	s_cbranch_execz .LBB6_11566
.LBB6_11565:                            ;   in Loop: Header=BB6_10551 Depth=3
	v_and_b32_e32 v1, 7, v35
	v_bfe_u32 v4, v35, 3, 4
	v_ffbh_u32_e32 v5, v1
	v_cmp_eq_u32_e32 vcc_lo, 0, v4
	v_min_u32_e32 v5, 32, v5
	v_subrev_nc_u32_e32 v31, 28, v5
	v_sub_nc_u32_e32 v5, 29, v5
	v_lshlrev_b32_e32 v31, v31, v35
	v_cndmask_b32_e32 v4, v4, v5, vcc_lo
	v_lshlrev_b32_e32 v5, 24, v35
	v_and_b32_e32 v31, 7, v31
	v_lshl_add_u32 v4, v4, 23, 0x3b800000
	v_and_b32_e32 v5, 0x80000000, v5
	v_cndmask_b32_e32 v1, v1, v31, vcc_lo
	v_lshlrev_b32_e32 v1, 20, v1
	v_or3_b32 v1, v5, v4, v1
.LBB6_11566:                            ;   in Loop: Header=BB6_10551 Depth=3
	s_or_b32 exec_lo, exec_lo, s16
	v_cmp_gt_i16_sdwa s16, v27, v61 src0_sel:BYTE_0 src1_sel:DWORD
	s_mov_b32 s22, 0
	s_and_saveexec_b32 s23, s16
	s_xor_b32 s16, exec_lo, s23
	s_cbranch_execz .LBB6_13079
; %bb.11567:                            ;   in Loop: Header=BB6_10551 Depth=3
	v_cmp_eq_u16_sdwa s73, v27, v62 src0_sel:BYTE_0 src1_sel:DWORD
	s_mov_b32 s22, -1
	s_and_saveexec_b32 s23, s73
; %bb.11568:                            ;   in Loop: Header=BB6_10551 Depth=3
	s_xor_b32 s22, exec_lo, -1
; %bb.11569:                            ;   in Loop: Header=BB6_10551 Depth=3
	s_or_b32 exec_lo, exec_lo, s23
	s_and_b32 s22, s22, exec_lo
	s_or_saveexec_b32 s16, s16
	v_mov_b32_e32 v4, 0x7f800001
	s_xor_b32 exec_lo, exec_lo, s16
	s_cbranch_execnz .LBB6_13080
.LBB6_11570:                            ;   in Loop: Header=BB6_10551 Depth=3
	s_or_b32 exec_lo, exec_lo, s16
	s_and_saveexec_b32 s16, s22
	s_cbranch_execz .LBB6_11572
.LBB6_11571:                            ;   in Loop: Header=BB6_10551 Depth=3
	v_and_b32_e32 v4, 7, v27
	v_bfe_u32 v5, v27, 3, 4
	v_ffbh_u32_e32 v31, v4
	v_cmp_eq_u32_e32 vcc_lo, 0, v5
	v_min_u32_e32 v31, 32, v31
	v_subrev_nc_u32_e32 v34, 28, v31
	v_sub_nc_u32_e32 v31, 29, v31
	v_lshlrev_b32_e32 v34, v34, v27
	v_cndmask_b32_e32 v5, v5, v31, vcc_lo
	v_lshlrev_b32_e32 v31, 24, v27
	v_and_b32_e32 v34, 7, v34
	v_lshl_add_u32 v5, v5, 23, 0x3b800000
	v_and_b32_e32 v31, 0x80000000, v31
	v_cndmask_b32_e32 v4, v4, v34, vcc_lo
	v_lshlrev_b32_e32 v4, 20, v4
	v_or3_b32 v4, v31, v5, v4
.LBB6_11572:                            ;   in Loop: Header=BB6_10551 Depth=3
	s_or_b32 exec_lo, exec_lo, s16
	v_max_f32_e32 v4, v4, v4
	v_max_f32_e32 v1, v1, v1
	s_mov_b32 s16, 0
	v_max_f32_e32 v1, v1, v4
.LBB6_11573:                            ;   in Loop: Header=BB6_10551 Depth=3
	s_and_b32 vcc_lo, exec_lo, s16
	s_cbranch_vccz .LBB6_11587
; %bb.11574:                            ;   in Loop: Header=BB6_10551 Depth=3
	v_cmp_gt_i16_sdwa s16, v35, v61 src0_sel:BYTE_0 src1_sel:DWORD
	s_mov_b32 s22, 0
	s_and_saveexec_b32 s23, s16
	s_xor_b32 s16, exec_lo, s23
	s_cbranch_execz .LBB6_13081
; %bb.11575:                            ;   in Loop: Header=BB6_10551 Depth=3
	v_cmp_eq_u16_sdwa s73, v35, v62 src0_sel:BYTE_0 src1_sel:DWORD
	s_mov_b32 s22, -1
	s_and_saveexec_b32 s23, s73
; %bb.11576:                            ;   in Loop: Header=BB6_10551 Depth=3
	s_xor_b32 s22, exec_lo, -1
; %bb.11577:                            ;   in Loop: Header=BB6_10551 Depth=3
	s_or_b32 exec_lo, exec_lo, s23
	s_and_b32 s22, s22, exec_lo
	s_or_saveexec_b32 s16, s16
	v_mov_b32_e32 v1, 0x7f800001
	s_xor_b32 exec_lo, exec_lo, s16
	s_cbranch_execnz .LBB6_13082
.LBB6_11578:                            ;   in Loop: Header=BB6_10551 Depth=3
	s_or_b32 exec_lo, exec_lo, s16
	s_and_saveexec_b32 s16, s22
	s_cbranch_execz .LBB6_11580
.LBB6_11579:                            ;   in Loop: Header=BB6_10551 Depth=3
	v_and_b32_e32 v1, 7, v35
	v_bfe_u32 v4, v35, 3, 4
	v_ffbh_u32_e32 v5, v1
	v_cmp_eq_u32_e32 vcc_lo, 0, v4
	v_min_u32_e32 v5, 32, v5
	v_subrev_nc_u32_e32 v31, 28, v5
	v_sub_nc_u32_e32 v5, 29, v5
	v_lshlrev_b32_e32 v31, v31, v35
	v_cndmask_b32_e32 v4, v4, v5, vcc_lo
	v_lshlrev_b32_e32 v5, 24, v35
	v_and_b32_e32 v31, 7, v31
	v_lshl_add_u32 v4, v4, 23, 0x3b800000
	v_and_b32_e32 v5, 0x80000000, v5
	v_cndmask_b32_e32 v1, v1, v31, vcc_lo
	v_lshlrev_b32_e32 v1, 20, v1
	v_or3_b32 v1, v5, v4, v1
.LBB6_11580:                            ;   in Loop: Header=BB6_10551 Depth=3
	s_or_b32 exec_lo, exec_lo, s16
	v_cmp_gt_i16_sdwa s16, v27, v61 src0_sel:BYTE_0 src1_sel:DWORD
	s_mov_b32 s22, 0
	s_and_saveexec_b32 s23, s16
	s_xor_b32 s16, exec_lo, s23
	s_cbranch_execz .LBB6_13083
; %bb.11581:                            ;   in Loop: Header=BB6_10551 Depth=3
	v_cmp_eq_u16_sdwa s73, v27, v62 src0_sel:BYTE_0 src1_sel:DWORD
	s_mov_b32 s22, -1
	s_and_saveexec_b32 s23, s73
; %bb.11582:                            ;   in Loop: Header=BB6_10551 Depth=3
	s_xor_b32 s22, exec_lo, -1
; %bb.11583:                            ;   in Loop: Header=BB6_10551 Depth=3
	s_or_b32 exec_lo, exec_lo, s23
	s_and_b32 s22, s22, exec_lo
	s_or_saveexec_b32 s16, s16
	v_mov_b32_e32 v4, 0x7f800001
	s_xor_b32 exec_lo, exec_lo, s16
	s_cbranch_execnz .LBB6_13084
.LBB6_11584:                            ;   in Loop: Header=BB6_10551 Depth=3
	s_or_b32 exec_lo, exec_lo, s16
	s_and_saveexec_b32 s16, s22
	s_cbranch_execz .LBB6_11586
.LBB6_11585:                            ;   in Loop: Header=BB6_10551 Depth=3
	v_and_b32_e32 v4, 7, v27
	v_bfe_u32 v5, v27, 3, 4
	v_ffbh_u32_e32 v31, v4
	v_cmp_eq_u32_e32 vcc_lo, 0, v5
	v_min_u32_e32 v31, 32, v31
	v_subrev_nc_u32_e32 v34, 28, v31
	v_sub_nc_u32_e32 v31, 29, v31
	v_lshlrev_b32_e32 v34, v34, v27
	v_cndmask_b32_e32 v5, v5, v31, vcc_lo
	v_lshlrev_b32_e32 v31, 24, v27
	v_and_b32_e32 v34, 7, v34
	v_lshl_add_u32 v5, v5, 23, 0x3b800000
	v_and_b32_e32 v31, 0x80000000, v31
	v_cndmask_b32_e32 v4, v4, v34, vcc_lo
	v_lshlrev_b32_e32 v4, 20, v4
	v_or3_b32 v4, v31, v5, v4
.LBB6_11586:                            ;   in Loop: Header=BB6_10551 Depth=3
	s_or_b32 exec_lo, exec_lo, s16
	v_max_f32_e32 v4, v4, v4
	v_max_f32_e32 v1, v1, v1
	v_min_f32_e32 v1, v1, v4
.LBB6_11587:                            ;   in Loop: Header=BB6_10551 Depth=3
	v_and_b32_e32 v4, 0x7f800000, v1
	v_mov_b32_e32 v34, 0x80
	s_mov_b32 s22, exec_lo
	v_cmpx_ne_u32_e32 0x7f800000, v4
	s_cbranch_execz .LBB6_11595
; %bb.11588:                            ;   in Loop: Header=BB6_10551 Depth=3
	v_mov_b32_e32 v34, 0
	s_mov_b32 s23, exec_lo
	v_cmpx_ne_u32_e32 0, v1
	s_cbranch_execz .LBB6_11594
; %bb.11589:                            ;   in Loop: Header=BB6_10551 Depth=3
	v_bfe_u32 v5, v1, 23, 8
	v_and_b32_e32 v4, 0x7fffff, v1
	v_cmp_gt_u32_e64 s16, 0x79, v5
	v_sub_nc_u32_e32 v31, 0x78, v5
	v_cmp_eq_u32_e32 vcc_lo, 0, v5
	v_or_b32_e32 v34, 0x800000, v4
	v_cndmask_b32_e64 v31, 0, v31, s16
	v_cndmask_b32_e32 v4, v34, v4, vcc_lo
	v_cndmask_b32_e64 v31, v31, 0x77, vcc_lo
	v_lshl_add_u32 v34, 0x100000, v31, -1
	v_lshlrev_b32_e64 v82, v31, 0x80000
	v_and_b32_e32 v34, v34, v4
	v_cmp_eq_u32_e64 s16, v34, v82
	v_lshrrev_b32_e32 v34, v31, v4
	v_add_nc_u32_e32 v4, 0xffffff89, v5
	v_lshrrev_b32_e32 v5, 23, v34
	v_cndmask_b32_e64 v4, v4, 0xffffff8a, vcc_lo
	v_xor_b32_e32 v5, 1, v5
	v_add_nc_u32_e32 v4, v31, v4
	v_bfe_u32 v31, v34, 20, 1
	v_add_nc_u32_e32 v31, -1, v31
	v_cndmask_b32_e64 v31, 0, v31, s16
	s_mov_b32 s16, exec_lo
	v_add_nc_u32_e32 v31, v31, v34
	v_and_b32_e32 v31, 0xfffff, v31
	v_add_nc_u32_e32 v31, v31, v34
                                        ; implicit-def: $vgpr34
	v_cmpx_ne_u32_e64 v4, v5
	s_xor_b32 s16, exec_lo, s16
; %bb.11590:                            ;   in Loop: Header=BB6_10551 Depth=3
	v_cmp_lt_u32_e32 vcc_lo, 0xffffff, v31
	v_sub_nc_u32_e32 v4, v4, v5
	v_cndmask_b32_e64 v5, 0, 1, vcc_lo
	v_add_co_ci_u32_e64 v34, null, 0, v4, vcc_lo
	v_lshrrev_b32_e32 v31, v5, v31
; %bb.11591:                            ;   in Loop: Header=BB6_10551 Depth=3
	s_andn2_saveexec_b32 s16, s16
; %bb.11592:                            ;   in Loop: Header=BB6_10551 Depth=3
	v_bfe_u32 v34, v31, 23, 1
; %bb.11593:                            ;   in Loop: Header=BB6_10551 Depth=3
	s_or_b32 exec_lo, exec_lo, s16
	v_lshrrev_b32_e32 v4, 20, v31
	v_min_i32_e32 v5, 15, v34
	v_cmp_gt_i32_e32 vcc_lo, 16, v34
	v_and_b32_sdwa v1, v1, v62 dst_sel:DWORD dst_unused:UNUSED_PAD src0_sel:BYTE_3 src1_sel:DWORD
	v_lshlrev_b32_e32 v5, 3, v5
	v_cndmask_b32_e32 v4, 7, v4, vcc_lo
	v_and_b32_e32 v5, 0xf8, v5
	v_or_b32_e32 v31, v34, v4
	v_and_b32_e32 v4, 7, v4
	v_cmp_ne_u32_e32 vcc_lo, 0, v31
	v_or3_b32 v1, v5, v1, v4
	v_cndmask_b32_e32 v34, 0, v1, vcc_lo
.LBB6_11594:                            ;   in Loop: Header=BB6_10551 Depth=3
	s_or_b32 exec_lo, exec_lo, s23
.LBB6_11595:                            ;   in Loop: Header=BB6_10551 Depth=3
	s_or_b32 exec_lo, exec_lo, s22
	v_cmp_gt_i16_sdwa s22, v35, v61 src0_sel:BYTE_1 src1_sel:DWORD
	s_andn2_b32 vcc_lo, exec_lo, s19
	s_mov_b32 s16, -1
                                        ; implicit-def: $vgpr1
	s_cbranch_vccnz .LBB6_11609
; %bb.11596:                            ;   in Loop: Header=BB6_10551 Depth=3
	s_mov_b32 s16, 0
	s_and_saveexec_b32 s23, s22
	s_xor_b32 s22, exec_lo, s23
	s_cbranch_execz .LBB6_13085
; %bb.11597:                            ;   in Loop: Header=BB6_10551 Depth=3
	v_cmp_eq_u16_sdwa s73, v35, v62 src0_sel:BYTE_1 src1_sel:DWORD
	s_mov_b32 s16, -1
	s_and_saveexec_b32 s23, s73
; %bb.11598:                            ;   in Loop: Header=BB6_10551 Depth=3
	s_xor_b32 s16, exec_lo, -1
; %bb.11599:                            ;   in Loop: Header=BB6_10551 Depth=3
	s_or_b32 exec_lo, exec_lo, s23
	s_and_b32 s16, s16, exec_lo
	s_or_saveexec_b32 s22, s22
	v_mov_b32_e32 v1, 0x7f800001
	s_xor_b32 exec_lo, exec_lo, s22
	s_cbranch_execnz .LBB6_13086
.LBB6_11600:                            ;   in Loop: Header=BB6_10551 Depth=3
	s_or_b32 exec_lo, exec_lo, s22
	s_and_saveexec_b32 s22, s16
	s_cbranch_execz .LBB6_11602
.LBB6_11601:                            ;   in Loop: Header=BB6_10551 Depth=3
	v_and_b32_sdwa v1, v63, v35 dst_sel:DWORD dst_unused:UNUSED_PAD src0_sel:DWORD src1_sel:BYTE_1
	v_and_b32_e32 v4, 7, v1
	v_bfe_u32 v82, v1, 3, 4
	v_ffbh_u32_e32 v5, v4
	v_cmp_eq_u32_e32 vcc_lo, 0, v82
	v_min_u32_e32 v5, 32, v5
	v_subrev_nc_u32_e32 v31, 28, v5
	v_sub_nc_u32_e32 v5, 29, v5
	v_lshlrev_b32_e32 v1, v31, v1
	v_lshlrev_b32_e32 v31, 16, v35
	v_cndmask_b32_e32 v5, v82, v5, vcc_lo
	v_and_b32_e32 v1, 7, v1
	v_lshl_add_u32 v5, v5, 23, 0x3b800000
	v_cndmask_b32_e32 v1, v4, v1, vcc_lo
	v_and_b32_e32 v4, 0x80000000, v31
	v_lshlrev_b32_e32 v1, 20, v1
	v_or3_b32 v1, v4, v5, v1
.LBB6_11602:                            ;   in Loop: Header=BB6_10551 Depth=3
	s_or_b32 exec_lo, exec_lo, s22
	v_cmp_gt_i16_sdwa s22, v27, v61 src0_sel:BYTE_1 src1_sel:DWORD
	s_mov_b32 s16, 0
	s_and_saveexec_b32 s23, s22
	s_xor_b32 s22, exec_lo, s23
	s_cbranch_execz .LBB6_13087
; %bb.11603:                            ;   in Loop: Header=BB6_10551 Depth=3
	v_cmp_eq_u16_sdwa s73, v27, v62 src0_sel:BYTE_1 src1_sel:DWORD
	s_mov_b32 s16, -1
	s_and_saveexec_b32 s23, s73
; %bb.11604:                            ;   in Loop: Header=BB6_10551 Depth=3
	s_xor_b32 s16, exec_lo, -1
; %bb.11605:                            ;   in Loop: Header=BB6_10551 Depth=3
	s_or_b32 exec_lo, exec_lo, s23
	s_and_b32 s16, s16, exec_lo
	s_or_saveexec_b32 s22, s22
	v_mov_b32_e32 v4, 0x7f800001
	s_xor_b32 exec_lo, exec_lo, s22
	s_cbranch_execnz .LBB6_13088
.LBB6_11606:                            ;   in Loop: Header=BB6_10551 Depth=3
	s_or_b32 exec_lo, exec_lo, s22
	s_and_saveexec_b32 s22, s16
	s_cbranch_execz .LBB6_11608
.LBB6_11607:                            ;   in Loop: Header=BB6_10551 Depth=3
	v_and_b32_sdwa v4, v63, v27 dst_sel:DWORD dst_unused:UNUSED_PAD src0_sel:DWORD src1_sel:BYTE_1
	v_and_b32_e32 v5, 7, v4
	v_bfe_u32 v83, v4, 3, 4
	v_ffbh_u32_e32 v31, v5
	v_cmp_eq_u32_e32 vcc_lo, 0, v83
	v_min_u32_e32 v31, 32, v31
	v_subrev_nc_u32_e32 v82, 28, v31
	v_sub_nc_u32_e32 v31, 29, v31
	v_lshlrev_b32_e32 v4, v82, v4
	v_lshlrev_b32_e32 v82, 16, v27
	v_cndmask_b32_e32 v31, v83, v31, vcc_lo
	v_and_b32_e32 v4, 7, v4
	v_lshl_add_u32 v31, v31, 23, 0x3b800000
	v_cndmask_b32_e32 v4, v5, v4, vcc_lo
	v_and_b32_e32 v5, 0x80000000, v82
	v_lshlrev_b32_e32 v4, 20, v4
	v_or3_b32 v4, v5, v31, v4
.LBB6_11608:                            ;   in Loop: Header=BB6_10551 Depth=3
	s_or_b32 exec_lo, exec_lo, s22
	v_max_f32_e32 v4, v4, v4
	v_max_f32_e32 v1, v1, v1
	s_mov_b32 s16, 0
	v_max_f32_e32 v1, v1, v4
.LBB6_11609:                            ;   in Loop: Header=BB6_10551 Depth=3
	s_and_b32 vcc_lo, exec_lo, s16
	s_cbranch_vccz .LBB6_11623
; %bb.11610:                            ;   in Loop: Header=BB6_10551 Depth=3
	v_cmp_gt_i16_sdwa s22, v35, v61 src0_sel:BYTE_1 src1_sel:DWORD
	s_mov_b32 s16, 0
	s_and_saveexec_b32 s23, s22
	s_xor_b32 s22, exec_lo, s23
	s_cbranch_execz .LBB6_13089
; %bb.11611:                            ;   in Loop: Header=BB6_10551 Depth=3
	v_cmp_eq_u16_sdwa s73, v35, v62 src0_sel:BYTE_1 src1_sel:DWORD
	s_mov_b32 s16, -1
	s_and_saveexec_b32 s23, s73
; %bb.11612:                            ;   in Loop: Header=BB6_10551 Depth=3
	s_xor_b32 s16, exec_lo, -1
; %bb.11613:                            ;   in Loop: Header=BB6_10551 Depth=3
	s_or_b32 exec_lo, exec_lo, s23
	s_and_b32 s16, s16, exec_lo
	s_or_saveexec_b32 s22, s22
	v_mov_b32_e32 v1, 0x7f800001
	s_xor_b32 exec_lo, exec_lo, s22
	s_cbranch_execnz .LBB6_13090
.LBB6_11614:                            ;   in Loop: Header=BB6_10551 Depth=3
	s_or_b32 exec_lo, exec_lo, s22
	s_and_saveexec_b32 s22, s16
	s_cbranch_execz .LBB6_11616
.LBB6_11615:                            ;   in Loop: Header=BB6_10551 Depth=3
	v_and_b32_sdwa v1, v63, v35 dst_sel:DWORD dst_unused:UNUSED_PAD src0_sel:DWORD src1_sel:BYTE_1
	v_and_b32_e32 v4, 7, v1
	v_bfe_u32 v82, v1, 3, 4
	v_ffbh_u32_e32 v5, v4
	v_cmp_eq_u32_e32 vcc_lo, 0, v82
	v_min_u32_e32 v5, 32, v5
	v_subrev_nc_u32_e32 v31, 28, v5
	v_sub_nc_u32_e32 v5, 29, v5
	v_lshlrev_b32_e32 v1, v31, v1
	v_lshlrev_b32_e32 v31, 16, v35
	v_cndmask_b32_e32 v5, v82, v5, vcc_lo
	v_and_b32_e32 v1, 7, v1
	v_lshl_add_u32 v5, v5, 23, 0x3b800000
	v_cndmask_b32_e32 v1, v4, v1, vcc_lo
	v_and_b32_e32 v4, 0x80000000, v31
	v_lshlrev_b32_e32 v1, 20, v1
	v_or3_b32 v1, v4, v5, v1
.LBB6_11616:                            ;   in Loop: Header=BB6_10551 Depth=3
	s_or_b32 exec_lo, exec_lo, s22
	v_cmp_gt_i16_sdwa s22, v27, v61 src0_sel:BYTE_1 src1_sel:DWORD
	s_mov_b32 s16, 0
	s_and_saveexec_b32 s23, s22
	s_xor_b32 s22, exec_lo, s23
	s_cbranch_execz .LBB6_13091
; %bb.11617:                            ;   in Loop: Header=BB6_10551 Depth=3
	v_cmp_eq_u16_sdwa s73, v27, v62 src0_sel:BYTE_1 src1_sel:DWORD
	s_mov_b32 s16, -1
	s_and_saveexec_b32 s23, s73
; %bb.11618:                            ;   in Loop: Header=BB6_10551 Depth=3
	s_xor_b32 s16, exec_lo, -1
; %bb.11619:                            ;   in Loop: Header=BB6_10551 Depth=3
	s_or_b32 exec_lo, exec_lo, s23
	s_and_b32 s16, s16, exec_lo
	s_or_saveexec_b32 s22, s22
	v_mov_b32_e32 v4, 0x7f800001
	s_xor_b32 exec_lo, exec_lo, s22
	s_cbranch_execnz .LBB6_13092
.LBB6_11620:                            ;   in Loop: Header=BB6_10551 Depth=3
	s_or_b32 exec_lo, exec_lo, s22
	s_and_saveexec_b32 s22, s16
	s_cbranch_execz .LBB6_11622
.LBB6_11621:                            ;   in Loop: Header=BB6_10551 Depth=3
	v_and_b32_sdwa v4, v63, v27 dst_sel:DWORD dst_unused:UNUSED_PAD src0_sel:DWORD src1_sel:BYTE_1
	v_and_b32_e32 v5, 7, v4
	v_bfe_u32 v83, v4, 3, 4
	v_ffbh_u32_e32 v31, v5
	v_cmp_eq_u32_e32 vcc_lo, 0, v83
	v_min_u32_e32 v31, 32, v31
	v_subrev_nc_u32_e32 v82, 28, v31
	v_sub_nc_u32_e32 v31, 29, v31
	v_lshlrev_b32_e32 v4, v82, v4
	v_lshlrev_b32_e32 v82, 16, v27
	v_cndmask_b32_e32 v31, v83, v31, vcc_lo
	v_and_b32_e32 v4, 7, v4
	v_lshl_add_u32 v31, v31, 23, 0x3b800000
	v_cndmask_b32_e32 v4, v5, v4, vcc_lo
	v_and_b32_e32 v5, 0x80000000, v82
	v_lshlrev_b32_e32 v4, 20, v4
	v_or3_b32 v4, v5, v31, v4
.LBB6_11622:                            ;   in Loop: Header=BB6_10551 Depth=3
	s_or_b32 exec_lo, exec_lo, s22
	v_max_f32_e32 v4, v4, v4
	v_max_f32_e32 v1, v1, v1
	v_min_f32_e32 v1, v1, v4
.LBB6_11623:                            ;   in Loop: Header=BB6_10551 Depth=3
	v_and_b32_e32 v4, 0x7f800000, v1
	v_mov_b32_e32 v84, 0x8000
	s_mov_b32 s22, exec_lo
	v_cmpx_ne_u32_e32 0x7f800000, v4
	s_cbranch_execz .LBB6_11631
; %bb.11624:                            ;   in Loop: Header=BB6_10551 Depth=3
	v_mov_b32_e32 v84, 0
	s_mov_b32 s23, exec_lo
	v_cmpx_ne_u32_e32 0, v1
	s_cbranch_execz .LBB6_11630
; %bb.11625:                            ;   in Loop: Header=BB6_10551 Depth=3
	v_bfe_u32 v5, v1, 23, 8
	v_and_b32_e32 v4, 0x7fffff, v1
	v_cmp_gt_u32_e64 s16, 0x79, v5
	v_sub_nc_u32_e32 v31, 0x78, v5
	v_cmp_eq_u32_e32 vcc_lo, 0, v5
	v_or_b32_e32 v82, 0x800000, v4
	v_cndmask_b32_e64 v31, 0, v31, s16
	v_cndmask_b32_e32 v4, v82, v4, vcc_lo
	v_cndmask_b32_e64 v31, v31, 0x77, vcc_lo
	v_lshl_add_u32 v82, 0x100000, v31, -1
	v_lshlrev_b32_e64 v83, v31, 0x80000
	v_and_b32_e32 v82, v82, v4
	v_cmp_eq_u32_e64 s16, v82, v83
	v_lshrrev_b32_e32 v82, v31, v4
	v_add_nc_u32_e32 v4, 0xffffff89, v5
	v_lshrrev_b32_e32 v5, 23, v82
	v_cndmask_b32_e64 v4, v4, 0xffffff8a, vcc_lo
	v_xor_b32_e32 v5, 1, v5
	v_add_nc_u32_e32 v4, v31, v4
	v_bfe_u32 v31, v82, 20, 1
	v_add_nc_u32_e32 v31, -1, v31
	v_cndmask_b32_e64 v31, 0, v31, s16
	s_mov_b32 s16, exec_lo
	v_add_nc_u32_e32 v31, v31, v82
	v_and_b32_e32 v31, 0xfffff, v31
	v_add_nc_u32_e32 v31, v31, v82
                                        ; implicit-def: $vgpr82
	v_cmpx_ne_u32_e64 v4, v5
	s_xor_b32 s16, exec_lo, s16
; %bb.11626:                            ;   in Loop: Header=BB6_10551 Depth=3
	v_cmp_lt_u32_e32 vcc_lo, 0xffffff, v31
	v_sub_nc_u32_e32 v4, v4, v5
	v_cndmask_b32_e64 v5, 0, 1, vcc_lo
	v_add_co_ci_u32_e64 v82, null, 0, v4, vcc_lo
	v_lshrrev_b32_e32 v31, v5, v31
; %bb.11627:                            ;   in Loop: Header=BB6_10551 Depth=3
	s_andn2_saveexec_b32 s16, s16
; %bb.11628:                            ;   in Loop: Header=BB6_10551 Depth=3
	v_bfe_u32 v82, v31, 23, 1
; %bb.11629:                            ;   in Loop: Header=BB6_10551 Depth=3
	s_or_b32 exec_lo, exec_lo, s16
	v_lshrrev_b32_e32 v4, 20, v31
	v_min_i32_e32 v5, 15, v82
	v_cmp_gt_i32_e32 vcc_lo, 16, v82
	v_and_b32_sdwa v1, v1, v62 dst_sel:DWORD dst_unused:UNUSED_PAD src0_sel:BYTE_3 src1_sel:DWORD
	v_lshlrev_b32_e32 v5, 3, v5
	v_cndmask_b32_e32 v4, 7, v4, vcc_lo
	v_and_b32_e32 v5, 0xf8, v5
	v_or_b32_e32 v31, v82, v4
	v_and_b32_e32 v4, 7, v4
	v_cmp_ne_u32_e32 vcc_lo, 0, v31
	v_or3_b32 v1, v1, v5, v4
	v_lshlrev_b32_e32 v1, 8, v1
	v_cndmask_b32_e32 v84, 0, v1, vcc_lo
.LBB6_11630:                            ;   in Loop: Header=BB6_10551 Depth=3
	s_or_b32 exec_lo, exec_lo, s23
.LBB6_11631:                            ;   in Loop: Header=BB6_10551 Depth=3
	s_or_b32 exec_lo, exec_lo, s22
	v_and_b32_sdwa v1, v35, v72 dst_sel:DWORD dst_unused:UNUSED_PAD src0_sel:WORD_1 src1_sel:DWORD
	s_andn2_b32 vcc_lo, exec_lo, s19
	s_mov_b32 s22, -1
                                        ; implicit-def: $vgpr4
	v_cmp_lt_i16_e64 s16, 0x7f, v1
	s_cbranch_vccnz .LBB6_11645
; %bb.11632:                            ;   in Loop: Header=BB6_10551 Depth=3
	s_mov_b32 s22, 0
	s_and_saveexec_b32 s23, s16
	s_xor_b32 s16, exec_lo, s23
	s_cbranch_execz .LBB6_13093
; %bb.11633:                            ;   in Loop: Header=BB6_10551 Depth=3
	s_mov_b32 s22, -1
	s_mov_b32 s23, exec_lo
	v_cmpx_eq_u16_e32 0x80, v1
; %bb.11634:                            ;   in Loop: Header=BB6_10551 Depth=3
	s_xor_b32 s22, exec_lo, -1
; %bb.11635:                            ;   in Loop: Header=BB6_10551 Depth=3
	s_or_b32 exec_lo, exec_lo, s23
	s_and_b32 s22, s22, exec_lo
	s_or_saveexec_b32 s16, s16
	v_mov_b32_e32 v4, 0x7f800001
	s_xor_b32 exec_lo, exec_lo, s16
	s_cbranch_execnz .LBB6_13094
.LBB6_11636:                            ;   in Loop: Header=BB6_10551 Depth=3
	s_or_b32 exec_lo, exec_lo, s16
	s_and_saveexec_b32 s16, s22
	s_cbranch_execz .LBB6_11638
.LBB6_11637:                            ;   in Loop: Header=BB6_10551 Depth=3
	v_bfe_u32 v4, v35, 16, 3
	v_bfe_u32 v5, v35, 19, 4
	v_ffbh_u32_e32 v31, v4
	v_cmp_eq_u32_e32 vcc_lo, 0, v5
	v_min_u32_e32 v31, 32, v31
	v_subrev_nc_u32_e32 v82, 28, v31
	v_sub_nc_u32_e32 v31, 29, v31
	v_lshlrev_b32_sdwa v82, v82, v35 dst_sel:DWORD dst_unused:UNUSED_PAD src0_sel:DWORD src1_sel:WORD_1
	v_cndmask_b32_e32 v5, v5, v31, vcc_lo
	v_lshlrev_b32_sdwa v31, v73, v35 dst_sel:DWORD dst_unused:UNUSED_PAD src0_sel:DWORD src1_sel:WORD_1
	v_and_b32_e32 v82, 7, v82
	v_lshl_add_u32 v5, v5, 23, 0x3b800000
	v_and_b32_e32 v31, 0x80000000, v31
	v_cndmask_b32_e32 v4, v4, v82, vcc_lo
	v_lshlrev_b32_e32 v4, 20, v4
	v_or3_b32 v4, v31, v5, v4
.LBB6_11638:                            ;   in Loop: Header=BB6_10551 Depth=3
	s_or_b32 exec_lo, exec_lo, s16
	v_and_b32_sdwa v31, v27, v72 dst_sel:DWORD dst_unused:UNUSED_PAD src0_sel:WORD_1 src1_sel:DWORD
	s_mov_b32 s22, 0
	s_mov_b32 s16, exec_lo
	v_cmpx_lt_i16_e32 0x7f, v31
	s_xor_b32 s16, exec_lo, s16
	s_cbranch_execz .LBB6_13095
; %bb.11639:                            ;   in Loop: Header=BB6_10551 Depth=3
	s_mov_b32 s22, -1
	s_mov_b32 s23, exec_lo
	v_cmpx_eq_u16_e32 0x80, v31
; %bb.11640:                            ;   in Loop: Header=BB6_10551 Depth=3
	s_xor_b32 s22, exec_lo, -1
; %bb.11641:                            ;   in Loop: Header=BB6_10551 Depth=3
	s_or_b32 exec_lo, exec_lo, s23
	s_and_b32 s22, s22, exec_lo
                                        ; implicit-def: $vgpr31
	s_or_saveexec_b32 s16, s16
	v_mov_b32_e32 v5, 0x7f800001
	s_xor_b32 exec_lo, exec_lo, s16
	s_cbranch_execnz .LBB6_13096
.LBB6_11642:                            ;   in Loop: Header=BB6_10551 Depth=3
	s_or_b32 exec_lo, exec_lo, s16
	s_and_saveexec_b32 s16, s22
	s_cbranch_execz .LBB6_11644
.LBB6_11643:                            ;   in Loop: Header=BB6_10551 Depth=3
	v_bfe_u32 v5, v27, 16, 3
	v_bfe_u32 v31, v27, 19, 4
	v_ffbh_u32_e32 v82, v5
	v_cmp_eq_u32_e32 vcc_lo, 0, v31
	v_min_u32_e32 v82, 32, v82
	v_subrev_nc_u32_e32 v83, 28, v82
	v_sub_nc_u32_e32 v82, 29, v82
	v_lshlrev_b32_sdwa v83, v83, v27 dst_sel:DWORD dst_unused:UNUSED_PAD src0_sel:DWORD src1_sel:WORD_1
	v_cndmask_b32_e32 v31, v31, v82, vcc_lo
	v_lshlrev_b32_sdwa v82, v73, v27 dst_sel:DWORD dst_unused:UNUSED_PAD src0_sel:DWORD src1_sel:WORD_1
	v_and_b32_e32 v83, 7, v83
	v_lshl_add_u32 v31, v31, 23, 0x3b800000
	v_and_b32_e32 v82, 0x80000000, v82
	v_cndmask_b32_e32 v5, v5, v83, vcc_lo
	v_lshlrev_b32_e32 v5, 20, v5
	v_or3_b32 v5, v82, v31, v5
.LBB6_11644:                            ;   in Loop: Header=BB6_10551 Depth=3
	s_or_b32 exec_lo, exec_lo, s16
	v_max_f32_e32 v5, v5, v5
	v_max_f32_e32 v4, v4, v4
	s_mov_b32 s22, 0
	v_max_f32_e32 v4, v4, v5
.LBB6_11645:                            ;   in Loop: Header=BB6_10551 Depth=3
	s_and_b32 vcc_lo, exec_lo, s22
	s_cbranch_vccz .LBB6_11659
; %bb.11646:                            ;   in Loop: Header=BB6_10551 Depth=3
	s_mov_b32 s22, 0
	s_mov_b32 s16, exec_lo
	v_cmpx_lt_i16_e32 0x7f, v1
	s_xor_b32 s16, exec_lo, s16
	s_cbranch_execz .LBB6_13097
; %bb.11647:                            ;   in Loop: Header=BB6_10551 Depth=3
	s_mov_b32 s22, -1
	s_mov_b32 s23, exec_lo
	v_cmpx_eq_u16_e32 0x80, v1
; %bb.11648:                            ;   in Loop: Header=BB6_10551 Depth=3
	s_xor_b32 s22, exec_lo, -1
; %bb.11649:                            ;   in Loop: Header=BB6_10551 Depth=3
	s_or_b32 exec_lo, exec_lo, s23
	s_and_b32 s22, s22, exec_lo
                                        ; implicit-def: $vgpr1
	s_or_saveexec_b32 s16, s16
	v_mov_b32_e32 v4, 0x7f800001
	s_xor_b32 exec_lo, exec_lo, s16
	s_cbranch_execnz .LBB6_13098
.LBB6_11650:                            ;   in Loop: Header=BB6_10551 Depth=3
	s_or_b32 exec_lo, exec_lo, s16
	s_and_saveexec_b32 s16, s22
	s_cbranch_execz .LBB6_11652
.LBB6_11651:                            ;   in Loop: Header=BB6_10551 Depth=3
	v_bfe_u32 v1, v35, 16, 3
	v_bfe_u32 v4, v35, 19, 4
	v_ffbh_u32_e32 v5, v1
	v_cmp_eq_u32_e32 vcc_lo, 0, v4
	v_min_u32_e32 v5, 32, v5
	v_subrev_nc_u32_e32 v31, 28, v5
	v_sub_nc_u32_e32 v5, 29, v5
	v_lshlrev_b32_sdwa v31, v31, v35 dst_sel:DWORD dst_unused:UNUSED_PAD src0_sel:DWORD src1_sel:WORD_1
	v_cndmask_b32_e32 v4, v4, v5, vcc_lo
	v_lshlrev_b32_sdwa v5, v73, v35 dst_sel:DWORD dst_unused:UNUSED_PAD src0_sel:DWORD src1_sel:WORD_1
	v_and_b32_e32 v31, 7, v31
	v_lshl_add_u32 v4, v4, 23, 0x3b800000
	v_and_b32_e32 v5, 0x80000000, v5
	v_cndmask_b32_e32 v1, v1, v31, vcc_lo
	v_lshlrev_b32_e32 v1, 20, v1
	v_or3_b32 v4, v5, v4, v1
.LBB6_11652:                            ;   in Loop: Header=BB6_10551 Depth=3
	s_or_b32 exec_lo, exec_lo, s16
	v_and_b32_sdwa v5, v27, v72 dst_sel:DWORD dst_unused:UNUSED_PAD src0_sel:WORD_1 src1_sel:DWORD
	s_mov_b32 s22, 0
	s_mov_b32 s16, exec_lo
	v_cmpx_lt_i16_e32 0x7f, v5
	s_xor_b32 s16, exec_lo, s16
	s_cbranch_execz .LBB6_13099
; %bb.11653:                            ;   in Loop: Header=BB6_10551 Depth=3
	s_mov_b32 s22, -1
	s_mov_b32 s23, exec_lo
	v_cmpx_eq_u16_e32 0x80, v5
; %bb.11654:                            ;   in Loop: Header=BB6_10551 Depth=3
	s_xor_b32 s22, exec_lo, -1
; %bb.11655:                            ;   in Loop: Header=BB6_10551 Depth=3
	s_or_b32 exec_lo, exec_lo, s23
	s_and_b32 s22, s22, exec_lo
                                        ; implicit-def: $vgpr5
	s_or_saveexec_b32 s16, s16
	v_mov_b32_e32 v1, 0x7f800001
	s_xor_b32 exec_lo, exec_lo, s16
	s_cbranch_execnz .LBB6_13100
.LBB6_11656:                            ;   in Loop: Header=BB6_10551 Depth=3
	s_or_b32 exec_lo, exec_lo, s16
	s_and_saveexec_b32 s16, s22
	s_cbranch_execz .LBB6_11658
.LBB6_11657:                            ;   in Loop: Header=BB6_10551 Depth=3
	v_bfe_u32 v1, v27, 16, 3
	v_bfe_u32 v5, v27, 19, 4
	v_ffbh_u32_e32 v31, v1
	v_cmp_eq_u32_e32 vcc_lo, 0, v5
	v_min_u32_e32 v31, 32, v31
	v_subrev_nc_u32_e32 v82, 28, v31
	v_sub_nc_u32_e32 v31, 29, v31
	v_lshlrev_b32_sdwa v82, v82, v27 dst_sel:DWORD dst_unused:UNUSED_PAD src0_sel:DWORD src1_sel:WORD_1
	v_cndmask_b32_e32 v5, v5, v31, vcc_lo
	v_lshlrev_b32_sdwa v31, v73, v27 dst_sel:DWORD dst_unused:UNUSED_PAD src0_sel:DWORD src1_sel:WORD_1
	v_and_b32_e32 v82, 7, v82
	v_lshl_add_u32 v5, v5, 23, 0x3b800000
	v_and_b32_e32 v31, 0x80000000, v31
	v_cndmask_b32_e32 v1, v1, v82, vcc_lo
	v_lshlrev_b32_e32 v1, 20, v1
	v_or3_b32 v1, v31, v5, v1
.LBB6_11658:                            ;   in Loop: Header=BB6_10551 Depth=3
	s_or_b32 exec_lo, exec_lo, s16
	v_max_f32_e32 v1, v1, v1
	v_max_f32_e32 v4, v4, v4
	v_min_f32_e32 v4, v4, v1
.LBB6_11659:                            ;   in Loop: Header=BB6_10551 Depth=3
	v_and_b32_e32 v1, 0x7f800000, v4
	v_mov_b32_e32 v85, 0x80
	s_mov_b32 s22, exec_lo
	v_cmpx_ne_u32_e32 0x7f800000, v1
	s_cbranch_execz .LBB6_11667
; %bb.11660:                            ;   in Loop: Header=BB6_10551 Depth=3
	v_mov_b32_e32 v85, 0
	s_mov_b32 s23, exec_lo
	v_cmpx_ne_u32_e32 0, v4
	s_cbranch_execz .LBB6_11666
; %bb.11661:                            ;   in Loop: Header=BB6_10551 Depth=3
	v_bfe_u32 v5, v4, 23, 8
	v_and_b32_e32 v1, 0x7fffff, v4
	v_cmp_gt_u32_e64 s16, 0x79, v5
	v_sub_nc_u32_e32 v31, 0x78, v5
	v_cmp_eq_u32_e32 vcc_lo, 0, v5
	v_or_b32_e32 v82, 0x800000, v1
	v_cndmask_b32_e64 v31, 0, v31, s16
	v_cndmask_b32_e32 v1, v82, v1, vcc_lo
	v_cndmask_b32_e64 v31, v31, 0x77, vcc_lo
	v_lshl_add_u32 v82, 0x100000, v31, -1
	v_lshlrev_b32_e64 v83, v31, 0x80000
	v_and_b32_e32 v82, v82, v1
	v_cmp_eq_u32_e64 s16, v82, v83
	v_lshrrev_b32_e32 v82, v31, v1
	v_add_nc_u32_e32 v1, 0xffffff89, v5
	v_lshrrev_b32_e32 v5, 23, v82
	v_cndmask_b32_e64 v1, v1, 0xffffff8a, vcc_lo
	v_xor_b32_e32 v5, 1, v5
	v_add_nc_u32_e32 v1, v31, v1
	v_bfe_u32 v31, v82, 20, 1
	v_add_nc_u32_e32 v31, -1, v31
	v_cndmask_b32_e64 v31, 0, v31, s16
	s_mov_b32 s16, exec_lo
	v_add_nc_u32_e32 v31, v31, v82
	v_and_b32_e32 v31, 0xfffff, v31
	v_add_nc_u32_e32 v31, v31, v82
                                        ; implicit-def: $vgpr82
	v_cmpx_ne_u32_e64 v1, v5
	s_xor_b32 s16, exec_lo, s16
; %bb.11662:                            ;   in Loop: Header=BB6_10551 Depth=3
	v_cmp_lt_u32_e32 vcc_lo, 0xffffff, v31
	v_sub_nc_u32_e32 v1, v1, v5
	v_cndmask_b32_e64 v5, 0, 1, vcc_lo
	v_add_co_ci_u32_e64 v82, null, 0, v1, vcc_lo
	v_lshrrev_b32_e32 v31, v5, v31
; %bb.11663:                            ;   in Loop: Header=BB6_10551 Depth=3
	s_andn2_saveexec_b32 s16, s16
; %bb.11664:                            ;   in Loop: Header=BB6_10551 Depth=3
	v_bfe_u32 v82, v31, 23, 1
; %bb.11665:                            ;   in Loop: Header=BB6_10551 Depth=3
	s_or_b32 exec_lo, exec_lo, s16
	v_and_b32_sdwa v1, v4, v62 dst_sel:DWORD dst_unused:UNUSED_PAD src0_sel:BYTE_3 src1_sel:DWORD
	v_lshrrev_b32_e32 v4, 20, v31
	v_min_i32_e32 v5, 15, v82
	v_cmp_gt_i32_e32 vcc_lo, 16, v82
	v_lshlrev_b32_e32 v5, 3, v5
	v_cndmask_b32_e32 v4, 7, v4, vcc_lo
	v_and_b32_e32 v5, 0xf8, v5
	v_or_b32_e32 v31, v82, v4
	v_and_b32_e32 v4, 7, v4
	v_cmp_ne_u32_e32 vcc_lo, 0, v31
	v_or3_b32 v1, v5, v1, v4
	v_cndmask_b32_e32 v85, 0, v1, vcc_lo
.LBB6_11666:                            ;   in Loop: Header=BB6_10551 Depth=3
	s_or_b32 exec_lo, exec_lo, s23
.LBB6_11667:                            ;   in Loop: Header=BB6_10551 Depth=3
	s_or_b32 exec_lo, exec_lo, s22
	v_cmp_gt_i16_sdwa s22, v35, v61 src0_sel:BYTE_3 src1_sel:DWORD
	s_andn2_b32 vcc_lo, exec_lo, s19
	s_mov_b32 s16, -1
                                        ; implicit-def: $vgpr1
	s_cbranch_vccnz .LBB6_11681
; %bb.11668:                            ;   in Loop: Header=BB6_10551 Depth=3
	s_mov_b32 s16, 0
	s_and_saveexec_b32 s23, s22
	s_xor_b32 s22, exec_lo, s23
	s_cbranch_execz .LBB6_13101
; %bb.11669:                            ;   in Loop: Header=BB6_10551 Depth=3
	v_cmp_eq_u16_sdwa s73, v35, v62 src0_sel:BYTE_3 src1_sel:DWORD
	s_mov_b32 s16, -1
	s_and_saveexec_b32 s23, s73
; %bb.11670:                            ;   in Loop: Header=BB6_10551 Depth=3
	s_xor_b32 s16, exec_lo, -1
; %bb.11671:                            ;   in Loop: Header=BB6_10551 Depth=3
	s_or_b32 exec_lo, exec_lo, s23
	s_and_b32 s16, s16, exec_lo
	s_or_saveexec_b32 s22, s22
	v_mov_b32_e32 v1, 0x7f800001
	s_xor_b32 exec_lo, exec_lo, s22
	s_cbranch_execnz .LBB6_13102
.LBB6_11672:                            ;   in Loop: Header=BB6_10551 Depth=3
	s_or_b32 exec_lo, exec_lo, s22
	s_and_saveexec_b32 s22, s16
	s_cbranch_execz .LBB6_11674
.LBB6_11673:                            ;   in Loop: Header=BB6_10551 Depth=3
	v_bfe_u32 v1, v35, 24, 3
	v_bfe_u32 v31, v35, 27, 4
	v_ffbh_u32_e32 v4, v1
	v_cmp_eq_u32_e32 vcc_lo, 0, v31
	v_min_u32_e32 v4, 32, v4
	v_subrev_nc_u32_e32 v5, 28, v4
	v_sub_nc_u32_e32 v4, 29, v4
	v_lshlrev_b32_sdwa v5, v5, v35 dst_sel:DWORD dst_unused:UNUSED_PAD src0_sel:DWORD src1_sel:BYTE_3
	v_cndmask_b32_e32 v4, v31, v4, vcc_lo
	v_and_b32_e32 v5, 7, v5
	v_lshl_add_u32 v4, v4, 23, 0x3b800000
	v_cndmask_b32_e32 v1, v1, v5, vcc_lo
	v_and_b32_e32 v5, 0x80000000, v35
	v_lshlrev_b32_e32 v1, 20, v1
	v_or3_b32 v1, v5, v4, v1
.LBB6_11674:                            ;   in Loop: Header=BB6_10551 Depth=3
	s_or_b32 exec_lo, exec_lo, s22
	v_cmp_gt_i16_sdwa s22, v27, v61 src0_sel:BYTE_3 src1_sel:DWORD
	s_mov_b32 s16, 0
	s_and_saveexec_b32 s23, s22
	s_xor_b32 s22, exec_lo, s23
	s_cbranch_execz .LBB6_13103
; %bb.11675:                            ;   in Loop: Header=BB6_10551 Depth=3
	v_cmp_eq_u16_sdwa s73, v27, v62 src0_sel:BYTE_3 src1_sel:DWORD
	s_mov_b32 s16, -1
	s_and_saveexec_b32 s23, s73
; %bb.11676:                            ;   in Loop: Header=BB6_10551 Depth=3
	s_xor_b32 s16, exec_lo, -1
; %bb.11677:                            ;   in Loop: Header=BB6_10551 Depth=3
	s_or_b32 exec_lo, exec_lo, s23
	s_and_b32 s16, s16, exec_lo
	s_or_saveexec_b32 s22, s22
	v_mov_b32_e32 v4, 0x7f800001
	s_xor_b32 exec_lo, exec_lo, s22
	s_cbranch_execnz .LBB6_13104
.LBB6_11678:                            ;   in Loop: Header=BB6_10551 Depth=3
	s_or_b32 exec_lo, exec_lo, s22
	s_and_saveexec_b32 s22, s16
	s_cbranch_execz .LBB6_11680
.LBB6_11679:                            ;   in Loop: Header=BB6_10551 Depth=3
	v_bfe_u32 v4, v27, 24, 3
	v_bfe_u32 v82, v27, 27, 4
	v_ffbh_u32_e32 v5, v4
	v_cmp_eq_u32_e32 vcc_lo, 0, v82
	v_min_u32_e32 v5, 32, v5
	v_subrev_nc_u32_e32 v31, 28, v5
	v_sub_nc_u32_e32 v5, 29, v5
	v_lshlrev_b32_sdwa v31, v31, v27 dst_sel:DWORD dst_unused:UNUSED_PAD src0_sel:DWORD src1_sel:BYTE_3
	v_cndmask_b32_e32 v5, v82, v5, vcc_lo
	v_and_b32_e32 v31, 7, v31
	v_lshl_add_u32 v5, v5, 23, 0x3b800000
	v_cndmask_b32_e32 v4, v4, v31, vcc_lo
	v_and_b32_e32 v31, 0x80000000, v27
	v_lshlrev_b32_e32 v4, 20, v4
	v_or3_b32 v4, v31, v5, v4
.LBB6_11680:                            ;   in Loop: Header=BB6_10551 Depth=3
	s_or_b32 exec_lo, exec_lo, s22
	v_max_f32_e32 v4, v4, v4
	v_max_f32_e32 v1, v1, v1
	s_mov_b32 s16, 0
	v_max_f32_e32 v1, v1, v4
.LBB6_11681:                            ;   in Loop: Header=BB6_10551 Depth=3
	s_and_b32 vcc_lo, exec_lo, s16
	s_cbranch_vccz .LBB6_11695
; %bb.11682:                            ;   in Loop: Header=BB6_10551 Depth=3
	v_cmp_gt_i16_sdwa s22, v35, v61 src0_sel:BYTE_3 src1_sel:DWORD
	s_mov_b32 s16, 0
	s_and_saveexec_b32 s23, s22
	s_xor_b32 s22, exec_lo, s23
	s_cbranch_execz .LBB6_13105
; %bb.11683:                            ;   in Loop: Header=BB6_10551 Depth=3
	v_cmp_eq_u16_sdwa s73, v35, v62 src0_sel:BYTE_3 src1_sel:DWORD
	s_mov_b32 s16, -1
	s_and_saveexec_b32 s23, s73
; %bb.11684:                            ;   in Loop: Header=BB6_10551 Depth=3
	s_xor_b32 s16, exec_lo, -1
; %bb.11685:                            ;   in Loop: Header=BB6_10551 Depth=3
	s_or_b32 exec_lo, exec_lo, s23
	s_and_b32 s16, s16, exec_lo
	s_or_saveexec_b32 s22, s22
	v_mov_b32_e32 v1, 0x7f800001
	s_xor_b32 exec_lo, exec_lo, s22
	s_cbranch_execnz .LBB6_13106
.LBB6_11686:                            ;   in Loop: Header=BB6_10551 Depth=3
	s_or_b32 exec_lo, exec_lo, s22
	s_and_saveexec_b32 s22, s16
	s_cbranch_execz .LBB6_11688
.LBB6_11687:                            ;   in Loop: Header=BB6_10551 Depth=3
	v_bfe_u32 v1, v35, 24, 3
	v_bfe_u32 v31, v35, 27, 4
	v_ffbh_u32_e32 v4, v1
	v_cmp_eq_u32_e32 vcc_lo, 0, v31
	v_min_u32_e32 v4, 32, v4
	v_subrev_nc_u32_e32 v5, 28, v4
	v_sub_nc_u32_e32 v4, 29, v4
	v_lshlrev_b32_sdwa v5, v5, v35 dst_sel:DWORD dst_unused:UNUSED_PAD src0_sel:DWORD src1_sel:BYTE_3
	v_cndmask_b32_e32 v4, v31, v4, vcc_lo
	v_and_b32_e32 v5, 7, v5
	v_lshl_add_u32 v4, v4, 23, 0x3b800000
	v_cndmask_b32_e32 v1, v1, v5, vcc_lo
	v_and_b32_e32 v5, 0x80000000, v35
	v_lshlrev_b32_e32 v1, 20, v1
	v_or3_b32 v1, v5, v4, v1
.LBB6_11688:                            ;   in Loop: Header=BB6_10551 Depth=3
	s_or_b32 exec_lo, exec_lo, s22
	v_cmp_gt_i16_sdwa s22, v27, v61 src0_sel:BYTE_3 src1_sel:DWORD
	s_mov_b32 s16, 0
	s_and_saveexec_b32 s23, s22
	s_xor_b32 s22, exec_lo, s23
	s_cbranch_execz .LBB6_13107
; %bb.11689:                            ;   in Loop: Header=BB6_10551 Depth=3
	v_cmp_eq_u16_sdwa s73, v27, v62 src0_sel:BYTE_3 src1_sel:DWORD
	s_mov_b32 s16, -1
	s_and_saveexec_b32 s23, s73
; %bb.11690:                            ;   in Loop: Header=BB6_10551 Depth=3
	s_xor_b32 s16, exec_lo, -1
; %bb.11691:                            ;   in Loop: Header=BB6_10551 Depth=3
	s_or_b32 exec_lo, exec_lo, s23
	s_and_b32 s16, s16, exec_lo
	s_or_saveexec_b32 s22, s22
	v_mov_b32_e32 v4, 0x7f800001
	s_xor_b32 exec_lo, exec_lo, s22
	s_cbranch_execnz .LBB6_13108
.LBB6_11692:                            ;   in Loop: Header=BB6_10551 Depth=3
	s_or_b32 exec_lo, exec_lo, s22
	s_and_saveexec_b32 s22, s16
	s_cbranch_execz .LBB6_11694
.LBB6_11693:                            ;   in Loop: Header=BB6_10551 Depth=3
	v_bfe_u32 v4, v27, 24, 3
	v_bfe_u32 v35, v27, 27, 4
	v_ffbh_u32_e32 v5, v4
	v_cmp_eq_u32_e32 vcc_lo, 0, v35
	v_min_u32_e32 v5, 32, v5
	v_subrev_nc_u32_e32 v31, 28, v5
	v_sub_nc_u32_e32 v5, 29, v5
	v_lshlrev_b32_sdwa v31, v31, v27 dst_sel:DWORD dst_unused:UNUSED_PAD src0_sel:DWORD src1_sel:BYTE_3
	v_cndmask_b32_e32 v5, v35, v5, vcc_lo
	v_and_b32_e32 v27, 0x80000000, v27
	v_and_b32_e32 v31, 7, v31
	v_lshl_add_u32 v5, v5, 23, 0x3b800000
	v_cndmask_b32_e32 v4, v4, v31, vcc_lo
	v_lshlrev_b32_e32 v4, 20, v4
	v_or3_b32 v4, v27, v5, v4
.LBB6_11694:                            ;   in Loop: Header=BB6_10551 Depth=3
	s_or_b32 exec_lo, exec_lo, s22
	v_max_f32_e32 v4, v4, v4
	v_max_f32_e32 v1, v1, v1
	v_min_f32_e32 v1, v1, v4
.LBB6_11695:                            ;   in Loop: Header=BB6_10551 Depth=3
	v_and_b32_e32 v4, 0x7f800000, v1
	v_cmp_ne_u32_e32 vcc_lo, 0x7f800000, v4
	v_mov_b32_e32 v4, 0x8000
	s_and_saveexec_b32 s22, vcc_lo
	s_cbranch_execz .LBB6_11703
; %bb.11696:                            ;   in Loop: Header=BB6_10551 Depth=3
	v_mov_b32_e32 v4, 0
	s_mov_b32 s23, exec_lo
	v_cmpx_ne_u32_e32 0, v1
	s_cbranch_execz .LBB6_11702
; %bb.11697:                            ;   in Loop: Header=BB6_10551 Depth=3
	v_bfe_u32 v5, v1, 23, 8
	v_and_b32_e32 v4, 0x7fffff, v1
	v_cmp_gt_u32_e64 s16, 0x79, v5
	v_sub_nc_u32_e32 v27, 0x78, v5
	v_cmp_eq_u32_e32 vcc_lo, 0, v5
	v_or_b32_e32 v31, 0x800000, v4
	v_cndmask_b32_e64 v27, 0, v27, s16
	v_cndmask_b32_e32 v4, v31, v4, vcc_lo
	v_cndmask_b32_e64 v27, v27, 0x77, vcc_lo
	v_lshl_add_u32 v31, 0x100000, v27, -1
	v_lshlrev_b32_e64 v35, v27, 0x80000
	v_and_b32_e32 v31, v31, v4
	v_cmp_eq_u32_e64 s16, v31, v35
	v_lshrrev_b32_e32 v31, v27, v4
	v_add_nc_u32_e32 v4, 0xffffff89, v5
	v_lshrrev_b32_e32 v5, 23, v31
	v_cndmask_b32_e64 v4, v4, 0xffffff8a, vcc_lo
	v_xor_b32_e32 v5, 1, v5
	v_add_nc_u32_e32 v4, v27, v4
	v_bfe_u32 v27, v31, 20, 1
	v_add_nc_u32_e32 v27, -1, v27
	v_cndmask_b32_e64 v27, 0, v27, s16
	s_mov_b32 s16, exec_lo
	v_add_nc_u32_e32 v27, v27, v31
	v_and_b32_e32 v27, 0xfffff, v27
	v_add_nc_u32_e32 v27, v27, v31
                                        ; implicit-def: $vgpr31
	v_cmpx_ne_u32_e64 v4, v5
	s_xor_b32 s16, exec_lo, s16
; %bb.11698:                            ;   in Loop: Header=BB6_10551 Depth=3
	v_cmp_lt_u32_e32 vcc_lo, 0xffffff, v27
	v_sub_nc_u32_e32 v4, v4, v5
	v_cndmask_b32_e64 v5, 0, 1, vcc_lo
	v_add_co_ci_u32_e64 v31, null, 0, v4, vcc_lo
	v_lshrrev_b32_e32 v27, v5, v27
; %bb.11699:                            ;   in Loop: Header=BB6_10551 Depth=3
	s_andn2_saveexec_b32 s16, s16
; %bb.11700:                            ;   in Loop: Header=BB6_10551 Depth=3
	v_bfe_u32 v31, v27, 23, 1
; %bb.11701:                            ;   in Loop: Header=BB6_10551 Depth=3
	s_or_b32 exec_lo, exec_lo, s16
	v_lshrrev_b32_e32 v4, 20, v27
	v_min_i32_e32 v5, 15, v31
	v_cmp_gt_i32_e32 vcc_lo, 16, v31
	v_and_b32_sdwa v1, v1, v62 dst_sel:DWORD dst_unused:UNUSED_PAD src0_sel:BYTE_3 src1_sel:DWORD
	v_lshlrev_b32_e32 v5, 3, v5
	v_cndmask_b32_e32 v4, 7, v4, vcc_lo
	v_and_b32_e32 v5, 0xf8, v5
	v_or_b32_e32 v27, v31, v4
	v_and_b32_e32 v4, 7, v4
	v_cmp_ne_u32_e32 vcc_lo, 0, v27
	v_or3_b32 v1, v1, v5, v4
	v_lshlrev_b32_e32 v1, 8, v1
	v_cndmask_b32_e32 v4, 0, v1, vcc_lo
.LBB6_11702:                            ;   in Loop: Header=BB6_10551 Depth=3
	s_or_b32 exec_lo, exec_lo, s23
.LBB6_11703:                            ;   in Loop: Header=BB6_10551 Depth=3
	s_or_b32 exec_lo, exec_lo, s22
	v_cmp_gt_i16_sdwa s23, v20, v61 src0_sel:BYTE_0 src1_sel:DWORD
	s_andn2_b32 vcc_lo, exec_lo, s19
	s_mov_b32 s16, -1
                                        ; implicit-def: $vgpr1
	s_cbranch_vccnz .LBB6_11717
; %bb.11704:                            ;   in Loop: Header=BB6_10551 Depth=3
	s_mov_b32 s22, 0
	s_and_saveexec_b32 s16, s23
	s_xor_b32 s16, exec_lo, s16
	s_cbranch_execz .LBB6_13109
; %bb.11705:                            ;   in Loop: Header=BB6_10551 Depth=3
	v_cmp_eq_u16_sdwa s73, v20, v62 src0_sel:BYTE_0 src1_sel:DWORD
	s_mov_b32 s22, -1
	s_and_saveexec_b32 s23, s73
; %bb.11706:                            ;   in Loop: Header=BB6_10551 Depth=3
	s_xor_b32 s22, exec_lo, -1
; %bb.11707:                            ;   in Loop: Header=BB6_10551 Depth=3
	s_or_b32 exec_lo, exec_lo, s23
	s_and_b32 s22, s22, exec_lo
	s_or_saveexec_b32 s16, s16
	v_mov_b32_e32 v1, 0x7f800001
	s_xor_b32 exec_lo, exec_lo, s16
	s_cbranch_execnz .LBB6_13110
.LBB6_11708:                            ;   in Loop: Header=BB6_10551 Depth=3
	s_or_b32 exec_lo, exec_lo, s16
	s_and_saveexec_b32 s16, s22
	s_cbranch_execz .LBB6_11710
.LBB6_11709:                            ;   in Loop: Header=BB6_10551 Depth=3
	v_and_b32_e32 v1, 7, v20
	v_bfe_u32 v5, v20, 3, 4
	v_ffbh_u32_e32 v27, v1
	v_cmp_eq_u32_e32 vcc_lo, 0, v5
	v_min_u32_e32 v27, 32, v27
	v_subrev_nc_u32_e32 v31, 28, v27
	v_sub_nc_u32_e32 v27, 29, v27
	v_lshlrev_b32_e32 v31, v31, v20
	v_cndmask_b32_e32 v5, v5, v27, vcc_lo
	v_lshlrev_b32_e32 v27, 24, v20
	v_and_b32_e32 v31, 7, v31
	v_lshl_add_u32 v5, v5, 23, 0x3b800000
	v_and_b32_e32 v27, 0x80000000, v27
	v_cndmask_b32_e32 v1, v1, v31, vcc_lo
	v_lshlrev_b32_e32 v1, 20, v1
	v_or3_b32 v1, v27, v5, v1
.LBB6_11710:                            ;   in Loop: Header=BB6_10551 Depth=3
	s_or_b32 exec_lo, exec_lo, s16
	s_waitcnt vmcnt(1)
	v_cmp_gt_i16_sdwa s16, v16, v61 src0_sel:BYTE_0 src1_sel:DWORD
	s_mov_b32 s22, 0
	s_and_saveexec_b32 s23, s16
	s_xor_b32 s16, exec_lo, s23
	s_cbranch_execz .LBB6_13111
; %bb.11711:                            ;   in Loop: Header=BB6_10551 Depth=3
	v_cmp_eq_u16_sdwa s73, v16, v62 src0_sel:BYTE_0 src1_sel:DWORD
	s_mov_b32 s22, -1
	s_and_saveexec_b32 s23, s73
; %bb.11712:                            ;   in Loop: Header=BB6_10551 Depth=3
	s_xor_b32 s22, exec_lo, -1
; %bb.11713:                            ;   in Loop: Header=BB6_10551 Depth=3
	s_or_b32 exec_lo, exec_lo, s23
	s_and_b32 s22, s22, exec_lo
	s_or_saveexec_b32 s16, s16
	v_mov_b32_e32 v5, 0x7f800001
	s_xor_b32 exec_lo, exec_lo, s16
	s_cbranch_execnz .LBB6_13112
.LBB6_11714:                            ;   in Loop: Header=BB6_10551 Depth=3
	s_or_b32 exec_lo, exec_lo, s16
	s_and_saveexec_b32 s16, s22
	s_cbranch_execz .LBB6_11716
.LBB6_11715:                            ;   in Loop: Header=BB6_10551 Depth=3
	v_and_b32_e32 v5, 7, v16
	v_bfe_u32 v27, v16, 3, 4
	v_ffbh_u32_e32 v31, v5
	v_cmp_eq_u32_e32 vcc_lo, 0, v27
	v_min_u32_e32 v31, 32, v31
	v_subrev_nc_u32_e32 v35, 28, v31
	v_sub_nc_u32_e32 v31, 29, v31
	v_lshlrev_b32_e32 v35, v35, v16
	v_cndmask_b32_e32 v27, v27, v31, vcc_lo
	v_lshlrev_b32_e32 v31, 24, v16
	v_and_b32_e32 v35, 7, v35
	v_lshl_add_u32 v27, v27, 23, 0x3b800000
	v_and_b32_e32 v31, 0x80000000, v31
	v_cndmask_b32_e32 v5, v5, v35, vcc_lo
	v_lshlrev_b32_e32 v5, 20, v5
	v_or3_b32 v5, v31, v27, v5
.LBB6_11716:                            ;   in Loop: Header=BB6_10551 Depth=3
	s_or_b32 exec_lo, exec_lo, s16
	v_max_f32_e32 v5, v5, v5
	v_max_f32_e32 v1, v1, v1
	s_mov_b32 s16, 0
	v_max_f32_e32 v1, v1, v5
.LBB6_11717:                            ;   in Loop: Header=BB6_10551 Depth=3
	s_and_b32 vcc_lo, exec_lo, s16
	s_cbranch_vccz .LBB6_11731
; %bb.11718:                            ;   in Loop: Header=BB6_10551 Depth=3
	v_cmp_gt_i16_sdwa s16, v20, v61 src0_sel:BYTE_0 src1_sel:DWORD
	s_mov_b32 s22, 0
	s_and_saveexec_b32 s23, s16
	s_xor_b32 s16, exec_lo, s23
	s_cbranch_execz .LBB6_13113
; %bb.11719:                            ;   in Loop: Header=BB6_10551 Depth=3
	v_cmp_eq_u16_sdwa s73, v20, v62 src0_sel:BYTE_0 src1_sel:DWORD
	s_mov_b32 s22, -1
	s_and_saveexec_b32 s23, s73
; %bb.11720:                            ;   in Loop: Header=BB6_10551 Depth=3
	s_xor_b32 s22, exec_lo, -1
; %bb.11721:                            ;   in Loop: Header=BB6_10551 Depth=3
	s_or_b32 exec_lo, exec_lo, s23
	s_and_b32 s22, s22, exec_lo
	s_or_saveexec_b32 s16, s16
	v_mov_b32_e32 v1, 0x7f800001
	s_xor_b32 exec_lo, exec_lo, s16
	s_cbranch_execnz .LBB6_13114
.LBB6_11722:                            ;   in Loop: Header=BB6_10551 Depth=3
	s_or_b32 exec_lo, exec_lo, s16
	s_and_saveexec_b32 s16, s22
	s_cbranch_execz .LBB6_11724
.LBB6_11723:                            ;   in Loop: Header=BB6_10551 Depth=3
	v_and_b32_e32 v1, 7, v20
	v_bfe_u32 v5, v20, 3, 4
	v_ffbh_u32_e32 v27, v1
	v_cmp_eq_u32_e32 vcc_lo, 0, v5
	v_min_u32_e32 v27, 32, v27
	v_subrev_nc_u32_e32 v31, 28, v27
	v_sub_nc_u32_e32 v27, 29, v27
	v_lshlrev_b32_e32 v31, v31, v20
	v_cndmask_b32_e32 v5, v5, v27, vcc_lo
	v_lshlrev_b32_e32 v27, 24, v20
	v_and_b32_e32 v31, 7, v31
	v_lshl_add_u32 v5, v5, 23, 0x3b800000
	v_and_b32_e32 v27, 0x80000000, v27
	v_cndmask_b32_e32 v1, v1, v31, vcc_lo
	v_lshlrev_b32_e32 v1, 20, v1
	v_or3_b32 v1, v27, v5, v1
.LBB6_11724:                            ;   in Loop: Header=BB6_10551 Depth=3
	s_or_b32 exec_lo, exec_lo, s16
	s_waitcnt vmcnt(1)
	v_cmp_gt_i16_sdwa s16, v16, v61 src0_sel:BYTE_0 src1_sel:DWORD
	s_mov_b32 s22, 0
	s_and_saveexec_b32 s23, s16
	s_xor_b32 s16, exec_lo, s23
	s_cbranch_execz .LBB6_13115
; %bb.11725:                            ;   in Loop: Header=BB6_10551 Depth=3
	v_cmp_eq_u16_sdwa s73, v16, v62 src0_sel:BYTE_0 src1_sel:DWORD
	s_mov_b32 s22, -1
	s_and_saveexec_b32 s23, s73
; %bb.11726:                            ;   in Loop: Header=BB6_10551 Depth=3
	s_xor_b32 s22, exec_lo, -1
; %bb.11727:                            ;   in Loop: Header=BB6_10551 Depth=3
	s_or_b32 exec_lo, exec_lo, s23
	s_and_b32 s22, s22, exec_lo
	s_or_saveexec_b32 s16, s16
	v_mov_b32_e32 v5, 0x7f800001
	s_xor_b32 exec_lo, exec_lo, s16
	s_cbranch_execnz .LBB6_13116
.LBB6_11728:                            ;   in Loop: Header=BB6_10551 Depth=3
	s_or_b32 exec_lo, exec_lo, s16
	s_and_saveexec_b32 s16, s22
	s_cbranch_execz .LBB6_11730
.LBB6_11729:                            ;   in Loop: Header=BB6_10551 Depth=3
	v_and_b32_e32 v5, 7, v16
	v_bfe_u32 v27, v16, 3, 4
	v_ffbh_u32_e32 v31, v5
	v_cmp_eq_u32_e32 vcc_lo, 0, v27
	v_min_u32_e32 v31, 32, v31
	v_subrev_nc_u32_e32 v35, 28, v31
	v_sub_nc_u32_e32 v31, 29, v31
	v_lshlrev_b32_e32 v35, v35, v16
	v_cndmask_b32_e32 v27, v27, v31, vcc_lo
	v_lshlrev_b32_e32 v31, 24, v16
	v_and_b32_e32 v35, 7, v35
	v_lshl_add_u32 v27, v27, 23, 0x3b800000
	v_and_b32_e32 v31, 0x80000000, v31
	v_cndmask_b32_e32 v5, v5, v35, vcc_lo
	v_lshlrev_b32_e32 v5, 20, v5
	v_or3_b32 v5, v31, v27, v5
.LBB6_11730:                            ;   in Loop: Header=BB6_10551 Depth=3
	s_or_b32 exec_lo, exec_lo, s16
	v_max_f32_e32 v5, v5, v5
	v_max_f32_e32 v1, v1, v1
	v_min_f32_e32 v1, v1, v5
.LBB6_11731:                            ;   in Loop: Header=BB6_10551 Depth=3
	v_and_b32_e32 v5, 0x7f800000, v1
	v_cmp_ne_u32_e32 vcc_lo, 0x7f800000, v5
	v_mov_b32_e32 v5, 0x80
	s_and_saveexec_b32 s22, vcc_lo
	s_cbranch_execz .LBB6_11739
; %bb.11732:                            ;   in Loop: Header=BB6_10551 Depth=3
	v_mov_b32_e32 v5, 0
	s_mov_b32 s23, exec_lo
	v_cmpx_ne_u32_e32 0, v1
	s_cbranch_execz .LBB6_11738
; %bb.11733:                            ;   in Loop: Header=BB6_10551 Depth=3
	v_bfe_u32 v27, v1, 23, 8
	v_and_b32_e32 v5, 0x7fffff, v1
	v_cmp_gt_u32_e64 s16, 0x79, v27
	v_sub_nc_u32_e32 v31, 0x78, v27
	v_cmp_eq_u32_e32 vcc_lo, 0, v27
	v_or_b32_e32 v35, 0x800000, v5
	v_cndmask_b32_e64 v31, 0, v31, s16
	v_cndmask_b32_e32 v5, v35, v5, vcc_lo
	v_cndmask_b32_e64 v31, v31, 0x77, vcc_lo
	v_lshl_add_u32 v35, 0x100000, v31, -1
	v_lshlrev_b32_e64 v82, v31, 0x80000
	v_and_b32_e32 v35, v35, v5
	v_cmp_eq_u32_e64 s16, v35, v82
	v_lshrrev_b32_e32 v35, v31, v5
	v_add_nc_u32_e32 v5, 0xffffff89, v27
	v_lshrrev_b32_e32 v27, 23, v35
	v_cndmask_b32_e64 v5, v5, 0xffffff8a, vcc_lo
	v_xor_b32_e32 v27, 1, v27
	v_add_nc_u32_e32 v5, v31, v5
	v_bfe_u32 v31, v35, 20, 1
	v_add_nc_u32_e32 v31, -1, v31
	v_cndmask_b32_e64 v31, 0, v31, s16
	s_mov_b32 s16, exec_lo
	v_add_nc_u32_e32 v31, v31, v35
	v_and_b32_e32 v31, 0xfffff, v31
	v_add_nc_u32_e32 v31, v31, v35
                                        ; implicit-def: $vgpr35
	v_cmpx_ne_u32_e64 v5, v27
	s_xor_b32 s16, exec_lo, s16
; %bb.11734:                            ;   in Loop: Header=BB6_10551 Depth=3
	v_cmp_lt_u32_e32 vcc_lo, 0xffffff, v31
	v_sub_nc_u32_e32 v5, v5, v27
	v_cndmask_b32_e64 v27, 0, 1, vcc_lo
	v_add_co_ci_u32_e64 v35, null, 0, v5, vcc_lo
	v_lshrrev_b32_e32 v31, v27, v31
; %bb.11735:                            ;   in Loop: Header=BB6_10551 Depth=3
	s_andn2_saveexec_b32 s16, s16
; %bb.11736:                            ;   in Loop: Header=BB6_10551 Depth=3
	v_bfe_u32 v35, v31, 23, 1
; %bb.11737:                            ;   in Loop: Header=BB6_10551 Depth=3
	s_or_b32 exec_lo, exec_lo, s16
	v_lshrrev_b32_e32 v5, 20, v31
	v_min_i32_e32 v27, 15, v35
	v_cmp_gt_i32_e32 vcc_lo, 16, v35
	v_and_b32_sdwa v1, v1, v62 dst_sel:DWORD dst_unused:UNUSED_PAD src0_sel:BYTE_3 src1_sel:DWORD
	v_lshlrev_b32_e32 v27, 3, v27
	v_cndmask_b32_e32 v5, 7, v5, vcc_lo
	v_and_b32_e32 v27, 0xf8, v27
	v_or_b32_e32 v31, v35, v5
	v_and_b32_e32 v5, 7, v5
	v_cmp_ne_u32_e32 vcc_lo, 0, v31
	v_or3_b32 v1, v27, v1, v5
	v_cndmask_b32_e32 v5, 0, v1, vcc_lo
.LBB6_11738:                            ;   in Loop: Header=BB6_10551 Depth=3
	s_or_b32 exec_lo, exec_lo, s23
.LBB6_11739:                            ;   in Loop: Header=BB6_10551 Depth=3
	s_or_b32 exec_lo, exec_lo, s22
	v_cmp_gt_i16_sdwa s22, v20, v61 src0_sel:BYTE_1 src1_sel:DWORD
	s_andn2_b32 vcc_lo, exec_lo, s19
	s_mov_b32 s16, -1
                                        ; implicit-def: $vgpr1
	s_cbranch_vccnz .LBB6_11753
; %bb.11740:                            ;   in Loop: Header=BB6_10551 Depth=3
	s_mov_b32 s16, 0
	s_and_saveexec_b32 s23, s22
	s_xor_b32 s22, exec_lo, s23
	s_cbranch_execz .LBB6_13117
; %bb.11741:                            ;   in Loop: Header=BB6_10551 Depth=3
	v_cmp_eq_u16_sdwa s73, v20, v62 src0_sel:BYTE_1 src1_sel:DWORD
	s_mov_b32 s16, -1
	s_and_saveexec_b32 s23, s73
; %bb.11742:                            ;   in Loop: Header=BB6_10551 Depth=3
	s_xor_b32 s16, exec_lo, -1
; %bb.11743:                            ;   in Loop: Header=BB6_10551 Depth=3
	s_or_b32 exec_lo, exec_lo, s23
	s_and_b32 s16, s16, exec_lo
	s_or_saveexec_b32 s22, s22
	v_mov_b32_e32 v1, 0x7f800001
	s_xor_b32 exec_lo, exec_lo, s22
	s_cbranch_execnz .LBB6_13118
.LBB6_11744:                            ;   in Loop: Header=BB6_10551 Depth=3
	s_or_b32 exec_lo, exec_lo, s22
	s_and_saveexec_b32 s22, s16
	s_cbranch_execz .LBB6_11746
.LBB6_11745:                            ;   in Loop: Header=BB6_10551 Depth=3
	v_and_b32_sdwa v1, v63, v20 dst_sel:DWORD dst_unused:UNUSED_PAD src0_sel:DWORD src1_sel:BYTE_1
	v_and_b32_e32 v27, 7, v1
	v_bfe_u32 v82, v1, 3, 4
	v_ffbh_u32_e32 v31, v27
	v_cmp_eq_u32_e32 vcc_lo, 0, v82
	v_min_u32_e32 v31, 32, v31
	v_subrev_nc_u32_e32 v35, 28, v31
	v_sub_nc_u32_e32 v31, 29, v31
	v_lshlrev_b32_e32 v1, v35, v1
	v_lshlrev_b32_e32 v35, 16, v20
	v_cndmask_b32_e32 v31, v82, v31, vcc_lo
	v_and_b32_e32 v1, 7, v1
	v_lshl_add_u32 v31, v31, 23, 0x3b800000
	v_cndmask_b32_e32 v1, v27, v1, vcc_lo
	v_and_b32_e32 v27, 0x80000000, v35
	v_lshlrev_b32_e32 v1, 20, v1
	v_or3_b32 v1, v27, v31, v1
.LBB6_11746:                            ;   in Loop: Header=BB6_10551 Depth=3
	s_or_b32 exec_lo, exec_lo, s22
	s_waitcnt vmcnt(1)
	v_cmp_gt_i16_sdwa s22, v16, v61 src0_sel:BYTE_1 src1_sel:DWORD
	s_mov_b32 s16, 0
	s_and_saveexec_b32 s23, s22
	s_xor_b32 s22, exec_lo, s23
	s_cbranch_execz .LBB6_13119
; %bb.11747:                            ;   in Loop: Header=BB6_10551 Depth=3
	v_cmp_eq_u16_sdwa s73, v16, v62 src0_sel:BYTE_1 src1_sel:DWORD
	s_mov_b32 s16, -1
	s_and_saveexec_b32 s23, s73
; %bb.11748:                            ;   in Loop: Header=BB6_10551 Depth=3
	s_xor_b32 s16, exec_lo, -1
; %bb.11749:                            ;   in Loop: Header=BB6_10551 Depth=3
	s_or_b32 exec_lo, exec_lo, s23
	s_and_b32 s16, s16, exec_lo
	s_or_saveexec_b32 s22, s22
	v_mov_b32_e32 v27, 0x7f800001
	s_xor_b32 exec_lo, exec_lo, s22
	s_cbranch_execnz .LBB6_13120
.LBB6_11750:                            ;   in Loop: Header=BB6_10551 Depth=3
	s_or_b32 exec_lo, exec_lo, s22
	s_and_saveexec_b32 s22, s16
	s_cbranch_execz .LBB6_11752
.LBB6_11751:                            ;   in Loop: Header=BB6_10551 Depth=3
	v_and_b32_sdwa v27, v63, v16 dst_sel:DWORD dst_unused:UNUSED_PAD src0_sel:DWORD src1_sel:BYTE_1
	v_and_b32_e32 v31, 7, v27
	v_bfe_u32 v83, v27, 3, 4
	v_ffbh_u32_e32 v35, v31
	v_cmp_eq_u32_e32 vcc_lo, 0, v83
	v_min_u32_e32 v35, 32, v35
	v_subrev_nc_u32_e32 v82, 28, v35
	v_sub_nc_u32_e32 v35, 29, v35
	v_lshlrev_b32_e32 v27, v82, v27
	v_lshlrev_b32_e32 v82, 16, v16
	v_cndmask_b32_e32 v35, v83, v35, vcc_lo
	v_and_b32_e32 v27, 7, v27
	v_lshl_add_u32 v35, v35, 23, 0x3b800000
	v_cndmask_b32_e32 v27, v31, v27, vcc_lo
	v_and_b32_e32 v31, 0x80000000, v82
	v_lshlrev_b32_e32 v27, 20, v27
	v_or3_b32 v27, v31, v35, v27
.LBB6_11752:                            ;   in Loop: Header=BB6_10551 Depth=3
	s_or_b32 exec_lo, exec_lo, s22
	v_max_f32_e32 v27, v27, v27
	v_max_f32_e32 v1, v1, v1
	s_mov_b32 s16, 0
	v_max_f32_e32 v1, v1, v27
.LBB6_11753:                            ;   in Loop: Header=BB6_10551 Depth=3
	s_and_b32 vcc_lo, exec_lo, s16
	s_cbranch_vccz .LBB6_11767
; %bb.11754:                            ;   in Loop: Header=BB6_10551 Depth=3
	v_cmp_gt_i16_sdwa s22, v20, v61 src0_sel:BYTE_1 src1_sel:DWORD
	s_mov_b32 s16, 0
	s_and_saveexec_b32 s23, s22
	s_xor_b32 s22, exec_lo, s23
	s_cbranch_execz .LBB6_13121
; %bb.11755:                            ;   in Loop: Header=BB6_10551 Depth=3
	v_cmp_eq_u16_sdwa s73, v20, v62 src0_sel:BYTE_1 src1_sel:DWORD
	s_mov_b32 s16, -1
	s_and_saveexec_b32 s23, s73
; %bb.11756:                            ;   in Loop: Header=BB6_10551 Depth=3
	s_xor_b32 s16, exec_lo, -1
; %bb.11757:                            ;   in Loop: Header=BB6_10551 Depth=3
	s_or_b32 exec_lo, exec_lo, s23
	s_and_b32 s16, s16, exec_lo
	s_or_saveexec_b32 s22, s22
	v_mov_b32_e32 v1, 0x7f800001
	s_xor_b32 exec_lo, exec_lo, s22
	s_cbranch_execnz .LBB6_13122
.LBB6_11758:                            ;   in Loop: Header=BB6_10551 Depth=3
	s_or_b32 exec_lo, exec_lo, s22
	s_and_saveexec_b32 s22, s16
	s_cbranch_execz .LBB6_11760
.LBB6_11759:                            ;   in Loop: Header=BB6_10551 Depth=3
	v_and_b32_sdwa v1, v63, v20 dst_sel:DWORD dst_unused:UNUSED_PAD src0_sel:DWORD src1_sel:BYTE_1
	v_and_b32_e32 v27, 7, v1
	v_bfe_u32 v82, v1, 3, 4
	v_ffbh_u32_e32 v31, v27
	v_cmp_eq_u32_e32 vcc_lo, 0, v82
	v_min_u32_e32 v31, 32, v31
	v_subrev_nc_u32_e32 v35, 28, v31
	v_sub_nc_u32_e32 v31, 29, v31
	v_lshlrev_b32_e32 v1, v35, v1
	v_lshlrev_b32_e32 v35, 16, v20
	v_cndmask_b32_e32 v31, v82, v31, vcc_lo
	v_and_b32_e32 v1, 7, v1
	v_lshl_add_u32 v31, v31, 23, 0x3b800000
	v_cndmask_b32_e32 v1, v27, v1, vcc_lo
	v_and_b32_e32 v27, 0x80000000, v35
	v_lshlrev_b32_e32 v1, 20, v1
	v_or3_b32 v1, v27, v31, v1
.LBB6_11760:                            ;   in Loop: Header=BB6_10551 Depth=3
	s_or_b32 exec_lo, exec_lo, s22
	s_waitcnt vmcnt(1)
	v_cmp_gt_i16_sdwa s22, v16, v61 src0_sel:BYTE_1 src1_sel:DWORD
	s_mov_b32 s16, 0
	s_and_saveexec_b32 s23, s22
	s_xor_b32 s22, exec_lo, s23
	s_cbranch_execz .LBB6_13123
; %bb.11761:                            ;   in Loop: Header=BB6_10551 Depth=3
	v_cmp_eq_u16_sdwa s73, v16, v62 src0_sel:BYTE_1 src1_sel:DWORD
	s_mov_b32 s16, -1
	s_and_saveexec_b32 s23, s73
; %bb.11762:                            ;   in Loop: Header=BB6_10551 Depth=3
	s_xor_b32 s16, exec_lo, -1
; %bb.11763:                            ;   in Loop: Header=BB6_10551 Depth=3
	s_or_b32 exec_lo, exec_lo, s23
	s_and_b32 s16, s16, exec_lo
	s_or_saveexec_b32 s22, s22
	v_mov_b32_e32 v27, 0x7f800001
	s_xor_b32 exec_lo, exec_lo, s22
	s_cbranch_execnz .LBB6_13124
.LBB6_11764:                            ;   in Loop: Header=BB6_10551 Depth=3
	s_or_b32 exec_lo, exec_lo, s22
	s_and_saveexec_b32 s22, s16
	s_cbranch_execz .LBB6_11766
.LBB6_11765:                            ;   in Loop: Header=BB6_10551 Depth=3
	v_and_b32_sdwa v27, v63, v16 dst_sel:DWORD dst_unused:UNUSED_PAD src0_sel:DWORD src1_sel:BYTE_1
	v_and_b32_e32 v31, 7, v27
	v_bfe_u32 v83, v27, 3, 4
	v_ffbh_u32_e32 v35, v31
	v_cmp_eq_u32_e32 vcc_lo, 0, v83
	v_min_u32_e32 v35, 32, v35
	v_subrev_nc_u32_e32 v82, 28, v35
	v_sub_nc_u32_e32 v35, 29, v35
	v_lshlrev_b32_e32 v27, v82, v27
	v_lshlrev_b32_e32 v82, 16, v16
	v_cndmask_b32_e32 v35, v83, v35, vcc_lo
	v_and_b32_e32 v27, 7, v27
	v_lshl_add_u32 v35, v35, 23, 0x3b800000
	v_cndmask_b32_e32 v27, v31, v27, vcc_lo
	v_and_b32_e32 v31, 0x80000000, v82
	v_lshlrev_b32_e32 v27, 20, v27
	v_or3_b32 v27, v31, v35, v27
.LBB6_11766:                            ;   in Loop: Header=BB6_10551 Depth=3
	s_or_b32 exec_lo, exec_lo, s22
	v_max_f32_e32 v27, v27, v27
	v_max_f32_e32 v1, v1, v1
	v_min_f32_e32 v1, v1, v27
.LBB6_11767:                            ;   in Loop: Header=BB6_10551 Depth=3
	v_and_b32_e32 v27, 0x7f800000, v1
	v_cmp_ne_u32_e32 vcc_lo, 0x7f800000, v27
	v_mov_b32_e32 v27, 0x8000
	s_and_saveexec_b32 s22, vcc_lo
	s_cbranch_execz .LBB6_11775
; %bb.11768:                            ;   in Loop: Header=BB6_10551 Depth=3
	v_mov_b32_e32 v27, 0
	s_mov_b32 s23, exec_lo
	v_cmpx_ne_u32_e32 0, v1
	s_cbranch_execz .LBB6_11774
; %bb.11769:                            ;   in Loop: Header=BB6_10551 Depth=3
	v_bfe_u32 v31, v1, 23, 8
	v_and_b32_e32 v27, 0x7fffff, v1
	v_cmp_gt_u32_e64 s16, 0x79, v31
	v_sub_nc_u32_e32 v35, 0x78, v31
	v_cmp_eq_u32_e32 vcc_lo, 0, v31
	v_or_b32_e32 v82, 0x800000, v27
	v_cndmask_b32_e64 v35, 0, v35, s16
	v_cndmask_b32_e32 v27, v82, v27, vcc_lo
	v_cndmask_b32_e64 v35, v35, 0x77, vcc_lo
	v_lshl_add_u32 v82, 0x100000, v35, -1
	v_lshlrev_b32_e64 v83, v35, 0x80000
	v_and_b32_e32 v82, v82, v27
	v_cmp_eq_u32_e64 s16, v82, v83
	v_lshrrev_b32_e32 v82, v35, v27
	v_add_nc_u32_e32 v27, 0xffffff89, v31
	v_lshrrev_b32_e32 v31, 23, v82
	v_cndmask_b32_e64 v27, v27, 0xffffff8a, vcc_lo
	v_xor_b32_e32 v31, 1, v31
	v_add_nc_u32_e32 v27, v35, v27
	v_bfe_u32 v35, v82, 20, 1
	v_add_nc_u32_e32 v35, -1, v35
	v_cndmask_b32_e64 v35, 0, v35, s16
	s_mov_b32 s16, exec_lo
	v_add_nc_u32_e32 v35, v35, v82
	v_and_b32_e32 v35, 0xfffff, v35
	v_add_nc_u32_e32 v35, v35, v82
                                        ; implicit-def: $vgpr82
	v_cmpx_ne_u32_e64 v27, v31
	s_xor_b32 s16, exec_lo, s16
; %bb.11770:                            ;   in Loop: Header=BB6_10551 Depth=3
	v_cmp_lt_u32_e32 vcc_lo, 0xffffff, v35
	v_sub_nc_u32_e32 v27, v27, v31
	v_cndmask_b32_e64 v31, 0, 1, vcc_lo
	v_add_co_ci_u32_e64 v82, null, 0, v27, vcc_lo
	v_lshrrev_b32_e32 v35, v31, v35
; %bb.11771:                            ;   in Loop: Header=BB6_10551 Depth=3
	s_andn2_saveexec_b32 s16, s16
; %bb.11772:                            ;   in Loop: Header=BB6_10551 Depth=3
	v_bfe_u32 v82, v35, 23, 1
; %bb.11773:                            ;   in Loop: Header=BB6_10551 Depth=3
	s_or_b32 exec_lo, exec_lo, s16
	v_lshrrev_b32_e32 v27, 20, v35
	v_min_i32_e32 v31, 15, v82
	v_cmp_gt_i32_e32 vcc_lo, 16, v82
	v_and_b32_sdwa v1, v1, v62 dst_sel:DWORD dst_unused:UNUSED_PAD src0_sel:BYTE_3 src1_sel:DWORD
	v_lshlrev_b32_e32 v31, 3, v31
	v_cndmask_b32_e32 v27, 7, v27, vcc_lo
	v_and_b32_e32 v31, 0xf8, v31
	v_or_b32_e32 v35, v82, v27
	v_and_b32_e32 v27, 7, v27
	v_cmp_ne_u32_e32 vcc_lo, 0, v35
	v_or3_b32 v1, v1, v31, v27
	v_lshlrev_b32_e32 v1, 8, v1
	v_cndmask_b32_e32 v27, 0, v1, vcc_lo
.LBB6_11774:                            ;   in Loop: Header=BB6_10551 Depth=3
	s_or_b32 exec_lo, exec_lo, s23
.LBB6_11775:                            ;   in Loop: Header=BB6_10551 Depth=3
	s_or_b32 exec_lo, exec_lo, s22
	v_and_b32_sdwa v1, v20, v72 dst_sel:DWORD dst_unused:UNUSED_PAD src0_sel:WORD_1 src1_sel:DWORD
	s_andn2_b32 vcc_lo, exec_lo, s19
	s_mov_b32 s22, -1
                                        ; implicit-def: $vgpr31
	v_cmp_lt_i16_e64 s16, 0x7f, v1
	s_cbranch_vccnz .LBB6_11789
; %bb.11776:                            ;   in Loop: Header=BB6_10551 Depth=3
	s_mov_b32 s22, 0
	s_and_saveexec_b32 s23, s16
	s_xor_b32 s16, exec_lo, s23
	s_cbranch_execz .LBB6_13125
; %bb.11777:                            ;   in Loop: Header=BB6_10551 Depth=3
	s_mov_b32 s22, -1
	s_mov_b32 s23, exec_lo
	v_cmpx_eq_u16_e32 0x80, v1
; %bb.11778:                            ;   in Loop: Header=BB6_10551 Depth=3
	s_xor_b32 s22, exec_lo, -1
; %bb.11779:                            ;   in Loop: Header=BB6_10551 Depth=3
	s_or_b32 exec_lo, exec_lo, s23
	s_and_b32 s22, s22, exec_lo
	s_or_saveexec_b32 s16, s16
	v_mov_b32_e32 v31, 0x7f800001
	s_xor_b32 exec_lo, exec_lo, s16
	s_cbranch_execnz .LBB6_13126
.LBB6_11780:                            ;   in Loop: Header=BB6_10551 Depth=3
	s_or_b32 exec_lo, exec_lo, s16
	s_and_saveexec_b32 s16, s22
	s_cbranch_execz .LBB6_11782
.LBB6_11781:                            ;   in Loop: Header=BB6_10551 Depth=3
	v_bfe_u32 v31, v20, 16, 3
	v_bfe_u32 v35, v20, 19, 4
	v_ffbh_u32_e32 v82, v31
	v_cmp_eq_u32_e32 vcc_lo, 0, v35
	v_min_u32_e32 v82, 32, v82
	v_subrev_nc_u32_e32 v83, 28, v82
	v_sub_nc_u32_e32 v82, 29, v82
	v_lshlrev_b32_sdwa v83, v83, v20 dst_sel:DWORD dst_unused:UNUSED_PAD src0_sel:DWORD src1_sel:WORD_1
	v_cndmask_b32_e32 v35, v35, v82, vcc_lo
	v_lshlrev_b32_sdwa v82, v73, v20 dst_sel:DWORD dst_unused:UNUSED_PAD src0_sel:DWORD src1_sel:WORD_1
	v_and_b32_e32 v83, 7, v83
	v_lshl_add_u32 v35, v35, 23, 0x3b800000
	v_and_b32_e32 v82, 0x80000000, v82
	v_cndmask_b32_e32 v31, v31, v83, vcc_lo
	v_lshlrev_b32_e32 v31, 20, v31
	v_or3_b32 v31, v82, v35, v31
.LBB6_11782:                            ;   in Loop: Header=BB6_10551 Depth=3
	s_or_b32 exec_lo, exec_lo, s16
	s_waitcnt vmcnt(1)
	v_and_b32_sdwa v82, v16, v72 dst_sel:DWORD dst_unused:UNUSED_PAD src0_sel:WORD_1 src1_sel:DWORD
	s_mov_b32 s22, 0
	s_mov_b32 s16, exec_lo
	v_cmpx_lt_i16_e32 0x7f, v82
	s_xor_b32 s16, exec_lo, s16
	s_cbranch_execz .LBB6_13127
; %bb.11783:                            ;   in Loop: Header=BB6_10551 Depth=3
	s_mov_b32 s22, -1
	s_mov_b32 s23, exec_lo
	v_cmpx_eq_u16_e32 0x80, v82
; %bb.11784:                            ;   in Loop: Header=BB6_10551 Depth=3
	s_xor_b32 s22, exec_lo, -1
; %bb.11785:                            ;   in Loop: Header=BB6_10551 Depth=3
	s_or_b32 exec_lo, exec_lo, s23
	s_and_b32 s22, s22, exec_lo
                                        ; implicit-def: $vgpr82
	s_or_saveexec_b32 s16, s16
	v_mov_b32_e32 v35, 0x7f800001
	s_xor_b32 exec_lo, exec_lo, s16
	s_cbranch_execnz .LBB6_13128
.LBB6_11786:                            ;   in Loop: Header=BB6_10551 Depth=3
	s_or_b32 exec_lo, exec_lo, s16
	s_and_saveexec_b32 s16, s22
	s_cbranch_execz .LBB6_11788
.LBB6_11787:                            ;   in Loop: Header=BB6_10551 Depth=3
	v_bfe_u32 v35, v16, 16, 3
	v_bfe_u32 v82, v16, 19, 4
	v_ffbh_u32_e32 v83, v35
	v_cmp_eq_u32_e32 vcc_lo, 0, v82
	v_min_u32_e32 v83, 32, v83
	v_subrev_nc_u32_e32 v86, 28, v83
	v_sub_nc_u32_e32 v83, 29, v83
	v_lshlrev_b32_sdwa v86, v86, v16 dst_sel:DWORD dst_unused:UNUSED_PAD src0_sel:DWORD src1_sel:WORD_1
	v_cndmask_b32_e32 v82, v82, v83, vcc_lo
	v_lshlrev_b32_sdwa v83, v73, v16 dst_sel:DWORD dst_unused:UNUSED_PAD src0_sel:DWORD src1_sel:WORD_1
	v_and_b32_e32 v86, 7, v86
	v_lshl_add_u32 v82, v82, 23, 0x3b800000
	v_and_b32_e32 v83, 0x80000000, v83
	v_cndmask_b32_e32 v35, v35, v86, vcc_lo
	v_lshlrev_b32_e32 v35, 20, v35
	v_or3_b32 v35, v83, v82, v35
.LBB6_11788:                            ;   in Loop: Header=BB6_10551 Depth=3
	s_or_b32 exec_lo, exec_lo, s16
	v_max_f32_e32 v35, v35, v35
	v_max_f32_e32 v31, v31, v31
	s_mov_b32 s22, 0
	v_max_f32_e32 v31, v31, v35
.LBB6_11789:                            ;   in Loop: Header=BB6_10551 Depth=3
	s_and_b32 vcc_lo, exec_lo, s22
	s_cbranch_vccz .LBB6_11803
; %bb.11790:                            ;   in Loop: Header=BB6_10551 Depth=3
	s_mov_b32 s22, 0
	s_mov_b32 s16, exec_lo
	v_cmpx_lt_i16_e32 0x7f, v1
	s_xor_b32 s16, exec_lo, s16
	s_cbranch_execz .LBB6_13129
; %bb.11791:                            ;   in Loop: Header=BB6_10551 Depth=3
	s_mov_b32 s22, -1
	s_mov_b32 s23, exec_lo
	v_cmpx_eq_u16_e32 0x80, v1
; %bb.11792:                            ;   in Loop: Header=BB6_10551 Depth=3
	s_xor_b32 s22, exec_lo, -1
; %bb.11793:                            ;   in Loop: Header=BB6_10551 Depth=3
	s_or_b32 exec_lo, exec_lo, s23
	s_and_b32 s22, s22, exec_lo
                                        ; implicit-def: $vgpr1
	s_or_saveexec_b32 s16, s16
	v_mov_b32_e32 v31, 0x7f800001
	s_xor_b32 exec_lo, exec_lo, s16
	s_cbranch_execnz .LBB6_13130
.LBB6_11794:                            ;   in Loop: Header=BB6_10551 Depth=3
	s_or_b32 exec_lo, exec_lo, s16
	s_and_saveexec_b32 s16, s22
	s_cbranch_execz .LBB6_11796
.LBB6_11795:                            ;   in Loop: Header=BB6_10551 Depth=3
	v_bfe_u32 v1, v20, 16, 3
	v_bfe_u32 v31, v20, 19, 4
	v_ffbh_u32_e32 v35, v1
	v_cmp_eq_u32_e32 vcc_lo, 0, v31
	v_min_u32_e32 v35, 32, v35
	v_subrev_nc_u32_e32 v82, 28, v35
	v_sub_nc_u32_e32 v35, 29, v35
	v_lshlrev_b32_sdwa v82, v82, v20 dst_sel:DWORD dst_unused:UNUSED_PAD src0_sel:DWORD src1_sel:WORD_1
	v_cndmask_b32_e32 v31, v31, v35, vcc_lo
	v_lshlrev_b32_sdwa v35, v73, v20 dst_sel:DWORD dst_unused:UNUSED_PAD src0_sel:DWORD src1_sel:WORD_1
	v_and_b32_e32 v82, 7, v82
	v_lshl_add_u32 v31, v31, 23, 0x3b800000
	v_and_b32_e32 v35, 0x80000000, v35
	v_cndmask_b32_e32 v1, v1, v82, vcc_lo
	v_lshlrev_b32_e32 v1, 20, v1
	v_or3_b32 v31, v35, v31, v1
.LBB6_11796:                            ;   in Loop: Header=BB6_10551 Depth=3
	s_or_b32 exec_lo, exec_lo, s16
	s_waitcnt vmcnt(1)
	v_and_b32_sdwa v35, v16, v72 dst_sel:DWORD dst_unused:UNUSED_PAD src0_sel:WORD_1 src1_sel:DWORD
	s_mov_b32 s22, 0
	s_mov_b32 s16, exec_lo
	v_cmpx_lt_i16_e32 0x7f, v35
	s_xor_b32 s16, exec_lo, s16
	s_cbranch_execz .LBB6_13131
; %bb.11797:                            ;   in Loop: Header=BB6_10551 Depth=3
	s_mov_b32 s22, -1
	s_mov_b32 s23, exec_lo
	v_cmpx_eq_u16_e32 0x80, v35
; %bb.11798:                            ;   in Loop: Header=BB6_10551 Depth=3
	s_xor_b32 s22, exec_lo, -1
; %bb.11799:                            ;   in Loop: Header=BB6_10551 Depth=3
	s_or_b32 exec_lo, exec_lo, s23
	s_and_b32 s22, s22, exec_lo
                                        ; implicit-def: $vgpr35
	s_or_saveexec_b32 s16, s16
	v_mov_b32_e32 v1, 0x7f800001
	s_xor_b32 exec_lo, exec_lo, s16
	s_cbranch_execnz .LBB6_13132
.LBB6_11800:                            ;   in Loop: Header=BB6_10551 Depth=3
	s_or_b32 exec_lo, exec_lo, s16
	s_and_saveexec_b32 s16, s22
	s_cbranch_execz .LBB6_11802
.LBB6_11801:                            ;   in Loop: Header=BB6_10551 Depth=3
	v_bfe_u32 v1, v16, 16, 3
	v_bfe_u32 v35, v16, 19, 4
	v_ffbh_u32_e32 v82, v1
	v_cmp_eq_u32_e32 vcc_lo, 0, v35
	v_min_u32_e32 v82, 32, v82
	v_subrev_nc_u32_e32 v83, 28, v82
	v_sub_nc_u32_e32 v82, 29, v82
	v_lshlrev_b32_sdwa v83, v83, v16 dst_sel:DWORD dst_unused:UNUSED_PAD src0_sel:DWORD src1_sel:WORD_1
	v_cndmask_b32_e32 v35, v35, v82, vcc_lo
	v_lshlrev_b32_sdwa v82, v73, v16 dst_sel:DWORD dst_unused:UNUSED_PAD src0_sel:DWORD src1_sel:WORD_1
	v_and_b32_e32 v83, 7, v83
	v_lshl_add_u32 v35, v35, 23, 0x3b800000
	v_and_b32_e32 v82, 0x80000000, v82
	v_cndmask_b32_e32 v1, v1, v83, vcc_lo
	v_lshlrev_b32_e32 v1, 20, v1
	v_or3_b32 v1, v82, v35, v1
.LBB6_11802:                            ;   in Loop: Header=BB6_10551 Depth=3
	s_or_b32 exec_lo, exec_lo, s16
	v_max_f32_e32 v1, v1, v1
	v_max_f32_e32 v31, v31, v31
	v_min_f32_e32 v31, v31, v1
.LBB6_11803:                            ;   in Loop: Header=BB6_10551 Depth=3
	v_and_b32_e32 v1, 0x7f800000, v31
	v_mov_b32_e32 v35, 0x80
	s_mov_b32 s22, exec_lo
	v_cmpx_ne_u32_e32 0x7f800000, v1
	s_cbranch_execz .LBB6_11811
; %bb.11804:                            ;   in Loop: Header=BB6_10551 Depth=3
	v_mov_b32_e32 v35, 0
	s_mov_b32 s23, exec_lo
	v_cmpx_ne_u32_e32 0, v31
	s_cbranch_execz .LBB6_11810
; %bb.11805:                            ;   in Loop: Header=BB6_10551 Depth=3
	v_bfe_u32 v35, v31, 23, 8
	v_and_b32_e32 v1, 0x7fffff, v31
	v_cmp_gt_u32_e64 s16, 0x79, v35
	v_sub_nc_u32_e32 v82, 0x78, v35
	v_cmp_eq_u32_e32 vcc_lo, 0, v35
	v_or_b32_e32 v83, 0x800000, v1
	v_cndmask_b32_e64 v82, 0, v82, s16
	v_cndmask_b32_e32 v1, v83, v1, vcc_lo
	v_cndmask_b32_e64 v82, v82, 0x77, vcc_lo
	v_lshl_add_u32 v83, 0x100000, v82, -1
	v_lshlrev_b32_e64 v86, v82, 0x80000
	v_and_b32_e32 v83, v83, v1
	v_cmp_eq_u32_e64 s16, v83, v86
	v_lshrrev_b32_e32 v83, v82, v1
	v_add_nc_u32_e32 v1, 0xffffff89, v35
	v_lshrrev_b32_e32 v35, 23, v83
	v_cndmask_b32_e64 v1, v1, 0xffffff8a, vcc_lo
	v_xor_b32_e32 v35, 1, v35
	v_add_nc_u32_e32 v1, v82, v1
	v_bfe_u32 v82, v83, 20, 1
	v_add_nc_u32_e32 v82, -1, v82
	v_cndmask_b32_e64 v82, 0, v82, s16
	s_mov_b32 s16, exec_lo
	v_add_nc_u32_e32 v82, v82, v83
	v_and_b32_e32 v82, 0xfffff, v82
	v_add_nc_u32_e32 v82, v82, v83
                                        ; implicit-def: $vgpr83
	v_cmpx_ne_u32_e64 v1, v35
	s_xor_b32 s16, exec_lo, s16
; %bb.11806:                            ;   in Loop: Header=BB6_10551 Depth=3
	v_cmp_lt_u32_e32 vcc_lo, 0xffffff, v82
	v_sub_nc_u32_e32 v1, v1, v35
	v_cndmask_b32_e64 v35, 0, 1, vcc_lo
	v_add_co_ci_u32_e64 v83, null, 0, v1, vcc_lo
	v_lshrrev_b32_e32 v82, v35, v82
; %bb.11807:                            ;   in Loop: Header=BB6_10551 Depth=3
	s_andn2_saveexec_b32 s16, s16
; %bb.11808:                            ;   in Loop: Header=BB6_10551 Depth=3
	v_bfe_u32 v83, v82, 23, 1
; %bb.11809:                            ;   in Loop: Header=BB6_10551 Depth=3
	s_or_b32 exec_lo, exec_lo, s16
	v_and_b32_sdwa v1, v31, v62 dst_sel:DWORD dst_unused:UNUSED_PAD src0_sel:BYTE_3 src1_sel:DWORD
	v_lshrrev_b32_e32 v31, 20, v82
	v_min_i32_e32 v35, 15, v83
	v_cmp_gt_i32_e32 vcc_lo, 16, v83
	v_lshlrev_b32_e32 v35, 3, v35
	v_cndmask_b32_e32 v31, 7, v31, vcc_lo
	v_and_b32_e32 v35, 0xf8, v35
	v_or_b32_e32 v82, v83, v31
	v_and_b32_e32 v31, 7, v31
	v_cmp_ne_u32_e32 vcc_lo, 0, v82
	v_or3_b32 v1, v35, v1, v31
	v_cndmask_b32_e32 v35, 0, v1, vcc_lo
.LBB6_11810:                            ;   in Loop: Header=BB6_10551 Depth=3
	s_or_b32 exec_lo, exec_lo, s23
.LBB6_11811:                            ;   in Loop: Header=BB6_10551 Depth=3
	s_or_b32 exec_lo, exec_lo, s22
	v_cmp_gt_i16_sdwa s22, v20, v61 src0_sel:BYTE_3 src1_sel:DWORD
	s_andn2_b32 vcc_lo, exec_lo, s19
	s_mov_b32 s16, -1
                                        ; implicit-def: $vgpr1
	s_cbranch_vccnz .LBB6_11825
; %bb.11812:                            ;   in Loop: Header=BB6_10551 Depth=3
	s_mov_b32 s16, 0
	s_and_saveexec_b32 s23, s22
	s_xor_b32 s22, exec_lo, s23
	s_cbranch_execz .LBB6_13133
; %bb.11813:                            ;   in Loop: Header=BB6_10551 Depth=3
	v_cmp_eq_u16_sdwa s73, v20, v62 src0_sel:BYTE_3 src1_sel:DWORD
	s_mov_b32 s16, -1
	s_and_saveexec_b32 s23, s73
; %bb.11814:                            ;   in Loop: Header=BB6_10551 Depth=3
	s_xor_b32 s16, exec_lo, -1
; %bb.11815:                            ;   in Loop: Header=BB6_10551 Depth=3
	s_or_b32 exec_lo, exec_lo, s23
	s_and_b32 s16, s16, exec_lo
	s_or_saveexec_b32 s22, s22
	v_mov_b32_e32 v1, 0x7f800001
	s_xor_b32 exec_lo, exec_lo, s22
	s_cbranch_execnz .LBB6_13134
.LBB6_11816:                            ;   in Loop: Header=BB6_10551 Depth=3
	s_or_b32 exec_lo, exec_lo, s22
	s_and_saveexec_b32 s22, s16
	s_cbranch_execz .LBB6_11818
.LBB6_11817:                            ;   in Loop: Header=BB6_10551 Depth=3
	v_bfe_u32 v1, v20, 24, 3
	v_bfe_u32 v83, v20, 27, 4
	v_ffbh_u32_e32 v31, v1
	v_cmp_eq_u32_e32 vcc_lo, 0, v83
	v_min_u32_e32 v31, 32, v31
	v_subrev_nc_u32_e32 v82, 28, v31
	v_sub_nc_u32_e32 v31, 29, v31
	v_lshlrev_b32_sdwa v82, v82, v20 dst_sel:DWORD dst_unused:UNUSED_PAD src0_sel:DWORD src1_sel:BYTE_3
	v_cndmask_b32_e32 v31, v83, v31, vcc_lo
	v_and_b32_e32 v82, 7, v82
	v_lshl_add_u32 v31, v31, 23, 0x3b800000
	v_cndmask_b32_e32 v1, v1, v82, vcc_lo
	v_and_b32_e32 v82, 0x80000000, v20
	v_lshlrev_b32_e32 v1, 20, v1
	v_or3_b32 v1, v82, v31, v1
.LBB6_11818:                            ;   in Loop: Header=BB6_10551 Depth=3
	s_or_b32 exec_lo, exec_lo, s22
	s_waitcnt vmcnt(1)
	v_cmp_gt_i16_sdwa s22, v16, v61 src0_sel:BYTE_3 src1_sel:DWORD
	s_mov_b32 s16, 0
	s_and_saveexec_b32 s23, s22
	s_xor_b32 s22, exec_lo, s23
	s_cbranch_execz .LBB6_13135
; %bb.11819:                            ;   in Loop: Header=BB6_10551 Depth=3
	v_cmp_eq_u16_sdwa s73, v16, v62 src0_sel:BYTE_3 src1_sel:DWORD
	s_mov_b32 s16, -1
	s_and_saveexec_b32 s23, s73
; %bb.11820:                            ;   in Loop: Header=BB6_10551 Depth=3
	s_xor_b32 s16, exec_lo, -1
; %bb.11821:                            ;   in Loop: Header=BB6_10551 Depth=3
	s_or_b32 exec_lo, exec_lo, s23
	s_and_b32 s16, s16, exec_lo
	s_or_saveexec_b32 s22, s22
	v_mov_b32_e32 v31, 0x7f800001
	s_xor_b32 exec_lo, exec_lo, s22
	s_cbranch_execnz .LBB6_13136
.LBB6_11822:                            ;   in Loop: Header=BB6_10551 Depth=3
	s_or_b32 exec_lo, exec_lo, s22
	s_and_saveexec_b32 s22, s16
	s_cbranch_execz .LBB6_11824
.LBB6_11823:                            ;   in Loop: Header=BB6_10551 Depth=3
	v_bfe_u32 v31, v16, 24, 3
	v_bfe_u32 v86, v16, 27, 4
	v_ffbh_u32_e32 v82, v31
	v_cmp_eq_u32_e32 vcc_lo, 0, v86
	v_min_u32_e32 v82, 32, v82
	v_subrev_nc_u32_e32 v83, 28, v82
	v_sub_nc_u32_e32 v82, 29, v82
	v_lshlrev_b32_sdwa v83, v83, v16 dst_sel:DWORD dst_unused:UNUSED_PAD src0_sel:DWORD src1_sel:BYTE_3
	v_cndmask_b32_e32 v82, v86, v82, vcc_lo
	v_and_b32_e32 v83, 7, v83
	v_lshl_add_u32 v82, v82, 23, 0x3b800000
	v_cndmask_b32_e32 v31, v31, v83, vcc_lo
	v_and_b32_e32 v83, 0x80000000, v16
	v_lshlrev_b32_e32 v31, 20, v31
	v_or3_b32 v31, v83, v82, v31
.LBB6_11824:                            ;   in Loop: Header=BB6_10551 Depth=3
	s_or_b32 exec_lo, exec_lo, s22
	v_max_f32_e32 v31, v31, v31
	v_max_f32_e32 v1, v1, v1
	s_mov_b32 s16, 0
	v_max_f32_e32 v1, v1, v31
.LBB6_11825:                            ;   in Loop: Header=BB6_10551 Depth=3
	s_and_b32 vcc_lo, exec_lo, s16
	s_cbranch_vccz .LBB6_11839
; %bb.11826:                            ;   in Loop: Header=BB6_10551 Depth=3
	v_cmp_gt_i16_sdwa s22, v20, v61 src0_sel:BYTE_3 src1_sel:DWORD
	s_mov_b32 s16, 0
	s_and_saveexec_b32 s23, s22
	s_xor_b32 s22, exec_lo, s23
	s_cbranch_execz .LBB6_13137
; %bb.11827:                            ;   in Loop: Header=BB6_10551 Depth=3
	v_cmp_eq_u16_sdwa s73, v20, v62 src0_sel:BYTE_3 src1_sel:DWORD
	s_mov_b32 s16, -1
	s_and_saveexec_b32 s23, s73
; %bb.11828:                            ;   in Loop: Header=BB6_10551 Depth=3
	s_xor_b32 s16, exec_lo, -1
; %bb.11829:                            ;   in Loop: Header=BB6_10551 Depth=3
	s_or_b32 exec_lo, exec_lo, s23
	s_and_b32 s16, s16, exec_lo
	s_or_saveexec_b32 s22, s22
	v_mov_b32_e32 v1, 0x7f800001
	s_xor_b32 exec_lo, exec_lo, s22
	s_cbranch_execnz .LBB6_13138
.LBB6_11830:                            ;   in Loop: Header=BB6_10551 Depth=3
	s_or_b32 exec_lo, exec_lo, s22
	s_and_saveexec_b32 s22, s16
	s_cbranch_execz .LBB6_11832
.LBB6_11831:                            ;   in Loop: Header=BB6_10551 Depth=3
	v_bfe_u32 v1, v20, 24, 3
	v_bfe_u32 v83, v20, 27, 4
	v_ffbh_u32_e32 v31, v1
	v_cmp_eq_u32_e32 vcc_lo, 0, v83
	v_min_u32_e32 v31, 32, v31
	v_subrev_nc_u32_e32 v82, 28, v31
	v_sub_nc_u32_e32 v31, 29, v31
	v_lshlrev_b32_sdwa v82, v82, v20 dst_sel:DWORD dst_unused:UNUSED_PAD src0_sel:DWORD src1_sel:BYTE_3
	v_cndmask_b32_e32 v31, v83, v31, vcc_lo
	v_and_b32_e32 v20, 0x80000000, v20
	v_and_b32_e32 v82, 7, v82
	v_lshl_add_u32 v31, v31, 23, 0x3b800000
	v_cndmask_b32_e32 v1, v1, v82, vcc_lo
	v_lshlrev_b32_e32 v1, 20, v1
	v_or3_b32 v1, v20, v31, v1
.LBB6_11832:                            ;   in Loop: Header=BB6_10551 Depth=3
	s_or_b32 exec_lo, exec_lo, s22
	s_waitcnt vmcnt(1)
	v_cmp_gt_i16_sdwa s22, v16, v61 src0_sel:BYTE_3 src1_sel:DWORD
	s_mov_b32 s16, 0
	s_and_saveexec_b32 s23, s22
	s_xor_b32 s22, exec_lo, s23
	s_cbranch_execz .LBB6_13139
; %bb.11833:                            ;   in Loop: Header=BB6_10551 Depth=3
	v_cmp_eq_u16_sdwa s73, v16, v62 src0_sel:BYTE_3 src1_sel:DWORD
	s_mov_b32 s16, -1
	s_and_saveexec_b32 s23, s73
; %bb.11834:                            ;   in Loop: Header=BB6_10551 Depth=3
	s_xor_b32 s16, exec_lo, -1
; %bb.11835:                            ;   in Loop: Header=BB6_10551 Depth=3
	s_or_b32 exec_lo, exec_lo, s23
	s_and_b32 s16, s16, exec_lo
	s_or_saveexec_b32 s22, s22
	v_mov_b32_e32 v20, 0x7f800001
	s_xor_b32 exec_lo, exec_lo, s22
	s_cbranch_execnz .LBB6_13140
.LBB6_11836:                            ;   in Loop: Header=BB6_10551 Depth=3
	s_or_b32 exec_lo, exec_lo, s22
	s_and_saveexec_b32 s22, s16
	s_cbranch_execz .LBB6_11838
.LBB6_11837:                            ;   in Loop: Header=BB6_10551 Depth=3
	v_bfe_u32 v20, v16, 24, 3
	v_bfe_u32 v83, v16, 27, 4
	v_ffbh_u32_e32 v31, v20
	v_cmp_eq_u32_e32 vcc_lo, 0, v83
	v_min_u32_e32 v31, 32, v31
	v_subrev_nc_u32_e32 v82, 28, v31
	v_sub_nc_u32_e32 v31, 29, v31
	v_lshlrev_b32_sdwa v82, v82, v16 dst_sel:DWORD dst_unused:UNUSED_PAD src0_sel:DWORD src1_sel:BYTE_3
	v_cndmask_b32_e32 v31, v83, v31, vcc_lo
	v_and_b32_e32 v16, 0x80000000, v16
	v_and_b32_e32 v82, 7, v82
	v_lshl_add_u32 v31, v31, 23, 0x3b800000
	v_cndmask_b32_e32 v20, v20, v82, vcc_lo
	v_lshlrev_b32_e32 v20, 20, v20
	v_or3_b32 v20, v16, v31, v20
.LBB6_11838:                            ;   in Loop: Header=BB6_10551 Depth=3
	s_or_b32 exec_lo, exec_lo, s22
	v_max_f32_e32 v16, v20, v20
	v_max_f32_e32 v1, v1, v1
	v_min_f32_e32 v1, v1, v16
.LBB6_11839:                            ;   in Loop: Header=BB6_10551 Depth=3
	s_waitcnt vmcnt(1)
	v_and_b32_e32 v16, 0x7f800000, v1
	v_cmp_ne_u32_e32 vcc_lo, 0x7f800000, v16
	v_mov_b32_e32 v16, 0x8000
	s_and_saveexec_b32 s22, vcc_lo
	s_cbranch_execz .LBB6_11847
; %bb.11840:                            ;   in Loop: Header=BB6_10551 Depth=3
	v_mov_b32_e32 v16, 0
	s_mov_b32 s23, exec_lo
	v_cmpx_ne_u32_e32 0, v1
	s_cbranch_execz .LBB6_11846
; %bb.11841:                            ;   in Loop: Header=BB6_10551 Depth=3
	v_bfe_u32 v20, v1, 23, 8
	v_and_b32_e32 v16, 0x7fffff, v1
	v_cmp_gt_u32_e64 s16, 0x79, v20
	v_sub_nc_u32_e32 v31, 0x78, v20
	v_cmp_eq_u32_e32 vcc_lo, 0, v20
	v_or_b32_e32 v82, 0x800000, v16
	v_cndmask_b32_e64 v31, 0, v31, s16
	v_cndmask_b32_e32 v16, v82, v16, vcc_lo
	v_cndmask_b32_e64 v31, v31, 0x77, vcc_lo
	v_lshl_add_u32 v82, 0x100000, v31, -1
	v_lshlrev_b32_e64 v83, v31, 0x80000
	v_and_b32_e32 v82, v82, v16
	v_cmp_eq_u32_e64 s16, v82, v83
	v_lshrrev_b32_e32 v82, v31, v16
	v_add_nc_u32_e32 v16, 0xffffff89, v20
	v_lshrrev_b32_e32 v20, 23, v82
	v_cndmask_b32_e64 v16, v16, 0xffffff8a, vcc_lo
	v_xor_b32_e32 v20, 1, v20
	v_add_nc_u32_e32 v16, v31, v16
	v_bfe_u32 v31, v82, 20, 1
	v_add_nc_u32_e32 v31, -1, v31
	v_cndmask_b32_e64 v31, 0, v31, s16
	s_mov_b32 s16, exec_lo
	v_add_nc_u32_e32 v31, v31, v82
	v_and_b32_e32 v31, 0xfffff, v31
	v_add_nc_u32_e32 v31, v31, v82
                                        ; implicit-def: $vgpr82
	v_cmpx_ne_u32_e64 v16, v20
	s_xor_b32 s16, exec_lo, s16
; %bb.11842:                            ;   in Loop: Header=BB6_10551 Depth=3
	v_cmp_lt_u32_e32 vcc_lo, 0xffffff, v31
	v_sub_nc_u32_e32 v16, v16, v20
	v_cndmask_b32_e64 v20, 0, 1, vcc_lo
	v_add_co_ci_u32_e64 v82, null, 0, v16, vcc_lo
	v_lshrrev_b32_e32 v31, v20, v31
; %bb.11843:                            ;   in Loop: Header=BB6_10551 Depth=3
	s_andn2_saveexec_b32 s16, s16
; %bb.11844:                            ;   in Loop: Header=BB6_10551 Depth=3
	v_bfe_u32 v82, v31, 23, 1
; %bb.11845:                            ;   in Loop: Header=BB6_10551 Depth=3
	s_or_b32 exec_lo, exec_lo, s16
	v_lshrrev_b32_e32 v16, 20, v31
	v_min_i32_e32 v20, 15, v82
	v_cmp_gt_i32_e32 vcc_lo, 16, v82
	v_and_b32_sdwa v1, v1, v62 dst_sel:DWORD dst_unused:UNUSED_PAD src0_sel:BYTE_3 src1_sel:DWORD
	v_lshlrev_b32_e32 v20, 3, v20
	v_cndmask_b32_e32 v16, 7, v16, vcc_lo
	v_and_b32_e32 v20, 0xf8, v20
	v_or_b32_e32 v31, v82, v16
	v_and_b32_e32 v16, 7, v16
	v_cmp_ne_u32_e32 vcc_lo, 0, v31
	v_or3_b32 v1, v1, v20, v16
	v_lshlrev_b32_e32 v1, 8, v1
	v_cndmask_b32_e32 v16, 0, v1, vcc_lo
.LBB6_11846:                            ;   in Loop: Header=BB6_10551 Depth=3
	s_or_b32 exec_lo, exec_lo, s23
.LBB6_11847:                            ;   in Loop: Header=BB6_10551 Depth=3
	s_or_b32 exec_lo, exec_lo, s22
	v_cmp_gt_i16_sdwa s23, v21, v61 src0_sel:BYTE_0 src1_sel:DWORD
	s_andn2_b32 vcc_lo, exec_lo, s19
	s_mov_b32 s16, -1
                                        ; implicit-def: $vgpr1
	s_cbranch_vccnz .LBB6_11861
; %bb.11848:                            ;   in Loop: Header=BB6_10551 Depth=3
	s_mov_b32 s22, 0
	s_and_saveexec_b32 s16, s23
	s_xor_b32 s16, exec_lo, s16
	s_cbranch_execz .LBB6_13141
; %bb.11849:                            ;   in Loop: Header=BB6_10551 Depth=3
	v_cmp_eq_u16_sdwa s73, v21, v62 src0_sel:BYTE_0 src1_sel:DWORD
	s_mov_b32 s22, -1
	s_and_saveexec_b32 s23, s73
; %bb.11850:                            ;   in Loop: Header=BB6_10551 Depth=3
	s_xor_b32 s22, exec_lo, -1
; %bb.11851:                            ;   in Loop: Header=BB6_10551 Depth=3
	s_or_b32 exec_lo, exec_lo, s23
	s_and_b32 s22, s22, exec_lo
	s_or_saveexec_b32 s16, s16
	v_mov_b32_e32 v1, 0x7f800001
	s_xor_b32 exec_lo, exec_lo, s16
	s_cbranch_execnz .LBB6_13142
.LBB6_11852:                            ;   in Loop: Header=BB6_10551 Depth=3
	s_or_b32 exec_lo, exec_lo, s16
	s_and_saveexec_b32 s16, s22
	s_cbranch_execz .LBB6_11854
.LBB6_11853:                            ;   in Loop: Header=BB6_10551 Depth=3
	v_and_b32_e32 v1, 7, v21
	v_bfe_u32 v20, v21, 3, 4
	v_ffbh_u32_e32 v31, v1
	v_cmp_eq_u32_e32 vcc_lo, 0, v20
	v_min_u32_e32 v31, 32, v31
	v_subrev_nc_u32_e32 v82, 28, v31
	v_sub_nc_u32_e32 v31, 29, v31
	v_lshlrev_b32_e32 v82, v82, v21
	v_cndmask_b32_e32 v20, v20, v31, vcc_lo
	v_lshlrev_b32_e32 v31, 24, v21
	v_and_b32_e32 v82, 7, v82
	v_lshl_add_u32 v20, v20, 23, 0x3b800000
	v_and_b32_e32 v31, 0x80000000, v31
	v_cndmask_b32_e32 v1, v1, v82, vcc_lo
	v_lshlrev_b32_e32 v1, 20, v1
	v_or3_b32 v1, v31, v20, v1
.LBB6_11854:                            ;   in Loop: Header=BB6_10551 Depth=3
	s_or_b32 exec_lo, exec_lo, s16
	v_cmp_gt_i16_sdwa s16, v17, v61 src0_sel:BYTE_0 src1_sel:DWORD
	s_mov_b32 s22, 0
	s_and_saveexec_b32 s23, s16
	s_xor_b32 s16, exec_lo, s23
	s_cbranch_execz .LBB6_13143
; %bb.11855:                            ;   in Loop: Header=BB6_10551 Depth=3
	v_cmp_eq_u16_sdwa s73, v17, v62 src0_sel:BYTE_0 src1_sel:DWORD
	s_mov_b32 s22, -1
	s_and_saveexec_b32 s23, s73
; %bb.11856:                            ;   in Loop: Header=BB6_10551 Depth=3
	s_xor_b32 s22, exec_lo, -1
; %bb.11857:                            ;   in Loop: Header=BB6_10551 Depth=3
	s_or_b32 exec_lo, exec_lo, s23
	s_and_b32 s22, s22, exec_lo
	s_or_saveexec_b32 s16, s16
	v_mov_b32_e32 v20, 0x7f800001
	s_xor_b32 exec_lo, exec_lo, s16
	s_cbranch_execnz .LBB6_13144
.LBB6_11858:                            ;   in Loop: Header=BB6_10551 Depth=3
	s_or_b32 exec_lo, exec_lo, s16
	s_and_saveexec_b32 s16, s22
	s_cbranch_execz .LBB6_11860
.LBB6_11859:                            ;   in Loop: Header=BB6_10551 Depth=3
	v_and_b32_e32 v20, 7, v17
	v_bfe_u32 v31, v17, 3, 4
	v_ffbh_u32_e32 v82, v20
	v_cmp_eq_u32_e32 vcc_lo, 0, v31
	v_min_u32_e32 v82, 32, v82
	v_subrev_nc_u32_e32 v83, 28, v82
	v_sub_nc_u32_e32 v82, 29, v82
	v_lshlrev_b32_e32 v83, v83, v17
	v_cndmask_b32_e32 v31, v31, v82, vcc_lo
	v_lshlrev_b32_e32 v82, 24, v17
	v_and_b32_e32 v83, 7, v83
	v_lshl_add_u32 v31, v31, 23, 0x3b800000
	v_and_b32_e32 v82, 0x80000000, v82
	v_cndmask_b32_e32 v20, v20, v83, vcc_lo
	v_lshlrev_b32_e32 v20, 20, v20
	v_or3_b32 v20, v82, v31, v20
.LBB6_11860:                            ;   in Loop: Header=BB6_10551 Depth=3
	s_or_b32 exec_lo, exec_lo, s16
	v_max_f32_e32 v20, v20, v20
	v_max_f32_e32 v1, v1, v1
	s_mov_b32 s16, 0
	v_max_f32_e32 v1, v1, v20
.LBB6_11861:                            ;   in Loop: Header=BB6_10551 Depth=3
	s_and_b32 vcc_lo, exec_lo, s16
	s_cbranch_vccz .LBB6_11875
; %bb.11862:                            ;   in Loop: Header=BB6_10551 Depth=3
	v_cmp_gt_i16_sdwa s16, v21, v61 src0_sel:BYTE_0 src1_sel:DWORD
	s_mov_b32 s22, 0
	s_and_saveexec_b32 s23, s16
	s_xor_b32 s16, exec_lo, s23
	s_cbranch_execz .LBB6_13145
; %bb.11863:                            ;   in Loop: Header=BB6_10551 Depth=3
	v_cmp_eq_u16_sdwa s73, v21, v62 src0_sel:BYTE_0 src1_sel:DWORD
	s_mov_b32 s22, -1
	s_and_saveexec_b32 s23, s73
; %bb.11864:                            ;   in Loop: Header=BB6_10551 Depth=3
	s_xor_b32 s22, exec_lo, -1
; %bb.11865:                            ;   in Loop: Header=BB6_10551 Depth=3
	s_or_b32 exec_lo, exec_lo, s23
	s_and_b32 s22, s22, exec_lo
	s_or_saveexec_b32 s16, s16
	v_mov_b32_e32 v1, 0x7f800001
	s_xor_b32 exec_lo, exec_lo, s16
	s_cbranch_execnz .LBB6_13146
.LBB6_11866:                            ;   in Loop: Header=BB6_10551 Depth=3
	s_or_b32 exec_lo, exec_lo, s16
	s_and_saveexec_b32 s16, s22
	s_cbranch_execz .LBB6_11868
.LBB6_11867:                            ;   in Loop: Header=BB6_10551 Depth=3
	v_and_b32_e32 v1, 7, v21
	v_bfe_u32 v20, v21, 3, 4
	v_ffbh_u32_e32 v31, v1
	v_cmp_eq_u32_e32 vcc_lo, 0, v20
	v_min_u32_e32 v31, 32, v31
	v_subrev_nc_u32_e32 v82, 28, v31
	v_sub_nc_u32_e32 v31, 29, v31
	v_lshlrev_b32_e32 v82, v82, v21
	v_cndmask_b32_e32 v20, v20, v31, vcc_lo
	v_lshlrev_b32_e32 v31, 24, v21
	v_and_b32_e32 v82, 7, v82
	v_lshl_add_u32 v20, v20, 23, 0x3b800000
	v_and_b32_e32 v31, 0x80000000, v31
	v_cndmask_b32_e32 v1, v1, v82, vcc_lo
	v_lshlrev_b32_e32 v1, 20, v1
	v_or3_b32 v1, v31, v20, v1
.LBB6_11868:                            ;   in Loop: Header=BB6_10551 Depth=3
	s_or_b32 exec_lo, exec_lo, s16
	v_cmp_gt_i16_sdwa s16, v17, v61 src0_sel:BYTE_0 src1_sel:DWORD
	s_mov_b32 s22, 0
	s_and_saveexec_b32 s23, s16
	s_xor_b32 s16, exec_lo, s23
	s_cbranch_execz .LBB6_13147
; %bb.11869:                            ;   in Loop: Header=BB6_10551 Depth=3
	v_cmp_eq_u16_sdwa s73, v17, v62 src0_sel:BYTE_0 src1_sel:DWORD
	s_mov_b32 s22, -1
	s_and_saveexec_b32 s23, s73
; %bb.11870:                            ;   in Loop: Header=BB6_10551 Depth=3
	s_xor_b32 s22, exec_lo, -1
; %bb.11871:                            ;   in Loop: Header=BB6_10551 Depth=3
	s_or_b32 exec_lo, exec_lo, s23
	s_and_b32 s22, s22, exec_lo
	s_or_saveexec_b32 s16, s16
	v_mov_b32_e32 v20, 0x7f800001
	s_xor_b32 exec_lo, exec_lo, s16
	s_cbranch_execnz .LBB6_13148
.LBB6_11872:                            ;   in Loop: Header=BB6_10551 Depth=3
	s_or_b32 exec_lo, exec_lo, s16
	s_and_saveexec_b32 s16, s22
	s_cbranch_execz .LBB6_11874
.LBB6_11873:                            ;   in Loop: Header=BB6_10551 Depth=3
	v_and_b32_e32 v20, 7, v17
	v_bfe_u32 v31, v17, 3, 4
	v_ffbh_u32_e32 v82, v20
	v_cmp_eq_u32_e32 vcc_lo, 0, v31
	v_min_u32_e32 v82, 32, v82
	v_subrev_nc_u32_e32 v83, 28, v82
	v_sub_nc_u32_e32 v82, 29, v82
	v_lshlrev_b32_e32 v83, v83, v17
	v_cndmask_b32_e32 v31, v31, v82, vcc_lo
	v_lshlrev_b32_e32 v82, 24, v17
	v_and_b32_e32 v83, 7, v83
	v_lshl_add_u32 v31, v31, 23, 0x3b800000
	v_and_b32_e32 v82, 0x80000000, v82
	v_cndmask_b32_e32 v20, v20, v83, vcc_lo
	v_lshlrev_b32_e32 v20, 20, v20
	v_or3_b32 v20, v82, v31, v20
.LBB6_11874:                            ;   in Loop: Header=BB6_10551 Depth=3
	s_or_b32 exec_lo, exec_lo, s16
	v_max_f32_e32 v20, v20, v20
	v_max_f32_e32 v1, v1, v1
	v_min_f32_e32 v1, v1, v20
.LBB6_11875:                            ;   in Loop: Header=BB6_10551 Depth=3
	v_and_b32_e32 v20, 0x7f800000, v1
	v_cmp_ne_u32_e32 vcc_lo, 0x7f800000, v20
	v_mov_b32_e32 v20, 0x80
	s_and_saveexec_b32 s22, vcc_lo
	s_cbranch_execz .LBB6_11883
; %bb.11876:                            ;   in Loop: Header=BB6_10551 Depth=3
	v_mov_b32_e32 v20, 0
	s_mov_b32 s23, exec_lo
	v_cmpx_ne_u32_e32 0, v1
	s_cbranch_execz .LBB6_11882
; %bb.11877:                            ;   in Loop: Header=BB6_10551 Depth=3
	v_bfe_u32 v31, v1, 23, 8
	v_and_b32_e32 v20, 0x7fffff, v1
	v_cmp_gt_u32_e64 s16, 0x79, v31
	v_sub_nc_u32_e32 v82, 0x78, v31
	v_cmp_eq_u32_e32 vcc_lo, 0, v31
	v_or_b32_e32 v83, 0x800000, v20
	v_cndmask_b32_e64 v82, 0, v82, s16
	v_cndmask_b32_e32 v20, v83, v20, vcc_lo
	v_cndmask_b32_e64 v82, v82, 0x77, vcc_lo
	v_lshl_add_u32 v83, 0x100000, v82, -1
	v_lshlrev_b32_e64 v86, v82, 0x80000
	v_and_b32_e32 v83, v83, v20
	v_cmp_eq_u32_e64 s16, v83, v86
	v_lshrrev_b32_e32 v83, v82, v20
	v_add_nc_u32_e32 v20, 0xffffff89, v31
	v_lshrrev_b32_e32 v31, 23, v83
	v_cndmask_b32_e64 v20, v20, 0xffffff8a, vcc_lo
	v_xor_b32_e32 v31, 1, v31
	v_add_nc_u32_e32 v20, v82, v20
	v_bfe_u32 v82, v83, 20, 1
	v_add_nc_u32_e32 v82, -1, v82
	v_cndmask_b32_e64 v82, 0, v82, s16
	s_mov_b32 s16, exec_lo
	v_add_nc_u32_e32 v82, v82, v83
	v_and_b32_e32 v82, 0xfffff, v82
	v_add_nc_u32_e32 v82, v82, v83
                                        ; implicit-def: $vgpr83
	v_cmpx_ne_u32_e64 v20, v31
	s_xor_b32 s16, exec_lo, s16
; %bb.11878:                            ;   in Loop: Header=BB6_10551 Depth=3
	v_cmp_lt_u32_e32 vcc_lo, 0xffffff, v82
	v_sub_nc_u32_e32 v20, v20, v31
	v_cndmask_b32_e64 v31, 0, 1, vcc_lo
	v_add_co_ci_u32_e64 v83, null, 0, v20, vcc_lo
	v_lshrrev_b32_e32 v82, v31, v82
; %bb.11879:                            ;   in Loop: Header=BB6_10551 Depth=3
	s_andn2_saveexec_b32 s16, s16
; %bb.11880:                            ;   in Loop: Header=BB6_10551 Depth=3
	v_bfe_u32 v83, v82, 23, 1
; %bb.11881:                            ;   in Loop: Header=BB6_10551 Depth=3
	s_or_b32 exec_lo, exec_lo, s16
	v_lshrrev_b32_e32 v20, 20, v82
	v_min_i32_e32 v31, 15, v83
	v_cmp_gt_i32_e32 vcc_lo, 16, v83
	v_and_b32_sdwa v1, v1, v62 dst_sel:DWORD dst_unused:UNUSED_PAD src0_sel:BYTE_3 src1_sel:DWORD
	v_lshlrev_b32_e32 v31, 3, v31
	v_cndmask_b32_e32 v20, 7, v20, vcc_lo
	v_and_b32_e32 v31, 0xf8, v31
	v_or_b32_e32 v82, v83, v20
	v_and_b32_e32 v20, 7, v20
	v_cmp_ne_u32_e32 vcc_lo, 0, v82
	v_or3_b32 v1, v31, v1, v20
	v_cndmask_b32_e32 v20, 0, v1, vcc_lo
.LBB6_11882:                            ;   in Loop: Header=BB6_10551 Depth=3
	s_or_b32 exec_lo, exec_lo, s23
.LBB6_11883:                            ;   in Loop: Header=BB6_10551 Depth=3
	s_or_b32 exec_lo, exec_lo, s22
	v_cmp_gt_i16_sdwa s22, v21, v61 src0_sel:BYTE_1 src1_sel:DWORD
	s_andn2_b32 vcc_lo, exec_lo, s19
	s_mov_b32 s16, -1
                                        ; implicit-def: $vgpr1
	s_cbranch_vccnz .LBB6_11897
; %bb.11884:                            ;   in Loop: Header=BB6_10551 Depth=3
	s_mov_b32 s16, 0
	s_and_saveexec_b32 s23, s22
	s_xor_b32 s22, exec_lo, s23
	s_cbranch_execz .LBB6_13149
; %bb.11885:                            ;   in Loop: Header=BB6_10551 Depth=3
	v_cmp_eq_u16_sdwa s73, v21, v62 src0_sel:BYTE_1 src1_sel:DWORD
	s_mov_b32 s16, -1
	s_and_saveexec_b32 s23, s73
; %bb.11886:                            ;   in Loop: Header=BB6_10551 Depth=3
	s_xor_b32 s16, exec_lo, -1
; %bb.11887:                            ;   in Loop: Header=BB6_10551 Depth=3
	s_or_b32 exec_lo, exec_lo, s23
	s_and_b32 s16, s16, exec_lo
	s_or_saveexec_b32 s22, s22
	v_mov_b32_e32 v1, 0x7f800001
	s_xor_b32 exec_lo, exec_lo, s22
	s_cbranch_execnz .LBB6_13150
.LBB6_11888:                            ;   in Loop: Header=BB6_10551 Depth=3
	s_or_b32 exec_lo, exec_lo, s22
	s_and_saveexec_b32 s22, s16
	s_cbranch_execz .LBB6_11890
.LBB6_11889:                            ;   in Loop: Header=BB6_10551 Depth=3
	v_and_b32_sdwa v1, v63, v21 dst_sel:DWORD dst_unused:UNUSED_PAD src0_sel:DWORD src1_sel:BYTE_1
	v_and_b32_e32 v31, 7, v1
	v_bfe_u32 v86, v1, 3, 4
	v_ffbh_u32_e32 v82, v31
	v_cmp_eq_u32_e32 vcc_lo, 0, v86
	v_min_u32_e32 v82, 32, v82
	v_subrev_nc_u32_e32 v83, 28, v82
	v_sub_nc_u32_e32 v82, 29, v82
	v_lshlrev_b32_e32 v1, v83, v1
	v_lshlrev_b32_e32 v83, 16, v21
	v_cndmask_b32_e32 v82, v86, v82, vcc_lo
	v_and_b32_e32 v1, 7, v1
	v_lshl_add_u32 v82, v82, 23, 0x3b800000
	v_cndmask_b32_e32 v1, v31, v1, vcc_lo
	v_and_b32_e32 v31, 0x80000000, v83
	v_lshlrev_b32_e32 v1, 20, v1
	v_or3_b32 v1, v31, v82, v1
.LBB6_11890:                            ;   in Loop: Header=BB6_10551 Depth=3
	s_or_b32 exec_lo, exec_lo, s22
	v_cmp_gt_i16_sdwa s22, v17, v61 src0_sel:BYTE_1 src1_sel:DWORD
	s_mov_b32 s16, 0
	s_and_saveexec_b32 s23, s22
	s_xor_b32 s22, exec_lo, s23
	s_cbranch_execz .LBB6_13151
; %bb.11891:                            ;   in Loop: Header=BB6_10551 Depth=3
	v_cmp_eq_u16_sdwa s73, v17, v62 src0_sel:BYTE_1 src1_sel:DWORD
	s_mov_b32 s16, -1
	s_and_saveexec_b32 s23, s73
; %bb.11892:                            ;   in Loop: Header=BB6_10551 Depth=3
	s_xor_b32 s16, exec_lo, -1
; %bb.11893:                            ;   in Loop: Header=BB6_10551 Depth=3
	s_or_b32 exec_lo, exec_lo, s23
	s_and_b32 s16, s16, exec_lo
	s_or_saveexec_b32 s22, s22
	v_mov_b32_e32 v31, 0x7f800001
	s_xor_b32 exec_lo, exec_lo, s22
	s_cbranch_execnz .LBB6_13152
.LBB6_11894:                            ;   in Loop: Header=BB6_10551 Depth=3
	s_or_b32 exec_lo, exec_lo, s22
	s_and_saveexec_b32 s22, s16
	s_cbranch_execz .LBB6_11896
.LBB6_11895:                            ;   in Loop: Header=BB6_10551 Depth=3
	v_and_b32_sdwa v31, v63, v17 dst_sel:DWORD dst_unused:UNUSED_PAD src0_sel:DWORD src1_sel:BYTE_1
	v_and_b32_e32 v82, 7, v31
	v_bfe_u32 v87, v31, 3, 4
	v_ffbh_u32_e32 v83, v82
	v_cmp_eq_u32_e32 vcc_lo, 0, v87
	v_min_u32_e32 v83, 32, v83
	v_subrev_nc_u32_e32 v86, 28, v83
	v_sub_nc_u32_e32 v83, 29, v83
	v_lshlrev_b32_e32 v31, v86, v31
	v_lshlrev_b32_e32 v86, 16, v17
	v_cndmask_b32_e32 v83, v87, v83, vcc_lo
	v_and_b32_e32 v31, 7, v31
	v_lshl_add_u32 v83, v83, 23, 0x3b800000
	v_cndmask_b32_e32 v31, v82, v31, vcc_lo
	v_and_b32_e32 v82, 0x80000000, v86
	v_lshlrev_b32_e32 v31, 20, v31
	v_or3_b32 v31, v82, v83, v31
.LBB6_11896:                            ;   in Loop: Header=BB6_10551 Depth=3
	s_or_b32 exec_lo, exec_lo, s22
	v_max_f32_e32 v31, v31, v31
	v_max_f32_e32 v1, v1, v1
	s_mov_b32 s16, 0
	v_max_f32_e32 v1, v1, v31
.LBB6_11897:                            ;   in Loop: Header=BB6_10551 Depth=3
	s_and_b32 vcc_lo, exec_lo, s16
	s_cbranch_vccz .LBB6_11911
; %bb.11898:                            ;   in Loop: Header=BB6_10551 Depth=3
	v_cmp_gt_i16_sdwa s22, v21, v61 src0_sel:BYTE_1 src1_sel:DWORD
	s_mov_b32 s16, 0
	s_and_saveexec_b32 s23, s22
	s_xor_b32 s22, exec_lo, s23
	s_cbranch_execz .LBB6_13153
; %bb.11899:                            ;   in Loop: Header=BB6_10551 Depth=3
	v_cmp_eq_u16_sdwa s73, v21, v62 src0_sel:BYTE_1 src1_sel:DWORD
	s_mov_b32 s16, -1
	s_and_saveexec_b32 s23, s73
; %bb.11900:                            ;   in Loop: Header=BB6_10551 Depth=3
	s_xor_b32 s16, exec_lo, -1
; %bb.11901:                            ;   in Loop: Header=BB6_10551 Depth=3
	s_or_b32 exec_lo, exec_lo, s23
	s_and_b32 s16, s16, exec_lo
	s_or_saveexec_b32 s22, s22
	v_mov_b32_e32 v1, 0x7f800001
	s_xor_b32 exec_lo, exec_lo, s22
	s_cbranch_execnz .LBB6_13154
.LBB6_11902:                            ;   in Loop: Header=BB6_10551 Depth=3
	s_or_b32 exec_lo, exec_lo, s22
	s_and_saveexec_b32 s22, s16
	s_cbranch_execz .LBB6_11904
.LBB6_11903:                            ;   in Loop: Header=BB6_10551 Depth=3
	v_and_b32_sdwa v1, v63, v21 dst_sel:DWORD dst_unused:UNUSED_PAD src0_sel:DWORD src1_sel:BYTE_1
	v_and_b32_e32 v31, 7, v1
	v_bfe_u32 v86, v1, 3, 4
	v_ffbh_u32_e32 v82, v31
	v_cmp_eq_u32_e32 vcc_lo, 0, v86
	v_min_u32_e32 v82, 32, v82
	v_subrev_nc_u32_e32 v83, 28, v82
	v_sub_nc_u32_e32 v82, 29, v82
	v_lshlrev_b32_e32 v1, v83, v1
	v_lshlrev_b32_e32 v83, 16, v21
	v_cndmask_b32_e32 v82, v86, v82, vcc_lo
	v_and_b32_e32 v1, 7, v1
	v_lshl_add_u32 v82, v82, 23, 0x3b800000
	v_cndmask_b32_e32 v1, v31, v1, vcc_lo
	v_and_b32_e32 v31, 0x80000000, v83
	v_lshlrev_b32_e32 v1, 20, v1
	v_or3_b32 v1, v31, v82, v1
.LBB6_11904:                            ;   in Loop: Header=BB6_10551 Depth=3
	s_or_b32 exec_lo, exec_lo, s22
	v_cmp_gt_i16_sdwa s22, v17, v61 src0_sel:BYTE_1 src1_sel:DWORD
	s_mov_b32 s16, 0
	s_and_saveexec_b32 s23, s22
	s_xor_b32 s22, exec_lo, s23
	s_cbranch_execz .LBB6_13155
; %bb.11905:                            ;   in Loop: Header=BB6_10551 Depth=3
	v_cmp_eq_u16_sdwa s73, v17, v62 src0_sel:BYTE_1 src1_sel:DWORD
	s_mov_b32 s16, -1
	s_and_saveexec_b32 s23, s73
; %bb.11906:                            ;   in Loop: Header=BB6_10551 Depth=3
	s_xor_b32 s16, exec_lo, -1
; %bb.11907:                            ;   in Loop: Header=BB6_10551 Depth=3
	s_or_b32 exec_lo, exec_lo, s23
	s_and_b32 s16, s16, exec_lo
	s_or_saveexec_b32 s22, s22
	v_mov_b32_e32 v31, 0x7f800001
	s_xor_b32 exec_lo, exec_lo, s22
	s_cbranch_execnz .LBB6_13156
.LBB6_11908:                            ;   in Loop: Header=BB6_10551 Depth=3
	s_or_b32 exec_lo, exec_lo, s22
	s_and_saveexec_b32 s22, s16
	s_cbranch_execz .LBB6_11910
.LBB6_11909:                            ;   in Loop: Header=BB6_10551 Depth=3
	v_and_b32_sdwa v31, v63, v17 dst_sel:DWORD dst_unused:UNUSED_PAD src0_sel:DWORD src1_sel:BYTE_1
	v_and_b32_e32 v82, 7, v31
	v_bfe_u32 v87, v31, 3, 4
	v_ffbh_u32_e32 v83, v82
	v_cmp_eq_u32_e32 vcc_lo, 0, v87
	v_min_u32_e32 v83, 32, v83
	v_subrev_nc_u32_e32 v86, 28, v83
	v_sub_nc_u32_e32 v83, 29, v83
	v_lshlrev_b32_e32 v31, v86, v31
	v_lshlrev_b32_e32 v86, 16, v17
	v_cndmask_b32_e32 v83, v87, v83, vcc_lo
	v_and_b32_e32 v31, 7, v31
	v_lshl_add_u32 v83, v83, 23, 0x3b800000
	v_cndmask_b32_e32 v31, v82, v31, vcc_lo
	v_and_b32_e32 v82, 0x80000000, v86
	v_lshlrev_b32_e32 v31, 20, v31
	v_or3_b32 v31, v82, v83, v31
.LBB6_11910:                            ;   in Loop: Header=BB6_10551 Depth=3
	s_or_b32 exec_lo, exec_lo, s22
	v_max_f32_e32 v31, v31, v31
	v_max_f32_e32 v1, v1, v1
	v_min_f32_e32 v1, v1, v31
.LBB6_11911:                            ;   in Loop: Header=BB6_10551 Depth=3
	v_and_b32_e32 v31, 0x7f800000, v1
	v_mov_b32_e32 v82, 0x8000
	s_mov_b32 s22, exec_lo
	v_cmpx_ne_u32_e32 0x7f800000, v31
	s_cbranch_execz .LBB6_11919
; %bb.11912:                            ;   in Loop: Header=BB6_10551 Depth=3
	v_mov_b32_e32 v82, 0
	s_mov_b32 s23, exec_lo
	v_cmpx_ne_u32_e32 0, v1
	s_cbranch_execz .LBB6_11918
; %bb.11913:                            ;   in Loop: Header=BB6_10551 Depth=3
	v_bfe_u32 v82, v1, 23, 8
	v_and_b32_e32 v31, 0x7fffff, v1
                                        ; implicit-def: $vgpr98
	v_cmp_gt_u32_e64 s16, 0x79, v82
	v_sub_nc_u32_e32 v83, 0x78, v82
	v_cmp_eq_u32_e32 vcc_lo, 0, v82
	v_or_b32_e32 v86, 0x800000, v31
	v_cndmask_b32_e64 v83, 0, v83, s16
	v_cndmask_b32_e32 v31, v86, v31, vcc_lo
	v_cndmask_b32_e64 v83, v83, 0x77, vcc_lo
	v_lshl_add_u32 v86, 0x100000, v83, -1
	v_lshlrev_b32_e64 v87, v83, 0x80000
	v_and_b32_e32 v86, v86, v31
	v_cmp_eq_u32_e64 s16, v86, v87
	v_lshrrev_b32_e32 v86, v83, v31
	v_add_nc_u32_e32 v31, 0xffffff89, v82
	v_lshrrev_b32_e32 v82, 23, v86
	v_cndmask_b32_e64 v31, v31, 0xffffff8a, vcc_lo
	v_xor_b32_e32 v82, 1, v82
	v_add_nc_u32_e32 v31, v83, v31
	v_bfe_u32 v83, v86, 20, 1
	v_add_nc_u32_e32 v83, -1, v83
	v_cndmask_b32_e64 v83, 0, v83, s16
	s_mov_b32 s16, exec_lo
	v_add_nc_u32_e32 v83, v83, v86
	v_and_b32_e32 v83, 0xfffff, v83
	v_add_nc_u32_e32 v83, v83, v86
	v_cmpx_ne_u32_e64 v31, v82
	s_xor_b32 s16, exec_lo, s16
; %bb.11914:                            ;   in Loop: Header=BB6_10551 Depth=3
	v_cmp_lt_u32_e32 vcc_lo, 0xffffff, v83
	v_sub_nc_u32_e32 v31, v31, v82
	v_cndmask_b32_e64 v82, 0, 1, vcc_lo
	v_add_co_ci_u32_e64 v98, null, 0, v31, vcc_lo
	v_lshrrev_b32_e32 v83, v82, v83
; %bb.11915:                            ;   in Loop: Header=BB6_10551 Depth=3
	s_andn2_saveexec_b32 s16, s16
; %bb.11916:                            ;   in Loop: Header=BB6_10551 Depth=3
	v_bfe_u32 v98, v83, 23, 1
; %bb.11917:                            ;   in Loop: Header=BB6_10551 Depth=3
	s_or_b32 exec_lo, exec_lo, s16
	v_lshrrev_b32_e32 v31, 20, v83
	v_min_i32_e32 v82, 15, v98
	v_cmp_gt_i32_e32 vcc_lo, 16, v98
	v_and_b32_sdwa v1, v1, v62 dst_sel:DWORD dst_unused:UNUSED_PAD src0_sel:BYTE_3 src1_sel:DWORD
	v_lshlrev_b32_e32 v82, 3, v82
	v_cndmask_b32_e32 v31, 7, v31, vcc_lo
	v_and_b32_e32 v82, 0xf8, v82
	v_or_b32_e32 v83, v98, v31
	v_and_b32_e32 v31, 7, v31
	v_cmp_ne_u32_e32 vcc_lo, 0, v83
	v_or3_b32 v1, v1, v82, v31
	v_lshlrev_b32_e32 v1, 8, v1
	v_cndmask_b32_e32 v82, 0, v1, vcc_lo
.LBB6_11918:                            ;   in Loop: Header=BB6_10551 Depth=3
	s_or_b32 exec_lo, exec_lo, s23
.LBB6_11919:                            ;   in Loop: Header=BB6_10551 Depth=3
	s_or_b32 exec_lo, exec_lo, s22
	v_and_b32_sdwa v1, v21, v72 dst_sel:DWORD dst_unused:UNUSED_PAD src0_sel:WORD_1 src1_sel:DWORD
	s_andn2_b32 vcc_lo, exec_lo, s19
	s_mov_b32 s22, -1
                                        ; implicit-def: $vgpr31
	v_cmp_lt_i16_e64 s16, 0x7f, v1
	s_cbranch_vccnz .LBB6_11933
; %bb.11920:                            ;   in Loop: Header=BB6_10551 Depth=3
	s_mov_b32 s22, 0
	s_and_saveexec_b32 s23, s16
	s_xor_b32 s16, exec_lo, s23
	s_cbranch_execz .LBB6_13157
; %bb.11921:                            ;   in Loop: Header=BB6_10551 Depth=3
	s_mov_b32 s22, -1
	s_mov_b32 s23, exec_lo
	v_cmpx_eq_u16_e32 0x80, v1
; %bb.11922:                            ;   in Loop: Header=BB6_10551 Depth=3
	s_xor_b32 s22, exec_lo, -1
; %bb.11923:                            ;   in Loop: Header=BB6_10551 Depth=3
	s_or_b32 exec_lo, exec_lo, s23
	s_and_b32 s22, s22, exec_lo
	s_or_saveexec_b32 s16, s16
	v_mov_b32_e32 v31, 0x7f800001
	s_xor_b32 exec_lo, exec_lo, s16
	s_cbranch_execnz .LBB6_13158
.LBB6_11924:                            ;   in Loop: Header=BB6_10551 Depth=3
	s_or_b32 exec_lo, exec_lo, s16
	s_and_saveexec_b32 s16, s22
	s_cbranch_execz .LBB6_11926
.LBB6_11925:                            ;   in Loop: Header=BB6_10551 Depth=3
	v_bfe_u32 v31, v21, 16, 3
	v_bfe_u32 v83, v21, 19, 4
	v_ffbh_u32_e32 v86, v31
	v_cmp_eq_u32_e32 vcc_lo, 0, v83
	v_min_u32_e32 v86, 32, v86
	v_subrev_nc_u32_e32 v87, 28, v86
	v_sub_nc_u32_e32 v86, 29, v86
	v_lshlrev_b32_sdwa v87, v87, v21 dst_sel:DWORD dst_unused:UNUSED_PAD src0_sel:DWORD src1_sel:WORD_1
	v_cndmask_b32_e32 v83, v83, v86, vcc_lo
	v_lshlrev_b32_sdwa v86, v73, v21 dst_sel:DWORD dst_unused:UNUSED_PAD src0_sel:DWORD src1_sel:WORD_1
	v_and_b32_e32 v87, 7, v87
	v_lshl_add_u32 v83, v83, 23, 0x3b800000
	v_and_b32_e32 v86, 0x80000000, v86
	v_cndmask_b32_e32 v31, v31, v87, vcc_lo
	v_lshlrev_b32_e32 v31, 20, v31
	v_or3_b32 v31, v86, v83, v31
.LBB6_11926:                            ;   in Loop: Header=BB6_10551 Depth=3
	s_or_b32 exec_lo, exec_lo, s16
	v_and_b32_sdwa v86, v17, v72 dst_sel:DWORD dst_unused:UNUSED_PAD src0_sel:WORD_1 src1_sel:DWORD
	s_mov_b32 s22, 0
	s_mov_b32 s16, exec_lo
	v_cmpx_lt_i16_e32 0x7f, v86
	s_xor_b32 s16, exec_lo, s16
	s_cbranch_execz .LBB6_13159
; %bb.11927:                            ;   in Loop: Header=BB6_10551 Depth=3
	s_mov_b32 s22, -1
	s_mov_b32 s23, exec_lo
	v_cmpx_eq_u16_e32 0x80, v86
; %bb.11928:                            ;   in Loop: Header=BB6_10551 Depth=3
	s_xor_b32 s22, exec_lo, -1
; %bb.11929:                            ;   in Loop: Header=BB6_10551 Depth=3
	s_or_b32 exec_lo, exec_lo, s23
	s_and_b32 s22, s22, exec_lo
                                        ; implicit-def: $vgpr86
	s_or_saveexec_b32 s16, s16
	v_mov_b32_e32 v83, 0x7f800001
	s_xor_b32 exec_lo, exec_lo, s16
	s_cbranch_execnz .LBB6_13160
.LBB6_11930:                            ;   in Loop: Header=BB6_10551 Depth=3
	s_or_b32 exec_lo, exec_lo, s16
	s_and_saveexec_b32 s16, s22
	s_cbranch_execz .LBB6_11932
.LBB6_11931:                            ;   in Loop: Header=BB6_10551 Depth=3
	v_bfe_u32 v83, v17, 16, 3
	v_bfe_u32 v86, v17, 19, 4
	v_ffbh_u32_e32 v87, v83
	v_cmp_eq_u32_e32 vcc_lo, 0, v86
	v_min_u32_e32 v87, 32, v87
	v_subrev_nc_u32_e32 v98, 28, v87
	v_sub_nc_u32_e32 v87, 29, v87
	v_lshlrev_b32_sdwa v98, v98, v17 dst_sel:DWORD dst_unused:UNUSED_PAD src0_sel:DWORD src1_sel:WORD_1
	v_cndmask_b32_e32 v86, v86, v87, vcc_lo
	v_lshlrev_b32_sdwa v87, v73, v17 dst_sel:DWORD dst_unused:UNUSED_PAD src0_sel:DWORD src1_sel:WORD_1
	v_and_b32_e32 v98, 7, v98
	v_lshl_add_u32 v86, v86, 23, 0x3b800000
	v_and_b32_e32 v87, 0x80000000, v87
	v_cndmask_b32_e32 v83, v83, v98, vcc_lo
	v_lshlrev_b32_e32 v83, 20, v83
	v_or3_b32 v83, v87, v86, v83
.LBB6_11932:                            ;   in Loop: Header=BB6_10551 Depth=3
	s_or_b32 exec_lo, exec_lo, s16
	v_max_f32_e32 v83, v83, v83
	v_max_f32_e32 v31, v31, v31
	s_mov_b32 s22, 0
	v_max_f32_e32 v31, v31, v83
.LBB6_11933:                            ;   in Loop: Header=BB6_10551 Depth=3
	s_and_b32 vcc_lo, exec_lo, s22
	s_cbranch_vccz .LBB6_11947
; %bb.11934:                            ;   in Loop: Header=BB6_10551 Depth=3
	s_mov_b32 s22, 0
	s_mov_b32 s16, exec_lo
	v_cmpx_lt_i16_e32 0x7f, v1
	s_xor_b32 s16, exec_lo, s16
	s_cbranch_execz .LBB6_13161
; %bb.11935:                            ;   in Loop: Header=BB6_10551 Depth=3
	s_mov_b32 s22, -1
	s_mov_b32 s23, exec_lo
	v_cmpx_eq_u16_e32 0x80, v1
; %bb.11936:                            ;   in Loop: Header=BB6_10551 Depth=3
	s_xor_b32 s22, exec_lo, -1
; %bb.11937:                            ;   in Loop: Header=BB6_10551 Depth=3
	s_or_b32 exec_lo, exec_lo, s23
	s_and_b32 s22, s22, exec_lo
                                        ; implicit-def: $vgpr1
	s_or_saveexec_b32 s16, s16
	v_mov_b32_e32 v31, 0x7f800001
	s_xor_b32 exec_lo, exec_lo, s16
	s_cbranch_execnz .LBB6_13162
.LBB6_11938:                            ;   in Loop: Header=BB6_10551 Depth=3
	s_or_b32 exec_lo, exec_lo, s16
	s_and_saveexec_b32 s16, s22
	s_cbranch_execz .LBB6_11940
.LBB6_11939:                            ;   in Loop: Header=BB6_10551 Depth=3
	v_bfe_u32 v1, v21, 16, 3
	v_bfe_u32 v31, v21, 19, 4
	v_ffbh_u32_e32 v83, v1
	v_cmp_eq_u32_e32 vcc_lo, 0, v31
	v_min_u32_e32 v83, 32, v83
	v_subrev_nc_u32_e32 v86, 28, v83
	v_sub_nc_u32_e32 v83, 29, v83
	v_lshlrev_b32_sdwa v86, v86, v21 dst_sel:DWORD dst_unused:UNUSED_PAD src0_sel:DWORD src1_sel:WORD_1
	v_cndmask_b32_e32 v31, v31, v83, vcc_lo
	v_lshlrev_b32_sdwa v83, v73, v21 dst_sel:DWORD dst_unused:UNUSED_PAD src0_sel:DWORD src1_sel:WORD_1
	v_and_b32_e32 v86, 7, v86
	v_lshl_add_u32 v31, v31, 23, 0x3b800000
	v_and_b32_e32 v83, 0x80000000, v83
	v_cndmask_b32_e32 v1, v1, v86, vcc_lo
	v_lshlrev_b32_e32 v1, 20, v1
	v_or3_b32 v31, v83, v31, v1
.LBB6_11940:                            ;   in Loop: Header=BB6_10551 Depth=3
	s_or_b32 exec_lo, exec_lo, s16
	v_and_b32_sdwa v83, v17, v72 dst_sel:DWORD dst_unused:UNUSED_PAD src0_sel:WORD_1 src1_sel:DWORD
	s_mov_b32 s22, 0
	s_mov_b32 s16, exec_lo
	v_cmpx_lt_i16_e32 0x7f, v83
	s_xor_b32 s16, exec_lo, s16
	s_cbranch_execz .LBB6_13163
; %bb.11941:                            ;   in Loop: Header=BB6_10551 Depth=3
	s_mov_b32 s22, -1
	s_mov_b32 s23, exec_lo
	v_cmpx_eq_u16_e32 0x80, v83
; %bb.11942:                            ;   in Loop: Header=BB6_10551 Depth=3
	s_xor_b32 s22, exec_lo, -1
; %bb.11943:                            ;   in Loop: Header=BB6_10551 Depth=3
	s_or_b32 exec_lo, exec_lo, s23
	s_and_b32 s22, s22, exec_lo
                                        ; implicit-def: $vgpr83
	s_or_saveexec_b32 s16, s16
	v_mov_b32_e32 v1, 0x7f800001
	s_xor_b32 exec_lo, exec_lo, s16
	s_cbranch_execnz .LBB6_13164
.LBB6_11944:                            ;   in Loop: Header=BB6_10551 Depth=3
	s_or_b32 exec_lo, exec_lo, s16
	s_and_saveexec_b32 s16, s22
	s_cbranch_execz .LBB6_11946
.LBB6_11945:                            ;   in Loop: Header=BB6_10551 Depth=3
	v_bfe_u32 v1, v17, 16, 3
	v_bfe_u32 v83, v17, 19, 4
	v_ffbh_u32_e32 v86, v1
	v_cmp_eq_u32_e32 vcc_lo, 0, v83
	v_min_u32_e32 v86, 32, v86
	v_subrev_nc_u32_e32 v87, 28, v86
	v_sub_nc_u32_e32 v86, 29, v86
	v_lshlrev_b32_sdwa v87, v87, v17 dst_sel:DWORD dst_unused:UNUSED_PAD src0_sel:DWORD src1_sel:WORD_1
	v_cndmask_b32_e32 v83, v83, v86, vcc_lo
	v_lshlrev_b32_sdwa v86, v73, v17 dst_sel:DWORD dst_unused:UNUSED_PAD src0_sel:DWORD src1_sel:WORD_1
	v_and_b32_e32 v87, 7, v87
	v_lshl_add_u32 v83, v83, 23, 0x3b800000
	v_and_b32_e32 v86, 0x80000000, v86
	v_cndmask_b32_e32 v1, v1, v87, vcc_lo
	v_lshlrev_b32_e32 v1, 20, v1
	v_or3_b32 v1, v86, v83, v1
.LBB6_11946:                            ;   in Loop: Header=BB6_10551 Depth=3
	s_or_b32 exec_lo, exec_lo, s16
	v_max_f32_e32 v1, v1, v1
	v_max_f32_e32 v31, v31, v31
	v_min_f32_e32 v31, v31, v1
.LBB6_11947:                            ;   in Loop: Header=BB6_10551 Depth=3
	v_and_b32_e32 v1, 0x7f800000, v31
	v_mov_b32_e32 v83, 0x80
	s_mov_b32 s22, exec_lo
	v_cmpx_ne_u32_e32 0x7f800000, v1
	s_cbranch_execz .LBB6_11955
; %bb.11948:                            ;   in Loop: Header=BB6_10551 Depth=3
	v_mov_b32_e32 v83, 0
	s_mov_b32 s23, exec_lo
	v_cmpx_ne_u32_e32 0, v31
	s_cbranch_execz .LBB6_11954
; %bb.11949:                            ;   in Loop: Header=BB6_10551 Depth=3
	v_bfe_u32 v83, v31, 23, 8
	v_and_b32_e32 v1, 0x7fffff, v31
                                        ; implicit-def: $vgpr99
	v_cmp_gt_u32_e64 s16, 0x79, v83
	v_sub_nc_u32_e32 v86, 0x78, v83
	v_cmp_eq_u32_e32 vcc_lo, 0, v83
	v_or_b32_e32 v87, 0x800000, v1
	v_cndmask_b32_e64 v86, 0, v86, s16
	v_cndmask_b32_e32 v1, v87, v1, vcc_lo
	v_cndmask_b32_e64 v86, v86, 0x77, vcc_lo
	v_lshl_add_u32 v87, 0x100000, v86, -1
	v_lshlrev_b32_e64 v98, v86, 0x80000
	v_and_b32_e32 v87, v87, v1
	v_cmp_eq_u32_e64 s16, v87, v98
	v_lshrrev_b32_e32 v87, v86, v1
	v_add_nc_u32_e32 v1, 0xffffff89, v83
	v_lshrrev_b32_e32 v83, 23, v87
	v_cndmask_b32_e64 v1, v1, 0xffffff8a, vcc_lo
	v_xor_b32_e32 v83, 1, v83
	v_add_nc_u32_e32 v1, v86, v1
	v_bfe_u32 v86, v87, 20, 1
	v_add_nc_u32_e32 v86, -1, v86
	v_cndmask_b32_e64 v86, 0, v86, s16
	s_mov_b32 s16, exec_lo
	v_add_nc_u32_e32 v86, v86, v87
	v_and_b32_e32 v86, 0xfffff, v86
	v_add_nc_u32_e32 v98, v86, v87
	v_cmpx_ne_u32_e64 v1, v83
	s_xor_b32 s16, exec_lo, s16
; %bb.11950:                            ;   in Loop: Header=BB6_10551 Depth=3
	v_cmp_lt_u32_e32 vcc_lo, 0xffffff, v98
	v_sub_nc_u32_e32 v1, v1, v83
	v_cndmask_b32_e64 v83, 0, 1, vcc_lo
	v_add_co_ci_u32_e64 v99, null, 0, v1, vcc_lo
	v_lshrrev_b32_e32 v98, v83, v98
; %bb.11951:                            ;   in Loop: Header=BB6_10551 Depth=3
	s_andn2_saveexec_b32 s16, s16
; %bb.11952:                            ;   in Loop: Header=BB6_10551 Depth=3
	v_bfe_u32 v99, v98, 23, 1
; %bb.11953:                            ;   in Loop: Header=BB6_10551 Depth=3
	s_or_b32 exec_lo, exec_lo, s16
	v_and_b32_sdwa v1, v31, v62 dst_sel:DWORD dst_unused:UNUSED_PAD src0_sel:BYTE_3 src1_sel:DWORD
	v_lshrrev_b32_e32 v31, 20, v98
	v_min_i32_e32 v83, 15, v99
	v_cmp_gt_i32_e32 vcc_lo, 16, v99
	v_lshlrev_b32_e32 v83, 3, v83
	v_cndmask_b32_e32 v31, 7, v31, vcc_lo
	v_and_b32_e32 v83, 0xf8, v83
	v_or_b32_e32 v86, v99, v31
	v_and_b32_e32 v31, 7, v31
	v_cmp_ne_u32_e32 vcc_lo, 0, v86
	v_or3_b32 v1, v83, v1, v31
	v_cndmask_b32_e32 v83, 0, v1, vcc_lo
.LBB6_11954:                            ;   in Loop: Header=BB6_10551 Depth=3
	s_or_b32 exec_lo, exec_lo, s23
.LBB6_11955:                            ;   in Loop: Header=BB6_10551 Depth=3
	s_or_b32 exec_lo, exec_lo, s22
	v_cmp_gt_i16_sdwa s22, v21, v61 src0_sel:BYTE_3 src1_sel:DWORD
	s_andn2_b32 vcc_lo, exec_lo, s19
	s_mov_b32 s16, -1
                                        ; implicit-def: $vgpr1
	s_cbranch_vccnz .LBB6_11969
; %bb.11956:                            ;   in Loop: Header=BB6_10551 Depth=3
	s_mov_b32 s16, 0
	s_and_saveexec_b32 s23, s22
	s_xor_b32 s22, exec_lo, s23
	s_cbranch_execz .LBB6_13165
; %bb.11957:                            ;   in Loop: Header=BB6_10551 Depth=3
	v_cmp_eq_u16_sdwa s73, v21, v62 src0_sel:BYTE_3 src1_sel:DWORD
	s_mov_b32 s16, -1
	s_and_saveexec_b32 s23, s73
; %bb.11958:                            ;   in Loop: Header=BB6_10551 Depth=3
	s_xor_b32 s16, exec_lo, -1
; %bb.11959:                            ;   in Loop: Header=BB6_10551 Depth=3
	s_or_b32 exec_lo, exec_lo, s23
	s_and_b32 s16, s16, exec_lo
	s_or_saveexec_b32 s22, s22
	v_mov_b32_e32 v1, 0x7f800001
	s_xor_b32 exec_lo, exec_lo, s22
	s_cbranch_execnz .LBB6_13166
.LBB6_11960:                            ;   in Loop: Header=BB6_10551 Depth=3
	s_or_b32 exec_lo, exec_lo, s22
	s_and_saveexec_b32 s22, s16
	s_cbranch_execz .LBB6_11962
.LBB6_11961:                            ;   in Loop: Header=BB6_10551 Depth=3
	v_bfe_u32 v1, v21, 24, 3
	v_bfe_u32 v87, v21, 27, 4
	v_ffbh_u32_e32 v31, v1
	v_cmp_eq_u32_e32 vcc_lo, 0, v87
	v_min_u32_e32 v31, 32, v31
	v_subrev_nc_u32_e32 v86, 28, v31
	v_sub_nc_u32_e32 v31, 29, v31
	v_lshlrev_b32_sdwa v86, v86, v21 dst_sel:DWORD dst_unused:UNUSED_PAD src0_sel:DWORD src1_sel:BYTE_3
	v_cndmask_b32_e32 v31, v87, v31, vcc_lo
	v_and_b32_e32 v86, 7, v86
	v_lshl_add_u32 v31, v31, 23, 0x3b800000
	v_cndmask_b32_e32 v1, v1, v86, vcc_lo
	v_and_b32_e32 v86, 0x80000000, v21
	v_lshlrev_b32_e32 v1, 20, v1
	v_or3_b32 v1, v86, v31, v1
.LBB6_11962:                            ;   in Loop: Header=BB6_10551 Depth=3
	s_or_b32 exec_lo, exec_lo, s22
	v_cmp_gt_i16_sdwa s22, v17, v61 src0_sel:BYTE_3 src1_sel:DWORD
	s_mov_b32 s16, 0
	s_and_saveexec_b32 s23, s22
	s_xor_b32 s22, exec_lo, s23
	s_cbranch_execz .LBB6_13167
; %bb.11963:                            ;   in Loop: Header=BB6_10551 Depth=3
	v_cmp_eq_u16_sdwa s73, v17, v62 src0_sel:BYTE_3 src1_sel:DWORD
	s_mov_b32 s16, -1
	s_and_saveexec_b32 s23, s73
; %bb.11964:                            ;   in Loop: Header=BB6_10551 Depth=3
	s_xor_b32 s16, exec_lo, -1
; %bb.11965:                            ;   in Loop: Header=BB6_10551 Depth=3
	s_or_b32 exec_lo, exec_lo, s23
	s_and_b32 s16, s16, exec_lo
	s_or_saveexec_b32 s22, s22
	v_mov_b32_e32 v31, 0x7f800001
	s_xor_b32 exec_lo, exec_lo, s22
	s_cbranch_execnz .LBB6_13168
.LBB6_11966:                            ;   in Loop: Header=BB6_10551 Depth=3
	s_or_b32 exec_lo, exec_lo, s22
	s_and_saveexec_b32 s22, s16
	s_cbranch_execz .LBB6_11968
.LBB6_11967:                            ;   in Loop: Header=BB6_10551 Depth=3
	v_bfe_u32 v31, v17, 24, 3
	v_bfe_u32 v98, v17, 27, 4
	v_ffbh_u32_e32 v86, v31
	v_cmp_eq_u32_e32 vcc_lo, 0, v98
	v_min_u32_e32 v86, 32, v86
	v_subrev_nc_u32_e32 v87, 28, v86
	v_sub_nc_u32_e32 v86, 29, v86
	v_lshlrev_b32_sdwa v87, v87, v17 dst_sel:DWORD dst_unused:UNUSED_PAD src0_sel:DWORD src1_sel:BYTE_3
	v_cndmask_b32_e32 v86, v98, v86, vcc_lo
	v_and_b32_e32 v87, 7, v87
	v_lshl_add_u32 v86, v86, 23, 0x3b800000
	v_cndmask_b32_e32 v31, v31, v87, vcc_lo
	v_and_b32_e32 v87, 0x80000000, v17
	v_lshlrev_b32_e32 v31, 20, v31
	v_or3_b32 v31, v87, v86, v31
.LBB6_11968:                            ;   in Loop: Header=BB6_10551 Depth=3
	s_or_b32 exec_lo, exec_lo, s22
	v_max_f32_e32 v31, v31, v31
	v_max_f32_e32 v1, v1, v1
	s_mov_b32 s16, 0
	v_max_f32_e32 v1, v1, v31
.LBB6_11969:                            ;   in Loop: Header=BB6_10551 Depth=3
	s_and_b32 vcc_lo, exec_lo, s16
	s_cbranch_vccz .LBB6_11983
; %bb.11970:                            ;   in Loop: Header=BB6_10551 Depth=3
	v_cmp_gt_i16_sdwa s22, v21, v61 src0_sel:BYTE_3 src1_sel:DWORD
	s_mov_b32 s16, 0
	s_and_saveexec_b32 s23, s22
	s_xor_b32 s22, exec_lo, s23
	s_cbranch_execz .LBB6_13169
; %bb.11971:                            ;   in Loop: Header=BB6_10551 Depth=3
	v_cmp_eq_u16_sdwa s73, v21, v62 src0_sel:BYTE_3 src1_sel:DWORD
	s_mov_b32 s16, -1
	s_and_saveexec_b32 s23, s73
; %bb.11972:                            ;   in Loop: Header=BB6_10551 Depth=3
	s_xor_b32 s16, exec_lo, -1
; %bb.11973:                            ;   in Loop: Header=BB6_10551 Depth=3
	s_or_b32 exec_lo, exec_lo, s23
	s_and_b32 s16, s16, exec_lo
	s_or_saveexec_b32 s22, s22
	v_mov_b32_e32 v1, 0x7f800001
	s_xor_b32 exec_lo, exec_lo, s22
	s_cbranch_execnz .LBB6_13170
.LBB6_11974:                            ;   in Loop: Header=BB6_10551 Depth=3
	s_or_b32 exec_lo, exec_lo, s22
	s_and_saveexec_b32 s22, s16
	s_cbranch_execz .LBB6_11976
.LBB6_11975:                            ;   in Loop: Header=BB6_10551 Depth=3
	v_bfe_u32 v1, v21, 24, 3
	v_bfe_u32 v87, v21, 27, 4
	v_ffbh_u32_e32 v31, v1
	v_cmp_eq_u32_e32 vcc_lo, 0, v87
	v_min_u32_e32 v31, 32, v31
	v_subrev_nc_u32_e32 v86, 28, v31
	v_sub_nc_u32_e32 v31, 29, v31
	v_lshlrev_b32_sdwa v86, v86, v21 dst_sel:DWORD dst_unused:UNUSED_PAD src0_sel:DWORD src1_sel:BYTE_3
	v_cndmask_b32_e32 v31, v87, v31, vcc_lo
	v_and_b32_e32 v21, 0x80000000, v21
	v_and_b32_e32 v86, 7, v86
	v_lshl_add_u32 v31, v31, 23, 0x3b800000
	v_cndmask_b32_e32 v1, v1, v86, vcc_lo
	v_lshlrev_b32_e32 v1, 20, v1
	v_or3_b32 v1, v21, v31, v1
.LBB6_11976:                            ;   in Loop: Header=BB6_10551 Depth=3
	s_or_b32 exec_lo, exec_lo, s22
	v_cmp_gt_i16_sdwa s22, v17, v61 src0_sel:BYTE_3 src1_sel:DWORD
	s_mov_b32 s16, 0
	s_and_saveexec_b32 s23, s22
	s_xor_b32 s22, exec_lo, s23
	s_cbranch_execz .LBB6_13171
; %bb.11977:                            ;   in Loop: Header=BB6_10551 Depth=3
	v_cmp_eq_u16_sdwa s73, v17, v62 src0_sel:BYTE_3 src1_sel:DWORD
	s_mov_b32 s16, -1
	s_and_saveexec_b32 s23, s73
; %bb.11978:                            ;   in Loop: Header=BB6_10551 Depth=3
	s_xor_b32 s16, exec_lo, -1
; %bb.11979:                            ;   in Loop: Header=BB6_10551 Depth=3
	s_or_b32 exec_lo, exec_lo, s23
	s_and_b32 s16, s16, exec_lo
	s_or_saveexec_b32 s22, s22
	v_mov_b32_e32 v21, 0x7f800001
	s_xor_b32 exec_lo, exec_lo, s22
	s_cbranch_execnz .LBB6_13172
.LBB6_11980:                            ;   in Loop: Header=BB6_10551 Depth=3
	s_or_b32 exec_lo, exec_lo, s22
	s_and_saveexec_b32 s22, s16
	s_cbranch_execz .LBB6_11982
.LBB6_11981:                            ;   in Loop: Header=BB6_10551 Depth=3
	v_bfe_u32 v21, v17, 24, 3
	v_bfe_u32 v87, v17, 27, 4
	v_ffbh_u32_e32 v31, v21
	v_cmp_eq_u32_e32 vcc_lo, 0, v87
	v_min_u32_e32 v31, 32, v31
	v_subrev_nc_u32_e32 v86, 28, v31
	v_sub_nc_u32_e32 v31, 29, v31
	v_lshlrev_b32_sdwa v86, v86, v17 dst_sel:DWORD dst_unused:UNUSED_PAD src0_sel:DWORD src1_sel:BYTE_3
	v_cndmask_b32_e32 v31, v87, v31, vcc_lo
	v_and_b32_e32 v17, 0x80000000, v17
	v_and_b32_e32 v86, 7, v86
	v_lshl_add_u32 v31, v31, 23, 0x3b800000
	v_cndmask_b32_e32 v21, v21, v86, vcc_lo
	v_lshlrev_b32_e32 v21, 20, v21
	v_or3_b32 v21, v17, v31, v21
.LBB6_11982:                            ;   in Loop: Header=BB6_10551 Depth=3
	s_or_b32 exec_lo, exec_lo, s22
	v_max_f32_e32 v17, v21, v21
	v_max_f32_e32 v1, v1, v1
	v_min_f32_e32 v1, v1, v17
.LBB6_11983:                            ;   in Loop: Header=BB6_10551 Depth=3
	v_and_b32_e32 v17, 0x7f800000, v1
	v_cmp_ne_u32_e32 vcc_lo, 0x7f800000, v17
	v_mov_b32_e32 v17, 0x8000
	s_and_saveexec_b32 s22, vcc_lo
	s_cbranch_execz .LBB6_11991
; %bb.11984:                            ;   in Loop: Header=BB6_10551 Depth=3
	v_mov_b32_e32 v17, 0
	s_mov_b32 s23, exec_lo
	v_cmpx_ne_u32_e32 0, v1
	s_cbranch_execz .LBB6_11990
; %bb.11985:                            ;   in Loop: Header=BB6_10551 Depth=3
	v_bfe_u32 v21, v1, 23, 8
	v_and_b32_e32 v17, 0x7fffff, v1
                                        ; implicit-def: $vgpr98
	v_cmp_gt_u32_e64 s16, 0x79, v21
	v_sub_nc_u32_e32 v31, 0x78, v21
	v_cmp_eq_u32_e32 vcc_lo, 0, v21
	v_or_b32_e32 v86, 0x800000, v17
	v_cndmask_b32_e64 v31, 0, v31, s16
	v_cndmask_b32_e32 v17, v86, v17, vcc_lo
	v_cndmask_b32_e64 v31, v31, 0x77, vcc_lo
	v_lshl_add_u32 v86, 0x100000, v31, -1
	v_lshlrev_b32_e64 v87, v31, 0x80000
	v_and_b32_e32 v86, v86, v17
	v_cmp_eq_u32_e64 s16, v86, v87
	v_lshrrev_b32_e32 v86, v31, v17
	v_add_nc_u32_e32 v17, 0xffffff89, v21
	v_lshrrev_b32_e32 v21, 23, v86
	v_cndmask_b32_e64 v17, v17, 0xffffff8a, vcc_lo
	v_xor_b32_e32 v21, 1, v21
	v_add_nc_u32_e32 v17, v31, v17
	v_bfe_u32 v31, v86, 20, 1
	v_add_nc_u32_e32 v31, -1, v31
	v_cndmask_b32_e64 v31, 0, v31, s16
	s_mov_b32 s16, exec_lo
	v_add_nc_u32_e32 v31, v31, v86
	v_and_b32_e32 v31, 0xfffff, v31
	v_add_nc_u32_e32 v31, v31, v86
	v_cmpx_ne_u32_e64 v17, v21
	s_xor_b32 s16, exec_lo, s16
; %bb.11986:                            ;   in Loop: Header=BB6_10551 Depth=3
	v_cmp_lt_u32_e32 vcc_lo, 0xffffff, v31
	v_sub_nc_u32_e32 v17, v17, v21
	v_cndmask_b32_e64 v21, 0, 1, vcc_lo
	v_add_co_ci_u32_e64 v98, null, 0, v17, vcc_lo
	v_lshrrev_b32_e32 v31, v21, v31
; %bb.11987:                            ;   in Loop: Header=BB6_10551 Depth=3
	s_andn2_saveexec_b32 s16, s16
; %bb.11988:                            ;   in Loop: Header=BB6_10551 Depth=3
	v_bfe_u32 v98, v31, 23, 1
; %bb.11989:                            ;   in Loop: Header=BB6_10551 Depth=3
	s_or_b32 exec_lo, exec_lo, s16
	v_lshrrev_b32_e32 v17, 20, v31
	v_min_i32_e32 v21, 15, v98
	v_cmp_gt_i32_e32 vcc_lo, 16, v98
	v_and_b32_sdwa v1, v1, v62 dst_sel:DWORD dst_unused:UNUSED_PAD src0_sel:BYTE_3 src1_sel:DWORD
	v_lshlrev_b32_e32 v21, 3, v21
	v_cndmask_b32_e32 v17, 7, v17, vcc_lo
	v_and_b32_e32 v21, 0xf8, v21
	v_or_b32_e32 v31, v98, v17
	v_and_b32_e32 v17, 7, v17
	v_cmp_ne_u32_e32 vcc_lo, 0, v31
	v_or3_b32 v1, v1, v21, v17
	v_lshlrev_b32_e32 v1, 8, v1
	v_cndmask_b32_e32 v17, 0, v1, vcc_lo
.LBB6_11990:                            ;   in Loop: Header=BB6_10551 Depth=3
	s_or_b32 exec_lo, exec_lo, s23
.LBB6_11991:                            ;   in Loop: Header=BB6_10551 Depth=3
	s_or_b32 exec_lo, exec_lo, s22
	v_cmp_gt_i16_sdwa s23, v22, v61 src0_sel:BYTE_0 src1_sel:DWORD
	s_andn2_b32 vcc_lo, exec_lo, s19
	s_mov_b32 s16, -1
                                        ; implicit-def: $vgpr1
	s_cbranch_vccnz .LBB6_12005
; %bb.11992:                            ;   in Loop: Header=BB6_10551 Depth=3
	s_mov_b32 s22, 0
	s_and_saveexec_b32 s16, s23
	s_xor_b32 s16, exec_lo, s16
	s_cbranch_execz .LBB6_13173
; %bb.11993:                            ;   in Loop: Header=BB6_10551 Depth=3
	v_cmp_eq_u16_sdwa s73, v22, v62 src0_sel:BYTE_0 src1_sel:DWORD
	s_mov_b32 s22, -1
	s_and_saveexec_b32 s23, s73
; %bb.11994:                            ;   in Loop: Header=BB6_10551 Depth=3
	s_xor_b32 s22, exec_lo, -1
; %bb.11995:                            ;   in Loop: Header=BB6_10551 Depth=3
	s_or_b32 exec_lo, exec_lo, s23
	s_and_b32 s22, s22, exec_lo
	s_or_saveexec_b32 s16, s16
	v_mov_b32_e32 v1, 0x7f800001
	s_xor_b32 exec_lo, exec_lo, s16
	s_cbranch_execnz .LBB6_13174
.LBB6_11996:                            ;   in Loop: Header=BB6_10551 Depth=3
	s_or_b32 exec_lo, exec_lo, s16
	s_and_saveexec_b32 s16, s22
	s_cbranch_execz .LBB6_11998
.LBB6_11997:                            ;   in Loop: Header=BB6_10551 Depth=3
	v_and_b32_e32 v1, 7, v22
	v_bfe_u32 v21, v22, 3, 4
	v_ffbh_u32_e32 v31, v1
	v_cmp_eq_u32_e32 vcc_lo, 0, v21
	v_min_u32_e32 v31, 32, v31
	v_subrev_nc_u32_e32 v86, 28, v31
	v_sub_nc_u32_e32 v31, 29, v31
	v_lshlrev_b32_e32 v86, v86, v22
	v_cndmask_b32_e32 v21, v21, v31, vcc_lo
	v_lshlrev_b32_e32 v31, 24, v22
	v_and_b32_e32 v86, 7, v86
	v_lshl_add_u32 v21, v21, 23, 0x3b800000
	v_and_b32_e32 v31, 0x80000000, v31
	v_cndmask_b32_e32 v1, v1, v86, vcc_lo
	v_lshlrev_b32_e32 v1, 20, v1
	v_or3_b32 v1, v31, v21, v1
.LBB6_11998:                            ;   in Loop: Header=BB6_10551 Depth=3
	s_or_b32 exec_lo, exec_lo, s16
	v_cmp_gt_i16_sdwa s16, v18, v61 src0_sel:BYTE_0 src1_sel:DWORD
	s_mov_b32 s22, 0
	s_and_saveexec_b32 s23, s16
	s_xor_b32 s16, exec_lo, s23
	s_cbranch_execz .LBB6_13175
; %bb.11999:                            ;   in Loop: Header=BB6_10551 Depth=3
	v_cmp_eq_u16_sdwa s73, v18, v62 src0_sel:BYTE_0 src1_sel:DWORD
	s_mov_b32 s22, -1
	s_and_saveexec_b32 s23, s73
; %bb.12000:                            ;   in Loop: Header=BB6_10551 Depth=3
	s_xor_b32 s22, exec_lo, -1
; %bb.12001:                            ;   in Loop: Header=BB6_10551 Depth=3
	s_or_b32 exec_lo, exec_lo, s23
	s_and_b32 s22, s22, exec_lo
	s_or_saveexec_b32 s16, s16
	v_mov_b32_e32 v21, 0x7f800001
	s_xor_b32 exec_lo, exec_lo, s16
	s_cbranch_execnz .LBB6_13176
.LBB6_12002:                            ;   in Loop: Header=BB6_10551 Depth=3
	s_or_b32 exec_lo, exec_lo, s16
	s_and_saveexec_b32 s16, s22
	s_cbranch_execz .LBB6_12004
.LBB6_12003:                            ;   in Loop: Header=BB6_10551 Depth=3
	v_and_b32_e32 v21, 7, v18
	v_bfe_u32 v31, v18, 3, 4
	v_ffbh_u32_e32 v86, v21
	v_cmp_eq_u32_e32 vcc_lo, 0, v31
	v_min_u32_e32 v86, 32, v86
	v_subrev_nc_u32_e32 v87, 28, v86
	v_sub_nc_u32_e32 v86, 29, v86
	v_lshlrev_b32_e32 v87, v87, v18
	v_cndmask_b32_e32 v31, v31, v86, vcc_lo
	v_lshlrev_b32_e32 v86, 24, v18
	v_and_b32_e32 v87, 7, v87
	v_lshl_add_u32 v31, v31, 23, 0x3b800000
	v_and_b32_e32 v86, 0x80000000, v86
	v_cndmask_b32_e32 v21, v21, v87, vcc_lo
	v_lshlrev_b32_e32 v21, 20, v21
	v_or3_b32 v21, v86, v31, v21
.LBB6_12004:                            ;   in Loop: Header=BB6_10551 Depth=3
	s_or_b32 exec_lo, exec_lo, s16
	v_max_f32_e32 v21, v21, v21
	v_max_f32_e32 v1, v1, v1
	s_mov_b32 s16, 0
	v_max_f32_e32 v1, v1, v21
.LBB6_12005:                            ;   in Loop: Header=BB6_10551 Depth=3
	s_and_b32 vcc_lo, exec_lo, s16
	s_cbranch_vccz .LBB6_12019
; %bb.12006:                            ;   in Loop: Header=BB6_10551 Depth=3
	v_cmp_gt_i16_sdwa s16, v22, v61 src0_sel:BYTE_0 src1_sel:DWORD
	s_mov_b32 s22, 0
	s_and_saveexec_b32 s23, s16
	s_xor_b32 s16, exec_lo, s23
	s_cbranch_execz .LBB6_13177
; %bb.12007:                            ;   in Loop: Header=BB6_10551 Depth=3
	v_cmp_eq_u16_sdwa s73, v22, v62 src0_sel:BYTE_0 src1_sel:DWORD
	s_mov_b32 s22, -1
	s_and_saveexec_b32 s23, s73
; %bb.12008:                            ;   in Loop: Header=BB6_10551 Depth=3
	s_xor_b32 s22, exec_lo, -1
; %bb.12009:                            ;   in Loop: Header=BB6_10551 Depth=3
	s_or_b32 exec_lo, exec_lo, s23
	s_and_b32 s22, s22, exec_lo
	s_or_saveexec_b32 s16, s16
	v_mov_b32_e32 v1, 0x7f800001
	s_xor_b32 exec_lo, exec_lo, s16
	s_cbranch_execnz .LBB6_13178
.LBB6_12010:                            ;   in Loop: Header=BB6_10551 Depth=3
	s_or_b32 exec_lo, exec_lo, s16
	s_and_saveexec_b32 s16, s22
	s_cbranch_execz .LBB6_12012
.LBB6_12011:                            ;   in Loop: Header=BB6_10551 Depth=3
	v_and_b32_e32 v1, 7, v22
	v_bfe_u32 v21, v22, 3, 4
	v_ffbh_u32_e32 v31, v1
	v_cmp_eq_u32_e32 vcc_lo, 0, v21
	v_min_u32_e32 v31, 32, v31
	v_subrev_nc_u32_e32 v86, 28, v31
	v_sub_nc_u32_e32 v31, 29, v31
	v_lshlrev_b32_e32 v86, v86, v22
	v_cndmask_b32_e32 v21, v21, v31, vcc_lo
	v_lshlrev_b32_e32 v31, 24, v22
	v_and_b32_e32 v86, 7, v86
	v_lshl_add_u32 v21, v21, 23, 0x3b800000
	v_and_b32_e32 v31, 0x80000000, v31
	v_cndmask_b32_e32 v1, v1, v86, vcc_lo
	v_lshlrev_b32_e32 v1, 20, v1
	v_or3_b32 v1, v31, v21, v1
.LBB6_12012:                            ;   in Loop: Header=BB6_10551 Depth=3
	s_or_b32 exec_lo, exec_lo, s16
	v_cmp_gt_i16_sdwa s16, v18, v61 src0_sel:BYTE_0 src1_sel:DWORD
	s_mov_b32 s22, 0
	s_and_saveexec_b32 s23, s16
	s_xor_b32 s16, exec_lo, s23
	s_cbranch_execz .LBB6_13179
; %bb.12013:                            ;   in Loop: Header=BB6_10551 Depth=3
	v_cmp_eq_u16_sdwa s73, v18, v62 src0_sel:BYTE_0 src1_sel:DWORD
	s_mov_b32 s22, -1
	s_and_saveexec_b32 s23, s73
; %bb.12014:                            ;   in Loop: Header=BB6_10551 Depth=3
	s_xor_b32 s22, exec_lo, -1
; %bb.12015:                            ;   in Loop: Header=BB6_10551 Depth=3
	s_or_b32 exec_lo, exec_lo, s23
	s_and_b32 s22, s22, exec_lo
	s_or_saveexec_b32 s16, s16
	v_mov_b32_e32 v21, 0x7f800001
	s_xor_b32 exec_lo, exec_lo, s16
	s_cbranch_execnz .LBB6_13180
.LBB6_12016:                            ;   in Loop: Header=BB6_10551 Depth=3
	s_or_b32 exec_lo, exec_lo, s16
	s_and_saveexec_b32 s16, s22
	s_cbranch_execz .LBB6_12018
.LBB6_12017:                            ;   in Loop: Header=BB6_10551 Depth=3
	v_and_b32_e32 v21, 7, v18
	v_bfe_u32 v31, v18, 3, 4
	v_ffbh_u32_e32 v86, v21
	v_cmp_eq_u32_e32 vcc_lo, 0, v31
	v_min_u32_e32 v86, 32, v86
	v_subrev_nc_u32_e32 v87, 28, v86
	v_sub_nc_u32_e32 v86, 29, v86
	v_lshlrev_b32_e32 v87, v87, v18
	v_cndmask_b32_e32 v31, v31, v86, vcc_lo
	v_lshlrev_b32_e32 v86, 24, v18
	v_and_b32_e32 v87, 7, v87
	v_lshl_add_u32 v31, v31, 23, 0x3b800000
	v_and_b32_e32 v86, 0x80000000, v86
	v_cndmask_b32_e32 v21, v21, v87, vcc_lo
	v_lshlrev_b32_e32 v21, 20, v21
	v_or3_b32 v21, v86, v31, v21
.LBB6_12018:                            ;   in Loop: Header=BB6_10551 Depth=3
	s_or_b32 exec_lo, exec_lo, s16
	v_max_f32_e32 v21, v21, v21
	v_max_f32_e32 v1, v1, v1
	v_min_f32_e32 v1, v1, v21
.LBB6_12019:                            ;   in Loop: Header=BB6_10551 Depth=3
	v_and_b32_e32 v21, 0x7f800000, v1
	v_cmp_ne_u32_e32 vcc_lo, 0x7f800000, v21
	v_mov_b32_e32 v21, 0x80
	s_and_saveexec_b32 s22, vcc_lo
	s_cbranch_execz .LBB6_12027
; %bb.12020:                            ;   in Loop: Header=BB6_10551 Depth=3
	v_mov_b32_e32 v21, 0
	s_mov_b32 s23, exec_lo
	v_cmpx_ne_u32_e32 0, v1
	s_cbranch_execz .LBB6_12026
; %bb.12021:                            ;   in Loop: Header=BB6_10551 Depth=3
	v_bfe_u32 v31, v1, 23, 8
	v_and_b32_e32 v21, 0x7fffff, v1
                                        ; implicit-def: $vgpr99
	v_cmp_gt_u32_e64 s16, 0x79, v31
	v_sub_nc_u32_e32 v86, 0x78, v31
	v_cmp_eq_u32_e32 vcc_lo, 0, v31
	v_or_b32_e32 v87, 0x800000, v21
	v_cndmask_b32_e64 v86, 0, v86, s16
	v_cndmask_b32_e32 v21, v87, v21, vcc_lo
	v_cndmask_b32_e64 v86, v86, 0x77, vcc_lo
	v_lshl_add_u32 v87, 0x100000, v86, -1
	v_lshlrev_b32_e64 v98, v86, 0x80000
	v_and_b32_e32 v87, v87, v21
	v_cmp_eq_u32_e64 s16, v87, v98
	v_lshrrev_b32_e32 v87, v86, v21
	v_add_nc_u32_e32 v21, 0xffffff89, v31
	v_lshrrev_b32_e32 v31, 23, v87
	v_cndmask_b32_e64 v21, v21, 0xffffff8a, vcc_lo
	v_xor_b32_e32 v31, 1, v31
	v_add_nc_u32_e32 v21, v86, v21
	v_bfe_u32 v86, v87, 20, 1
	v_add_nc_u32_e32 v86, -1, v86
	v_cndmask_b32_e64 v86, 0, v86, s16
	s_mov_b32 s16, exec_lo
	v_add_nc_u32_e32 v86, v86, v87
	v_and_b32_e32 v86, 0xfffff, v86
	v_add_nc_u32_e32 v98, v86, v87
	v_cmpx_ne_u32_e64 v21, v31
	s_xor_b32 s16, exec_lo, s16
; %bb.12022:                            ;   in Loop: Header=BB6_10551 Depth=3
	v_cmp_lt_u32_e32 vcc_lo, 0xffffff, v98
	v_sub_nc_u32_e32 v21, v21, v31
	v_cndmask_b32_e64 v31, 0, 1, vcc_lo
	v_add_co_ci_u32_e64 v99, null, 0, v21, vcc_lo
	v_lshrrev_b32_e32 v98, v31, v98
; %bb.12023:                            ;   in Loop: Header=BB6_10551 Depth=3
	s_andn2_saveexec_b32 s16, s16
; %bb.12024:                            ;   in Loop: Header=BB6_10551 Depth=3
	v_bfe_u32 v99, v98, 23, 1
; %bb.12025:                            ;   in Loop: Header=BB6_10551 Depth=3
	s_or_b32 exec_lo, exec_lo, s16
	v_lshrrev_b32_e32 v21, 20, v98
	v_min_i32_e32 v31, 15, v99
	v_cmp_gt_i32_e32 vcc_lo, 16, v99
	v_and_b32_sdwa v1, v1, v62 dst_sel:DWORD dst_unused:UNUSED_PAD src0_sel:BYTE_3 src1_sel:DWORD
	v_lshlrev_b32_e32 v31, 3, v31
	v_cndmask_b32_e32 v21, 7, v21, vcc_lo
	v_and_b32_e32 v31, 0xf8, v31
	v_or_b32_e32 v86, v99, v21
	v_and_b32_e32 v21, 7, v21
	v_cmp_ne_u32_e32 vcc_lo, 0, v86
	v_or3_b32 v1, v31, v1, v21
	v_cndmask_b32_e32 v21, 0, v1, vcc_lo
.LBB6_12026:                            ;   in Loop: Header=BB6_10551 Depth=3
	s_or_b32 exec_lo, exec_lo, s23
.LBB6_12027:                            ;   in Loop: Header=BB6_10551 Depth=3
	s_or_b32 exec_lo, exec_lo, s22
	v_cmp_gt_i16_sdwa s22, v22, v61 src0_sel:BYTE_1 src1_sel:DWORD
	s_andn2_b32 vcc_lo, exec_lo, s19
	s_mov_b32 s16, -1
                                        ; implicit-def: $vgpr1
	s_cbranch_vccnz .LBB6_12041
; %bb.12028:                            ;   in Loop: Header=BB6_10551 Depth=3
	s_mov_b32 s16, 0
	s_and_saveexec_b32 s23, s22
	s_xor_b32 s22, exec_lo, s23
	s_cbranch_execz .LBB6_13181
; %bb.12029:                            ;   in Loop: Header=BB6_10551 Depth=3
	v_cmp_eq_u16_sdwa s73, v22, v62 src0_sel:BYTE_1 src1_sel:DWORD
	s_mov_b32 s16, -1
	s_and_saveexec_b32 s23, s73
; %bb.12030:                            ;   in Loop: Header=BB6_10551 Depth=3
	s_xor_b32 s16, exec_lo, -1
; %bb.12031:                            ;   in Loop: Header=BB6_10551 Depth=3
	s_or_b32 exec_lo, exec_lo, s23
	s_and_b32 s16, s16, exec_lo
	s_or_saveexec_b32 s22, s22
	v_mov_b32_e32 v1, 0x7f800001
	s_xor_b32 exec_lo, exec_lo, s22
	s_cbranch_execnz .LBB6_13182
.LBB6_12032:                            ;   in Loop: Header=BB6_10551 Depth=3
	s_or_b32 exec_lo, exec_lo, s22
	s_and_saveexec_b32 s22, s16
	s_cbranch_execz .LBB6_12034
.LBB6_12033:                            ;   in Loop: Header=BB6_10551 Depth=3
	v_and_b32_sdwa v1, v63, v22 dst_sel:DWORD dst_unused:UNUSED_PAD src0_sel:DWORD src1_sel:BYTE_1
	v_and_b32_e32 v31, 7, v1
	v_bfe_u32 v98, v1, 3, 4
	v_ffbh_u32_e32 v86, v31
	v_cmp_eq_u32_e32 vcc_lo, 0, v98
	v_min_u32_e32 v86, 32, v86
	v_subrev_nc_u32_e32 v87, 28, v86
	v_sub_nc_u32_e32 v86, 29, v86
	v_lshlrev_b32_e32 v1, v87, v1
	v_lshlrev_b32_e32 v87, 16, v22
	v_cndmask_b32_e32 v86, v98, v86, vcc_lo
	v_and_b32_e32 v1, 7, v1
	v_lshl_add_u32 v86, v86, 23, 0x3b800000
	v_cndmask_b32_e32 v1, v31, v1, vcc_lo
	v_and_b32_e32 v31, 0x80000000, v87
	v_lshlrev_b32_e32 v1, 20, v1
	v_or3_b32 v1, v31, v86, v1
.LBB6_12034:                            ;   in Loop: Header=BB6_10551 Depth=3
	s_or_b32 exec_lo, exec_lo, s22
	v_cmp_gt_i16_sdwa s22, v18, v61 src0_sel:BYTE_1 src1_sel:DWORD
	s_mov_b32 s16, 0
	s_and_saveexec_b32 s23, s22
	s_xor_b32 s22, exec_lo, s23
	s_cbranch_execz .LBB6_13183
; %bb.12035:                            ;   in Loop: Header=BB6_10551 Depth=3
	v_cmp_eq_u16_sdwa s73, v18, v62 src0_sel:BYTE_1 src1_sel:DWORD
	s_mov_b32 s16, -1
	s_and_saveexec_b32 s23, s73
; %bb.12036:                            ;   in Loop: Header=BB6_10551 Depth=3
	s_xor_b32 s16, exec_lo, -1
; %bb.12037:                            ;   in Loop: Header=BB6_10551 Depth=3
	s_or_b32 exec_lo, exec_lo, s23
	s_and_b32 s16, s16, exec_lo
	s_or_saveexec_b32 s22, s22
	v_mov_b32_e32 v31, 0x7f800001
	s_xor_b32 exec_lo, exec_lo, s22
	s_cbranch_execnz .LBB6_13184
.LBB6_12038:                            ;   in Loop: Header=BB6_10551 Depth=3
	s_or_b32 exec_lo, exec_lo, s22
	s_and_saveexec_b32 s22, s16
	s_cbranch_execz .LBB6_12040
.LBB6_12039:                            ;   in Loop: Header=BB6_10551 Depth=3
	v_and_b32_sdwa v31, v63, v18 dst_sel:DWORD dst_unused:UNUSED_PAD src0_sel:DWORD src1_sel:BYTE_1
	v_and_b32_e32 v86, 7, v31
	v_bfe_u32 v99, v31, 3, 4
	v_ffbh_u32_e32 v87, v86
	v_cmp_eq_u32_e32 vcc_lo, 0, v99
	v_min_u32_e32 v87, 32, v87
	v_subrev_nc_u32_e32 v98, 28, v87
	v_sub_nc_u32_e32 v87, 29, v87
	v_lshlrev_b32_e32 v31, v98, v31
	v_lshlrev_b32_e32 v98, 16, v18
	v_cndmask_b32_e32 v87, v99, v87, vcc_lo
	v_and_b32_e32 v31, 7, v31
	v_lshl_add_u32 v87, v87, 23, 0x3b800000
	v_cndmask_b32_e32 v31, v86, v31, vcc_lo
	v_and_b32_e32 v86, 0x80000000, v98
	v_lshlrev_b32_e32 v31, 20, v31
	v_or3_b32 v31, v86, v87, v31
.LBB6_12040:                            ;   in Loop: Header=BB6_10551 Depth=3
	s_or_b32 exec_lo, exec_lo, s22
	v_max_f32_e32 v31, v31, v31
	v_max_f32_e32 v1, v1, v1
	s_mov_b32 s16, 0
	v_max_f32_e32 v1, v1, v31
.LBB6_12041:                            ;   in Loop: Header=BB6_10551 Depth=3
	s_and_b32 vcc_lo, exec_lo, s16
	s_cbranch_vccz .LBB6_12055
; %bb.12042:                            ;   in Loop: Header=BB6_10551 Depth=3
	v_cmp_gt_i16_sdwa s22, v22, v61 src0_sel:BYTE_1 src1_sel:DWORD
	s_mov_b32 s16, 0
	s_and_saveexec_b32 s23, s22
	s_xor_b32 s22, exec_lo, s23
	s_cbranch_execz .LBB6_13185
; %bb.12043:                            ;   in Loop: Header=BB6_10551 Depth=3
	v_cmp_eq_u16_sdwa s73, v22, v62 src0_sel:BYTE_1 src1_sel:DWORD
	s_mov_b32 s16, -1
	s_and_saveexec_b32 s23, s73
; %bb.12044:                            ;   in Loop: Header=BB6_10551 Depth=3
	s_xor_b32 s16, exec_lo, -1
; %bb.12045:                            ;   in Loop: Header=BB6_10551 Depth=3
	s_or_b32 exec_lo, exec_lo, s23
	s_and_b32 s16, s16, exec_lo
	s_or_saveexec_b32 s22, s22
	v_mov_b32_e32 v1, 0x7f800001
	s_xor_b32 exec_lo, exec_lo, s22
	s_cbranch_execnz .LBB6_13186
.LBB6_12046:                            ;   in Loop: Header=BB6_10551 Depth=3
	s_or_b32 exec_lo, exec_lo, s22
	s_and_saveexec_b32 s22, s16
	s_cbranch_execz .LBB6_12048
.LBB6_12047:                            ;   in Loop: Header=BB6_10551 Depth=3
	v_and_b32_sdwa v1, v63, v22 dst_sel:DWORD dst_unused:UNUSED_PAD src0_sel:DWORD src1_sel:BYTE_1
	v_and_b32_e32 v31, 7, v1
	v_bfe_u32 v98, v1, 3, 4
	v_ffbh_u32_e32 v86, v31
	v_cmp_eq_u32_e32 vcc_lo, 0, v98
	v_min_u32_e32 v86, 32, v86
	v_subrev_nc_u32_e32 v87, 28, v86
	v_sub_nc_u32_e32 v86, 29, v86
	v_lshlrev_b32_e32 v1, v87, v1
	v_lshlrev_b32_e32 v87, 16, v22
	v_cndmask_b32_e32 v86, v98, v86, vcc_lo
	v_and_b32_e32 v1, 7, v1
	v_lshl_add_u32 v86, v86, 23, 0x3b800000
	v_cndmask_b32_e32 v1, v31, v1, vcc_lo
	v_and_b32_e32 v31, 0x80000000, v87
	v_lshlrev_b32_e32 v1, 20, v1
	v_or3_b32 v1, v31, v86, v1
.LBB6_12048:                            ;   in Loop: Header=BB6_10551 Depth=3
	s_or_b32 exec_lo, exec_lo, s22
	v_cmp_gt_i16_sdwa s22, v18, v61 src0_sel:BYTE_1 src1_sel:DWORD
	s_mov_b32 s16, 0
	s_and_saveexec_b32 s23, s22
	s_xor_b32 s22, exec_lo, s23
	s_cbranch_execz .LBB6_13187
; %bb.12049:                            ;   in Loop: Header=BB6_10551 Depth=3
	v_cmp_eq_u16_sdwa s73, v18, v62 src0_sel:BYTE_1 src1_sel:DWORD
	s_mov_b32 s16, -1
	s_and_saveexec_b32 s23, s73
; %bb.12050:                            ;   in Loop: Header=BB6_10551 Depth=3
	s_xor_b32 s16, exec_lo, -1
; %bb.12051:                            ;   in Loop: Header=BB6_10551 Depth=3
	s_or_b32 exec_lo, exec_lo, s23
	s_and_b32 s16, s16, exec_lo
	s_or_saveexec_b32 s22, s22
	v_mov_b32_e32 v31, 0x7f800001
	s_xor_b32 exec_lo, exec_lo, s22
	s_cbranch_execnz .LBB6_13188
.LBB6_12052:                            ;   in Loop: Header=BB6_10551 Depth=3
	s_or_b32 exec_lo, exec_lo, s22
	s_and_saveexec_b32 s22, s16
	s_cbranch_execz .LBB6_12054
.LBB6_12053:                            ;   in Loop: Header=BB6_10551 Depth=3
	v_and_b32_sdwa v31, v63, v18 dst_sel:DWORD dst_unused:UNUSED_PAD src0_sel:DWORD src1_sel:BYTE_1
	v_and_b32_e32 v86, 7, v31
	v_bfe_u32 v99, v31, 3, 4
	v_ffbh_u32_e32 v87, v86
	v_cmp_eq_u32_e32 vcc_lo, 0, v99
	v_min_u32_e32 v87, 32, v87
	v_subrev_nc_u32_e32 v98, 28, v87
	v_sub_nc_u32_e32 v87, 29, v87
	v_lshlrev_b32_e32 v31, v98, v31
	v_lshlrev_b32_e32 v98, 16, v18
	v_cndmask_b32_e32 v87, v99, v87, vcc_lo
	v_and_b32_e32 v31, 7, v31
	v_lshl_add_u32 v87, v87, 23, 0x3b800000
	v_cndmask_b32_e32 v31, v86, v31, vcc_lo
	v_and_b32_e32 v86, 0x80000000, v98
	v_lshlrev_b32_e32 v31, 20, v31
	v_or3_b32 v31, v86, v87, v31
.LBB6_12054:                            ;   in Loop: Header=BB6_10551 Depth=3
	s_or_b32 exec_lo, exec_lo, s22
	v_max_f32_e32 v31, v31, v31
	v_max_f32_e32 v1, v1, v1
	v_min_f32_e32 v1, v1, v31
.LBB6_12055:                            ;   in Loop: Header=BB6_10551 Depth=3
	v_and_b32_e32 v31, 0x7f800000, v1
	v_mov_b32_e32 v56, 0x8000
	s_mov_b32 s22, exec_lo
	v_cmpx_ne_u32_e32 0x7f800000, v31
	s_cbranch_execz .LBB6_12063
; %bb.12056:                            ;   in Loop: Header=BB6_10551 Depth=3
	v_mov_b32_e32 v56, 0
	s_mov_b32 s23, exec_lo
	v_cmpx_ne_u32_e32 0, v1
	s_cbranch_execz .LBB6_12062
; %bb.12057:                            ;   in Loop: Header=BB6_10551 Depth=3
	v_bfe_u32 v86, v1, 23, 8
	v_and_b32_e32 v31, 0x7fffff, v1
                                        ; implicit-def: $vgpr112
	v_cmp_gt_u32_e64 s16, 0x79, v86
	v_sub_nc_u32_e32 v87, 0x78, v86
	v_cmp_eq_u32_e32 vcc_lo, 0, v86
	v_or_b32_e32 v98, 0x800000, v31
	v_cndmask_b32_e64 v87, 0, v87, s16
	v_cndmask_b32_e32 v31, v98, v31, vcc_lo
	v_cndmask_b32_e64 v87, v87, 0x77, vcc_lo
	v_lshl_add_u32 v98, 0x100000, v87, -1
	v_lshlrev_b32_e64 v99, v87, 0x80000
	v_and_b32_e32 v98, v98, v31
	v_cmp_eq_u32_e64 s16, v98, v99
	v_lshrrev_b32_e32 v99, v87, v31
	v_add_nc_u32_e32 v31, 0xffffff89, v86
	v_lshrrev_b32_e32 v86, 23, v99
	v_cndmask_b32_e64 v31, v31, 0xffffff8a, vcc_lo
	v_xor_b32_e32 v98, 1, v86
	v_bfe_u32 v86, v99, 20, 1
	v_add_nc_u32_e32 v31, v87, v31
	v_add_nc_u32_e32 v86, -1, v86
	v_cndmask_b32_e64 v86, 0, v86, s16
	s_mov_b32 s16, exec_lo
	v_add_nc_u32_e32 v86, v86, v99
	v_and_b32_e32 v86, 0xfffff, v86
	v_add_nc_u32_e32 v99, v86, v99
	v_cmpx_ne_u32_e64 v31, v98
	s_xor_b32 s16, exec_lo, s16
; %bb.12058:                            ;   in Loop: Header=BB6_10551 Depth=3
	v_cmp_lt_u32_e32 vcc_lo, 0xffffff, v99
	v_sub_nc_u32_e32 v31, v31, v98
	v_cndmask_b32_e64 v86, 0, 1, vcc_lo
	v_add_co_ci_u32_e64 v112, null, 0, v31, vcc_lo
	v_lshrrev_b32_e32 v99, v86, v99
; %bb.12059:                            ;   in Loop: Header=BB6_10551 Depth=3
	s_andn2_saveexec_b32 s16, s16
; %bb.12060:                            ;   in Loop: Header=BB6_10551 Depth=3
	v_bfe_u32 v112, v99, 23, 1
; %bb.12061:                            ;   in Loop: Header=BB6_10551 Depth=3
	s_or_b32 exec_lo, exec_lo, s16
	v_lshrrev_b32_e32 v31, 20, v99
	v_min_i32_e32 v86, 15, v112
	v_cmp_gt_i32_e32 vcc_lo, 16, v112
	v_and_b32_sdwa v1, v1, v62 dst_sel:DWORD dst_unused:UNUSED_PAD src0_sel:BYTE_3 src1_sel:DWORD
	v_lshlrev_b32_e32 v86, 3, v86
	v_cndmask_b32_e32 v31, 7, v31, vcc_lo
	v_and_b32_e32 v86, 0xf8, v86
	v_or_b32_e32 v87, v112, v31
	v_and_b32_e32 v31, 7, v31
	v_cmp_ne_u32_e32 vcc_lo, 0, v87
	v_or3_b32 v1, v1, v86, v31
	v_lshlrev_b32_e32 v1, 8, v1
	v_cndmask_b32_e32 v56, 0, v1, vcc_lo
.LBB6_12062:                            ;   in Loop: Header=BB6_10551 Depth=3
	s_or_b32 exec_lo, exec_lo, s23
.LBB6_12063:                            ;   in Loop: Header=BB6_10551 Depth=3
	s_or_b32 exec_lo, exec_lo, s22
	v_and_b32_sdwa v1, v22, v72 dst_sel:DWORD dst_unused:UNUSED_PAD src0_sel:WORD_1 src1_sel:DWORD
	s_andn2_b32 vcc_lo, exec_lo, s19
	s_mov_b32 s22, -1
                                        ; implicit-def: $vgpr98
	v_cmp_lt_i16_e64 s16, 0x7f, v1
	s_cbranch_vccnz .LBB6_12077
; %bb.12064:                            ;   in Loop: Header=BB6_10551 Depth=3
	s_mov_b32 s22, 0
	s_and_saveexec_b32 s23, s16
	s_xor_b32 s16, exec_lo, s23
	s_cbranch_execz .LBB6_13189
; %bb.12065:                            ;   in Loop: Header=BB6_10551 Depth=3
	s_mov_b32 s22, -1
	s_mov_b32 s23, exec_lo
	v_cmpx_eq_u16_e32 0x80, v1
; %bb.12066:                            ;   in Loop: Header=BB6_10551 Depth=3
	s_xor_b32 s22, exec_lo, -1
; %bb.12067:                            ;   in Loop: Header=BB6_10551 Depth=3
	s_or_b32 exec_lo, exec_lo, s23
	s_and_b32 s22, s22, exec_lo
	s_or_saveexec_b32 s16, s16
	v_mov_b32_e32 v31, 0x7f800001
	s_xor_b32 exec_lo, exec_lo, s16
	s_cbranch_execnz .LBB6_13190
.LBB6_12068:                            ;   in Loop: Header=BB6_10551 Depth=3
	s_or_b32 exec_lo, exec_lo, s16
	s_and_saveexec_b32 s16, s22
	s_cbranch_execz .LBB6_12070
.LBB6_12069:                            ;   in Loop: Header=BB6_10551 Depth=3
	v_bfe_u32 v31, v22, 16, 3
	v_bfe_u32 v86, v22, 19, 4
	v_ffbh_u32_e32 v87, v31
	v_cmp_eq_u32_e32 vcc_lo, 0, v86
	v_min_u32_e32 v87, 32, v87
	v_subrev_nc_u32_e32 v98, 28, v87
	v_sub_nc_u32_e32 v87, 29, v87
	v_lshlrev_b32_sdwa v98, v98, v22 dst_sel:DWORD dst_unused:UNUSED_PAD src0_sel:DWORD src1_sel:WORD_1
	v_cndmask_b32_e32 v86, v86, v87, vcc_lo
	v_lshlrev_b32_sdwa v87, v73, v22 dst_sel:DWORD dst_unused:UNUSED_PAD src0_sel:DWORD src1_sel:WORD_1
	v_and_b32_e32 v98, 7, v98
	v_lshl_add_u32 v86, v86, 23, 0x3b800000
	v_and_b32_e32 v87, 0x80000000, v87
	v_cndmask_b32_e32 v31, v31, v98, vcc_lo
	v_lshlrev_b32_e32 v31, 20, v31
	v_or3_b32 v31, v87, v86, v31
.LBB6_12070:                            ;   in Loop: Header=BB6_10551 Depth=3
	s_or_b32 exec_lo, exec_lo, s16
	v_and_b32_sdwa v87, v18, v72 dst_sel:DWORD dst_unused:UNUSED_PAD src0_sel:WORD_1 src1_sel:DWORD
	s_mov_b32 s22, 0
	s_mov_b32 s16, exec_lo
	v_cmpx_lt_i16_e32 0x7f, v87
	s_xor_b32 s16, exec_lo, s16
	s_cbranch_execz .LBB6_13191
; %bb.12071:                            ;   in Loop: Header=BB6_10551 Depth=3
	s_mov_b32 s22, -1
	s_mov_b32 s23, exec_lo
	v_cmpx_eq_u16_e32 0x80, v87
; %bb.12072:                            ;   in Loop: Header=BB6_10551 Depth=3
	s_xor_b32 s22, exec_lo, -1
; %bb.12073:                            ;   in Loop: Header=BB6_10551 Depth=3
	s_or_b32 exec_lo, exec_lo, s23
	s_and_b32 s22, s22, exec_lo
                                        ; implicit-def: $vgpr87
	s_or_saveexec_b32 s16, s16
	v_mov_b32_e32 v86, 0x7f800001
	s_xor_b32 exec_lo, exec_lo, s16
	s_cbranch_execnz .LBB6_13192
.LBB6_12074:                            ;   in Loop: Header=BB6_10551 Depth=3
	s_or_b32 exec_lo, exec_lo, s16
	s_and_saveexec_b32 s16, s22
	s_cbranch_execz .LBB6_12076
.LBB6_12075:                            ;   in Loop: Header=BB6_10551 Depth=3
	v_bfe_u32 v86, v18, 16, 3
	v_bfe_u32 v87, v18, 19, 4
	v_ffbh_u32_e32 v98, v86
	v_cmp_eq_u32_e32 vcc_lo, 0, v87
	v_min_u32_e32 v98, 32, v98
	v_subrev_nc_u32_e32 v99, 28, v98
	v_sub_nc_u32_e32 v98, 29, v98
	v_lshlrev_b32_sdwa v99, v99, v18 dst_sel:DWORD dst_unused:UNUSED_PAD src0_sel:DWORD src1_sel:WORD_1
	v_cndmask_b32_e32 v87, v87, v98, vcc_lo
	v_lshlrev_b32_sdwa v98, v73, v18 dst_sel:DWORD dst_unused:UNUSED_PAD src0_sel:DWORD src1_sel:WORD_1
	v_and_b32_e32 v99, 7, v99
	v_lshl_add_u32 v87, v87, 23, 0x3b800000
	v_and_b32_e32 v98, 0x80000000, v98
	v_cndmask_b32_e32 v86, v86, v99, vcc_lo
	v_lshlrev_b32_e32 v86, 20, v86
	v_or3_b32 v86, v98, v87, v86
.LBB6_12076:                            ;   in Loop: Header=BB6_10551 Depth=3
	s_or_b32 exec_lo, exec_lo, s16
	v_max_f32_e32 v86, v86, v86
	v_max_f32_e32 v31, v31, v31
	s_mov_b32 s22, 0
	v_max_f32_e32 v98, v31, v86
.LBB6_12077:                            ;   in Loop: Header=BB6_10551 Depth=3
	s_and_b32 vcc_lo, exec_lo, s22
	s_cbranch_vccz .LBB6_12091
; %bb.12078:                            ;   in Loop: Header=BB6_10551 Depth=3
	s_mov_b32 s22, 0
	s_mov_b32 s16, exec_lo
	v_cmpx_lt_i16_e32 0x7f, v1
	s_xor_b32 s16, exec_lo, s16
	s_cbranch_execz .LBB6_13193
; %bb.12079:                            ;   in Loop: Header=BB6_10551 Depth=3
	s_mov_b32 s22, -1
	s_mov_b32 s23, exec_lo
	v_cmpx_eq_u16_e32 0x80, v1
; %bb.12080:                            ;   in Loop: Header=BB6_10551 Depth=3
	s_xor_b32 s22, exec_lo, -1
; %bb.12081:                            ;   in Loop: Header=BB6_10551 Depth=3
	s_or_b32 exec_lo, exec_lo, s23
	s_and_b32 s22, s22, exec_lo
                                        ; implicit-def: $vgpr1
	s_or_saveexec_b32 s16, s16
	v_mov_b32_e32 v31, 0x7f800001
	s_xor_b32 exec_lo, exec_lo, s16
	s_cbranch_execnz .LBB6_13194
.LBB6_12082:                            ;   in Loop: Header=BB6_10551 Depth=3
	s_or_b32 exec_lo, exec_lo, s16
	s_and_saveexec_b32 s16, s22
	s_cbranch_execz .LBB6_12084
.LBB6_12083:                            ;   in Loop: Header=BB6_10551 Depth=3
	v_bfe_u32 v1, v22, 16, 3
	v_bfe_u32 v31, v22, 19, 4
	v_ffbh_u32_e32 v86, v1
	v_cmp_eq_u32_e32 vcc_lo, 0, v31
	v_min_u32_e32 v86, 32, v86
	v_subrev_nc_u32_e32 v87, 28, v86
	v_sub_nc_u32_e32 v86, 29, v86
	v_lshlrev_b32_sdwa v87, v87, v22 dst_sel:DWORD dst_unused:UNUSED_PAD src0_sel:DWORD src1_sel:WORD_1
	v_cndmask_b32_e32 v31, v31, v86, vcc_lo
	v_lshlrev_b32_sdwa v86, v73, v22 dst_sel:DWORD dst_unused:UNUSED_PAD src0_sel:DWORD src1_sel:WORD_1
	v_and_b32_e32 v87, 7, v87
	v_lshl_add_u32 v31, v31, 23, 0x3b800000
	v_and_b32_e32 v86, 0x80000000, v86
	v_cndmask_b32_e32 v1, v1, v87, vcc_lo
	v_lshlrev_b32_e32 v1, 20, v1
	v_or3_b32 v31, v86, v31, v1
.LBB6_12084:                            ;   in Loop: Header=BB6_10551 Depth=3
	s_or_b32 exec_lo, exec_lo, s16
	v_and_b32_sdwa v86, v18, v72 dst_sel:DWORD dst_unused:UNUSED_PAD src0_sel:WORD_1 src1_sel:DWORD
	s_mov_b32 s22, 0
	s_mov_b32 s16, exec_lo
	v_cmpx_lt_i16_e32 0x7f, v86
	s_xor_b32 s16, exec_lo, s16
	s_cbranch_execz .LBB6_13195
; %bb.12085:                            ;   in Loop: Header=BB6_10551 Depth=3
	s_mov_b32 s22, -1
	s_mov_b32 s23, exec_lo
	v_cmpx_eq_u16_e32 0x80, v86
; %bb.12086:                            ;   in Loop: Header=BB6_10551 Depth=3
	s_xor_b32 s22, exec_lo, -1
; %bb.12087:                            ;   in Loop: Header=BB6_10551 Depth=3
	s_or_b32 exec_lo, exec_lo, s23
	s_and_b32 s22, s22, exec_lo
                                        ; implicit-def: $vgpr86
	s_or_saveexec_b32 s16, s16
	v_mov_b32_e32 v1, 0x7f800001
	s_xor_b32 exec_lo, exec_lo, s16
	s_cbranch_execnz .LBB6_13196
.LBB6_12088:                            ;   in Loop: Header=BB6_10551 Depth=3
	s_or_b32 exec_lo, exec_lo, s16
	s_and_saveexec_b32 s16, s22
	s_cbranch_execz .LBB6_12090
.LBB6_12089:                            ;   in Loop: Header=BB6_10551 Depth=3
	v_bfe_u32 v1, v18, 16, 3
	v_bfe_u32 v86, v18, 19, 4
	v_ffbh_u32_e32 v87, v1
	v_cmp_eq_u32_e32 vcc_lo, 0, v86
	v_min_u32_e32 v87, 32, v87
	v_subrev_nc_u32_e32 v98, 28, v87
	v_sub_nc_u32_e32 v87, 29, v87
	v_lshlrev_b32_sdwa v98, v98, v18 dst_sel:DWORD dst_unused:UNUSED_PAD src0_sel:DWORD src1_sel:WORD_1
	v_cndmask_b32_e32 v86, v86, v87, vcc_lo
	v_lshlrev_b32_sdwa v87, v73, v18 dst_sel:DWORD dst_unused:UNUSED_PAD src0_sel:DWORD src1_sel:WORD_1
	v_and_b32_e32 v98, 7, v98
	v_lshl_add_u32 v86, v86, 23, 0x3b800000
	v_and_b32_e32 v87, 0x80000000, v87
	v_cndmask_b32_e32 v1, v1, v98, vcc_lo
	v_lshlrev_b32_e32 v1, 20, v1
	v_or3_b32 v1, v87, v86, v1
.LBB6_12090:                            ;   in Loop: Header=BB6_10551 Depth=3
	s_or_b32 exec_lo, exec_lo, s16
	v_max_f32_e32 v1, v1, v1
	v_max_f32_e32 v31, v31, v31
	v_min_f32_e32 v98, v31, v1
.LBB6_12091:                            ;   in Loop: Header=BB6_10551 Depth=3
	v_and_b32_e32 v1, 0x7f800000, v98
	v_mov_b32_e32 v31, 0x80
	s_mov_b32 s22, exec_lo
	v_cmpx_ne_u32_e32 0x7f800000, v1
	s_cbranch_execz .LBB6_12099
; %bb.12092:                            ;   in Loop: Header=BB6_10551 Depth=3
	v_mov_b32_e32 v31, 0
	s_mov_b32 s23, exec_lo
	v_cmpx_ne_u32_e32 0, v98
	s_cbranch_execz .LBB6_12098
; %bb.12093:                            ;   in Loop: Header=BB6_10551 Depth=3
	v_bfe_u32 v31, v98, 23, 8
	v_and_b32_e32 v1, 0x7fffff, v98
                                        ; implicit-def: $vgpr112
	v_cmp_gt_u32_e64 s16, 0x79, v31
	v_sub_nc_u32_e32 v86, 0x78, v31
	v_cmp_eq_u32_e32 vcc_lo, 0, v31
	v_or_b32_e32 v87, 0x800000, v1
	v_cndmask_b32_e64 v86, 0, v86, s16
	v_cndmask_b32_e32 v1, v87, v1, vcc_lo
	v_cndmask_b32_e64 v86, v86, 0x77, vcc_lo
	v_lshl_add_u32 v87, 0x100000, v86, -1
	v_lshlrev_b32_e64 v99, v86, 0x80000
	v_and_b32_e32 v87, v87, v1
	v_cmp_eq_u32_e64 s16, v87, v99
	v_lshrrev_b32_e32 v87, v86, v1
	v_add_nc_u32_e32 v1, 0xffffff89, v31
	v_lshrrev_b32_e32 v31, 23, v87
	v_cndmask_b32_e64 v1, v1, 0xffffff8a, vcc_lo
	v_xor_b32_e32 v31, 1, v31
	v_add_nc_u32_e32 v1, v86, v1
	v_bfe_u32 v86, v87, 20, 1
	v_add_nc_u32_e32 v86, -1, v86
	v_cndmask_b32_e64 v86, 0, v86, s16
	s_mov_b32 s16, exec_lo
	v_add_nc_u32_e32 v86, v86, v87
	v_and_b32_e32 v86, 0xfffff, v86
	v_add_nc_u32_e32 v99, v86, v87
	v_cmpx_ne_u32_e64 v1, v31
	s_xor_b32 s16, exec_lo, s16
; %bb.12094:                            ;   in Loop: Header=BB6_10551 Depth=3
	v_cmp_lt_u32_e32 vcc_lo, 0xffffff, v99
	v_sub_nc_u32_e32 v1, v1, v31
	v_cndmask_b32_e64 v31, 0, 1, vcc_lo
	v_add_co_ci_u32_e64 v112, null, 0, v1, vcc_lo
	v_lshrrev_b32_e32 v99, v31, v99
; %bb.12095:                            ;   in Loop: Header=BB6_10551 Depth=3
	s_andn2_saveexec_b32 s16, s16
; %bb.12096:                            ;   in Loop: Header=BB6_10551 Depth=3
	v_bfe_u32 v112, v99, 23, 1
; %bb.12097:                            ;   in Loop: Header=BB6_10551 Depth=3
	s_or_b32 exec_lo, exec_lo, s16
	v_lshrrev_b32_e32 v31, 20, v99
	v_min_i32_e32 v86, 15, v112
	v_cmp_gt_i32_e32 vcc_lo, 16, v112
	v_and_b32_sdwa v1, v98, v62 dst_sel:DWORD dst_unused:UNUSED_PAD src0_sel:BYTE_3 src1_sel:DWORD
	v_lshlrev_b32_e32 v86, 3, v86
	v_cndmask_b32_e32 v31, 7, v31, vcc_lo
	v_and_b32_e32 v86, 0xf8, v86
	v_or_b32_e32 v87, v112, v31
	v_and_b32_e32 v31, 7, v31
	v_cmp_ne_u32_e32 vcc_lo, 0, v87
	v_or3_b32 v1, v86, v1, v31
	v_cndmask_b32_e32 v31, 0, v1, vcc_lo
.LBB6_12098:                            ;   in Loop: Header=BB6_10551 Depth=3
	s_or_b32 exec_lo, exec_lo, s23
.LBB6_12099:                            ;   in Loop: Header=BB6_10551 Depth=3
	s_or_b32 exec_lo, exec_lo, s22
	v_cmp_gt_i16_sdwa s22, v22, v61 src0_sel:BYTE_3 src1_sel:DWORD
	s_andn2_b32 vcc_lo, exec_lo, s19
	s_mov_b32 s16, -1
                                        ; implicit-def: $vgpr98
	s_cbranch_vccnz .LBB6_12113
; %bb.12100:                            ;   in Loop: Header=BB6_10551 Depth=3
	s_mov_b32 s16, 0
	s_and_saveexec_b32 s23, s22
	s_xor_b32 s22, exec_lo, s23
	s_cbranch_execz .LBB6_13197
; %bb.12101:                            ;   in Loop: Header=BB6_10551 Depth=3
	v_cmp_eq_u16_sdwa s73, v22, v62 src0_sel:BYTE_3 src1_sel:DWORD
	s_mov_b32 s16, -1
	s_and_saveexec_b32 s23, s73
; %bb.12102:                            ;   in Loop: Header=BB6_10551 Depth=3
	s_xor_b32 s16, exec_lo, -1
; %bb.12103:                            ;   in Loop: Header=BB6_10551 Depth=3
	s_or_b32 exec_lo, exec_lo, s23
	s_and_b32 s16, s16, exec_lo
	s_or_saveexec_b32 s22, s22
	v_mov_b32_e32 v1, 0x7f800001
	s_xor_b32 exec_lo, exec_lo, s22
	s_cbranch_execnz .LBB6_13198
.LBB6_12104:                            ;   in Loop: Header=BB6_10551 Depth=3
	s_or_b32 exec_lo, exec_lo, s22
	s_and_saveexec_b32 s22, s16
	s_cbranch_execz .LBB6_12106
.LBB6_12105:                            ;   in Loop: Header=BB6_10551 Depth=3
	v_bfe_u32 v1, v22, 24, 3
	v_bfe_u32 v98, v22, 27, 4
	v_ffbh_u32_e32 v86, v1
	v_cmp_eq_u32_e32 vcc_lo, 0, v98
	v_min_u32_e32 v86, 32, v86
	v_subrev_nc_u32_e32 v87, 28, v86
	v_sub_nc_u32_e32 v86, 29, v86
	v_lshlrev_b32_sdwa v87, v87, v22 dst_sel:DWORD dst_unused:UNUSED_PAD src0_sel:DWORD src1_sel:BYTE_3
	v_cndmask_b32_e32 v86, v98, v86, vcc_lo
	v_and_b32_e32 v87, 7, v87
	v_lshl_add_u32 v86, v86, 23, 0x3b800000
	v_cndmask_b32_e32 v1, v1, v87, vcc_lo
	v_and_b32_e32 v87, 0x80000000, v22
	v_lshlrev_b32_e32 v1, 20, v1
	v_or3_b32 v1, v87, v86, v1
.LBB6_12106:                            ;   in Loop: Header=BB6_10551 Depth=3
	s_or_b32 exec_lo, exec_lo, s22
	v_cmp_gt_i16_sdwa s22, v18, v61 src0_sel:BYTE_3 src1_sel:DWORD
	s_mov_b32 s16, 0
	s_and_saveexec_b32 s23, s22
	s_xor_b32 s22, exec_lo, s23
	s_cbranch_execz .LBB6_13199
; %bb.12107:                            ;   in Loop: Header=BB6_10551 Depth=3
	v_cmp_eq_u16_sdwa s73, v18, v62 src0_sel:BYTE_3 src1_sel:DWORD
	s_mov_b32 s16, -1
	s_and_saveexec_b32 s23, s73
; %bb.12108:                            ;   in Loop: Header=BB6_10551 Depth=3
	s_xor_b32 s16, exec_lo, -1
; %bb.12109:                            ;   in Loop: Header=BB6_10551 Depth=3
	s_or_b32 exec_lo, exec_lo, s23
	s_and_b32 s16, s16, exec_lo
	s_or_saveexec_b32 s22, s22
	v_mov_b32_e32 v86, 0x7f800001
	s_xor_b32 exec_lo, exec_lo, s22
	s_cbranch_execnz .LBB6_13200
.LBB6_12110:                            ;   in Loop: Header=BB6_10551 Depth=3
	s_or_b32 exec_lo, exec_lo, s22
	s_and_saveexec_b32 s22, s16
	s_cbranch_execz .LBB6_12112
.LBB6_12111:                            ;   in Loop: Header=BB6_10551 Depth=3
	v_bfe_u32 v86, v18, 24, 3
	v_bfe_u32 v99, v18, 27, 4
	v_ffbh_u32_e32 v87, v86
	v_cmp_eq_u32_e32 vcc_lo, 0, v99
	v_min_u32_e32 v87, 32, v87
	v_subrev_nc_u32_e32 v98, 28, v87
	v_sub_nc_u32_e32 v87, 29, v87
	v_lshlrev_b32_sdwa v98, v98, v18 dst_sel:DWORD dst_unused:UNUSED_PAD src0_sel:DWORD src1_sel:BYTE_3
	v_cndmask_b32_e32 v87, v99, v87, vcc_lo
	v_and_b32_e32 v98, 7, v98
	v_lshl_add_u32 v87, v87, 23, 0x3b800000
	v_cndmask_b32_e32 v86, v86, v98, vcc_lo
	v_and_b32_e32 v98, 0x80000000, v18
	v_lshlrev_b32_e32 v86, 20, v86
	v_or3_b32 v86, v98, v87, v86
.LBB6_12112:                            ;   in Loop: Header=BB6_10551 Depth=3
	s_or_b32 exec_lo, exec_lo, s22
	v_max_f32_e32 v86, v86, v86
	v_max_f32_e32 v1, v1, v1
	s_mov_b32 s16, 0
	v_max_f32_e32 v98, v1, v86
.LBB6_12113:                            ;   in Loop: Header=BB6_10551 Depth=3
	s_and_b32 vcc_lo, exec_lo, s16
	s_cbranch_vccz .LBB6_12127
; %bb.12114:                            ;   in Loop: Header=BB6_10551 Depth=3
	v_cmp_gt_i16_sdwa s22, v22, v61 src0_sel:BYTE_3 src1_sel:DWORD
	s_mov_b32 s16, 0
	s_and_saveexec_b32 s23, s22
	s_xor_b32 s22, exec_lo, s23
	s_cbranch_execz .LBB6_13201
; %bb.12115:                            ;   in Loop: Header=BB6_10551 Depth=3
	v_cmp_eq_u16_sdwa s73, v22, v62 src0_sel:BYTE_3 src1_sel:DWORD
	s_mov_b32 s16, -1
	s_and_saveexec_b32 s23, s73
; %bb.12116:                            ;   in Loop: Header=BB6_10551 Depth=3
	s_xor_b32 s16, exec_lo, -1
; %bb.12117:                            ;   in Loop: Header=BB6_10551 Depth=3
	s_or_b32 exec_lo, exec_lo, s23
	s_and_b32 s16, s16, exec_lo
	s_or_saveexec_b32 s22, s22
	v_mov_b32_e32 v1, 0x7f800001
	s_xor_b32 exec_lo, exec_lo, s22
	s_cbranch_execnz .LBB6_13202
.LBB6_12118:                            ;   in Loop: Header=BB6_10551 Depth=3
	s_or_b32 exec_lo, exec_lo, s22
	s_and_saveexec_b32 s22, s16
	s_cbranch_execz .LBB6_12120
.LBB6_12119:                            ;   in Loop: Header=BB6_10551 Depth=3
	v_bfe_u32 v1, v22, 24, 3
	v_bfe_u32 v98, v22, 27, 4
	v_ffbh_u32_e32 v86, v1
	v_cmp_eq_u32_e32 vcc_lo, 0, v98
	v_min_u32_e32 v86, 32, v86
	v_subrev_nc_u32_e32 v87, 28, v86
	v_sub_nc_u32_e32 v86, 29, v86
	v_lshlrev_b32_sdwa v87, v87, v22 dst_sel:DWORD dst_unused:UNUSED_PAD src0_sel:DWORD src1_sel:BYTE_3
	v_cndmask_b32_e32 v86, v98, v86, vcc_lo
	v_and_b32_e32 v22, 0x80000000, v22
	v_and_b32_e32 v87, 7, v87
	v_lshl_add_u32 v86, v86, 23, 0x3b800000
	v_cndmask_b32_e32 v1, v1, v87, vcc_lo
	v_lshlrev_b32_e32 v1, 20, v1
	v_or3_b32 v1, v22, v86, v1
.LBB6_12120:                            ;   in Loop: Header=BB6_10551 Depth=3
	s_or_b32 exec_lo, exec_lo, s22
	v_cmp_gt_i16_sdwa s22, v18, v61 src0_sel:BYTE_3 src1_sel:DWORD
	s_mov_b32 s16, 0
	s_and_saveexec_b32 s23, s22
	s_xor_b32 s22, exec_lo, s23
	s_cbranch_execz .LBB6_13203
; %bb.12121:                            ;   in Loop: Header=BB6_10551 Depth=3
	v_cmp_eq_u16_sdwa s73, v18, v62 src0_sel:BYTE_3 src1_sel:DWORD
	s_mov_b32 s16, -1
	s_and_saveexec_b32 s23, s73
; %bb.12122:                            ;   in Loop: Header=BB6_10551 Depth=3
	s_xor_b32 s16, exec_lo, -1
; %bb.12123:                            ;   in Loop: Header=BB6_10551 Depth=3
	s_or_b32 exec_lo, exec_lo, s23
	s_and_b32 s16, s16, exec_lo
	s_or_saveexec_b32 s22, s22
	v_mov_b32_e32 v22, 0x7f800001
	s_xor_b32 exec_lo, exec_lo, s22
	s_cbranch_execnz .LBB6_13204
.LBB6_12124:                            ;   in Loop: Header=BB6_10551 Depth=3
	s_or_b32 exec_lo, exec_lo, s22
	s_and_saveexec_b32 s22, s16
	s_cbranch_execz .LBB6_12126
.LBB6_12125:                            ;   in Loop: Header=BB6_10551 Depth=3
	v_bfe_u32 v22, v18, 24, 3
	v_bfe_u32 v98, v18, 27, 4
	v_ffbh_u32_e32 v86, v22
	v_cmp_eq_u32_e32 vcc_lo, 0, v98
	v_min_u32_e32 v86, 32, v86
	v_subrev_nc_u32_e32 v87, 28, v86
	v_sub_nc_u32_e32 v86, 29, v86
	v_lshlrev_b32_sdwa v87, v87, v18 dst_sel:DWORD dst_unused:UNUSED_PAD src0_sel:DWORD src1_sel:BYTE_3
	v_cndmask_b32_e32 v86, v98, v86, vcc_lo
	v_and_b32_e32 v18, 0x80000000, v18
	v_and_b32_e32 v87, 7, v87
	v_lshl_add_u32 v86, v86, 23, 0x3b800000
	v_cndmask_b32_e32 v22, v22, v87, vcc_lo
	v_lshlrev_b32_e32 v22, 20, v22
	v_or3_b32 v22, v18, v86, v22
.LBB6_12126:                            ;   in Loop: Header=BB6_10551 Depth=3
	s_or_b32 exec_lo, exec_lo, s22
	v_max_f32_e32 v18, v22, v22
	v_max_f32_e32 v1, v1, v1
	v_min_f32_e32 v98, v1, v18
.LBB6_12127:                            ;   in Loop: Header=BB6_10551 Depth=3
	v_and_b32_e32 v1, 0x7f800000, v98
	v_cmp_ne_u32_e32 vcc_lo, 0x7f800000, v1
	v_mov_b32_e32 v1, 0x8000
	s_and_saveexec_b32 s22, vcc_lo
	s_cbranch_execz .LBB6_12135
; %bb.12128:                            ;   in Loop: Header=BB6_10551 Depth=3
	v_mov_b32_e32 v1, 0
	s_mov_b32 s23, exec_lo
	v_cmpx_ne_u32_e32 0, v98
	s_cbranch_execz .LBB6_12134
; %bb.12129:                            ;   in Loop: Header=BB6_10551 Depth=3
	v_bfe_u32 v18, v98, 23, 8
	v_and_b32_e32 v1, 0x7fffff, v98
                                        ; implicit-def: $vgpr99
	v_cmp_gt_u32_e64 s16, 0x79, v18
	v_sub_nc_u32_e32 v22, 0x78, v18
	v_cmp_eq_u32_e32 vcc_lo, 0, v18
	v_or_b32_e32 v86, 0x800000, v1
	v_cndmask_b32_e64 v22, 0, v22, s16
	v_cndmask_b32_e32 v1, v86, v1, vcc_lo
	v_cndmask_b32_e64 v22, v22, 0x77, vcc_lo
	v_lshl_add_u32 v86, 0x100000, v22, -1
	v_lshlrev_b32_e64 v87, v22, 0x80000
	v_and_b32_e32 v86, v86, v1
	v_cmp_eq_u32_e64 s16, v86, v87
	v_lshrrev_b32_e32 v86, v22, v1
	v_add_nc_u32_e32 v1, 0xffffff89, v18
	v_lshrrev_b32_e32 v18, 23, v86
	v_cndmask_b32_e64 v1, v1, 0xffffff8a, vcc_lo
	v_xor_b32_e32 v18, 1, v18
	v_add_nc_u32_e32 v1, v22, v1
	v_bfe_u32 v22, v86, 20, 1
	v_add_nc_u32_e32 v22, -1, v22
	v_cndmask_b32_e64 v22, 0, v22, s16
	s_mov_b32 s16, exec_lo
	v_add_nc_u32_e32 v22, v22, v86
	v_and_b32_e32 v22, 0xfffff, v22
	v_add_nc_u32_e32 v22, v22, v86
	v_cmpx_ne_u32_e64 v1, v18
	s_xor_b32 s16, exec_lo, s16
; %bb.12130:                            ;   in Loop: Header=BB6_10551 Depth=3
	v_cmp_lt_u32_e32 vcc_lo, 0xffffff, v22
	v_sub_nc_u32_e32 v1, v1, v18
	v_cndmask_b32_e64 v18, 0, 1, vcc_lo
	v_add_co_ci_u32_e64 v99, null, 0, v1, vcc_lo
	v_lshrrev_b32_e32 v22, v18, v22
; %bb.12131:                            ;   in Loop: Header=BB6_10551 Depth=3
	s_andn2_saveexec_b32 s16, s16
; %bb.12132:                            ;   in Loop: Header=BB6_10551 Depth=3
	v_bfe_u32 v99, v22, 23, 1
; %bb.12133:                            ;   in Loop: Header=BB6_10551 Depth=3
	s_or_b32 exec_lo, exec_lo, s16
	v_lshrrev_b32_e32 v18, 20, v22
	v_min_i32_e32 v22, 15, v99
	v_cmp_gt_i32_e32 vcc_lo, 16, v99
	v_and_b32_sdwa v1, v98, v62 dst_sel:DWORD dst_unused:UNUSED_PAD src0_sel:BYTE_3 src1_sel:DWORD
	v_lshlrev_b32_e32 v22, 3, v22
	v_cndmask_b32_e32 v18, 7, v18, vcc_lo
	v_and_b32_e32 v22, 0xf8, v22
	v_or_b32_e32 v86, v99, v18
	v_and_b32_e32 v18, 7, v18
	v_cmp_ne_u32_e32 vcc_lo, 0, v86
	v_or3_b32 v1, v1, v22, v18
	v_lshlrev_b32_e32 v1, 8, v1
	v_cndmask_b32_e32 v1, 0, v1, vcc_lo
.LBB6_12134:                            ;   in Loop: Header=BB6_10551 Depth=3
	s_or_b32 exec_lo, exec_lo, s23
.LBB6_12135:                            ;   in Loop: Header=BB6_10551 Depth=3
	s_or_b32 exec_lo, exec_lo, s22
	v_cmp_gt_i16_sdwa s23, v23, v61 src0_sel:BYTE_0 src1_sel:DWORD
	s_andn2_b32 vcc_lo, exec_lo, s19
	s_mov_b32 s16, -1
                                        ; implicit-def: $vgpr22
	s_cbranch_vccnz .LBB6_12149
; %bb.12136:                            ;   in Loop: Header=BB6_10551 Depth=3
	s_mov_b32 s22, 0
	s_and_saveexec_b32 s16, s23
	s_xor_b32 s16, exec_lo, s16
	s_cbranch_execz .LBB6_13205
; %bb.12137:                            ;   in Loop: Header=BB6_10551 Depth=3
	v_cmp_eq_u16_sdwa s73, v23, v62 src0_sel:BYTE_0 src1_sel:DWORD
	s_mov_b32 s22, -1
	s_and_saveexec_b32 s23, s73
; %bb.12138:                            ;   in Loop: Header=BB6_10551 Depth=3
	s_xor_b32 s22, exec_lo, -1
; %bb.12139:                            ;   in Loop: Header=BB6_10551 Depth=3
	s_or_b32 exec_lo, exec_lo, s23
	s_and_b32 s22, s22, exec_lo
	s_or_saveexec_b32 s16, s16
	v_mov_b32_e32 v18, 0x7f800001
	s_xor_b32 exec_lo, exec_lo, s16
	s_cbranch_execnz .LBB6_13206
.LBB6_12140:                            ;   in Loop: Header=BB6_10551 Depth=3
	s_or_b32 exec_lo, exec_lo, s16
	s_and_saveexec_b32 s16, s22
	s_cbranch_execz .LBB6_12142
.LBB6_12141:                            ;   in Loop: Header=BB6_10551 Depth=3
	v_and_b32_e32 v18, 7, v23
	v_bfe_u32 v22, v23, 3, 4
	v_ffbh_u32_e32 v86, v18
	v_cmp_eq_u32_e32 vcc_lo, 0, v22
	v_min_u32_e32 v86, 32, v86
	v_subrev_nc_u32_e32 v87, 28, v86
	v_sub_nc_u32_e32 v86, 29, v86
	v_lshlrev_b32_e32 v87, v87, v23
	v_cndmask_b32_e32 v22, v22, v86, vcc_lo
	v_lshlrev_b32_e32 v86, 24, v23
	v_and_b32_e32 v87, 7, v87
	v_lshl_add_u32 v22, v22, 23, 0x3b800000
	v_and_b32_e32 v86, 0x80000000, v86
	v_cndmask_b32_e32 v18, v18, v87, vcc_lo
	v_lshlrev_b32_e32 v18, 20, v18
	v_or3_b32 v18, v86, v22, v18
.LBB6_12142:                            ;   in Loop: Header=BB6_10551 Depth=3
	s_or_b32 exec_lo, exec_lo, s16
	v_cmp_gt_i16_sdwa s16, v19, v61 src0_sel:BYTE_0 src1_sel:DWORD
	s_mov_b32 s22, 0
	s_and_saveexec_b32 s23, s16
	s_xor_b32 s16, exec_lo, s23
	s_cbranch_execz .LBB6_13207
; %bb.12143:                            ;   in Loop: Header=BB6_10551 Depth=3
	v_cmp_eq_u16_sdwa s73, v19, v62 src0_sel:BYTE_0 src1_sel:DWORD
	s_mov_b32 s22, -1
	s_and_saveexec_b32 s23, s73
; %bb.12144:                            ;   in Loop: Header=BB6_10551 Depth=3
	s_xor_b32 s22, exec_lo, -1
; %bb.12145:                            ;   in Loop: Header=BB6_10551 Depth=3
	s_or_b32 exec_lo, exec_lo, s23
	s_and_b32 s22, s22, exec_lo
	s_or_saveexec_b32 s16, s16
	v_mov_b32_e32 v22, 0x7f800001
	s_xor_b32 exec_lo, exec_lo, s16
	s_cbranch_execnz .LBB6_13208
.LBB6_12146:                            ;   in Loop: Header=BB6_10551 Depth=3
	s_or_b32 exec_lo, exec_lo, s16
	s_and_saveexec_b32 s16, s22
	s_cbranch_execz .LBB6_12148
.LBB6_12147:                            ;   in Loop: Header=BB6_10551 Depth=3
	v_and_b32_e32 v22, 7, v19
	v_bfe_u32 v86, v19, 3, 4
	v_ffbh_u32_e32 v87, v22
	v_cmp_eq_u32_e32 vcc_lo, 0, v86
	v_min_u32_e32 v87, 32, v87
	v_subrev_nc_u32_e32 v98, 28, v87
	v_sub_nc_u32_e32 v87, 29, v87
	v_lshlrev_b32_e32 v98, v98, v19
	v_cndmask_b32_e32 v86, v86, v87, vcc_lo
	v_lshlrev_b32_e32 v87, 24, v19
	v_and_b32_e32 v98, 7, v98
	v_lshl_add_u32 v86, v86, 23, 0x3b800000
	v_and_b32_e32 v87, 0x80000000, v87
	v_cndmask_b32_e32 v22, v22, v98, vcc_lo
	v_lshlrev_b32_e32 v22, 20, v22
	v_or3_b32 v22, v87, v86, v22
.LBB6_12148:                            ;   in Loop: Header=BB6_10551 Depth=3
	s_or_b32 exec_lo, exec_lo, s16
	v_max_f32_e32 v22, v22, v22
	v_max_f32_e32 v18, v18, v18
	s_mov_b32 s16, 0
	v_max_f32_e32 v22, v18, v22
.LBB6_12149:                            ;   in Loop: Header=BB6_10551 Depth=3
	s_and_b32 vcc_lo, exec_lo, s16
	s_cbranch_vccz .LBB6_12163
; %bb.12150:                            ;   in Loop: Header=BB6_10551 Depth=3
	v_cmp_gt_i16_sdwa s16, v23, v61 src0_sel:BYTE_0 src1_sel:DWORD
	s_mov_b32 s22, 0
	s_and_saveexec_b32 s23, s16
	s_xor_b32 s16, exec_lo, s23
	s_cbranch_execz .LBB6_13209
; %bb.12151:                            ;   in Loop: Header=BB6_10551 Depth=3
	v_cmp_eq_u16_sdwa s73, v23, v62 src0_sel:BYTE_0 src1_sel:DWORD
	s_mov_b32 s22, -1
	s_and_saveexec_b32 s23, s73
; %bb.12152:                            ;   in Loop: Header=BB6_10551 Depth=3
	s_xor_b32 s22, exec_lo, -1
; %bb.12153:                            ;   in Loop: Header=BB6_10551 Depth=3
	s_or_b32 exec_lo, exec_lo, s23
	s_and_b32 s22, s22, exec_lo
	s_or_saveexec_b32 s16, s16
	v_mov_b32_e32 v18, 0x7f800001
	s_xor_b32 exec_lo, exec_lo, s16
	s_cbranch_execnz .LBB6_13210
.LBB6_12154:                            ;   in Loop: Header=BB6_10551 Depth=3
	s_or_b32 exec_lo, exec_lo, s16
	s_and_saveexec_b32 s16, s22
	s_cbranch_execz .LBB6_12156
.LBB6_12155:                            ;   in Loop: Header=BB6_10551 Depth=3
	v_and_b32_e32 v18, 7, v23
	v_bfe_u32 v22, v23, 3, 4
	v_ffbh_u32_e32 v86, v18
	v_cmp_eq_u32_e32 vcc_lo, 0, v22
	v_min_u32_e32 v86, 32, v86
	v_subrev_nc_u32_e32 v87, 28, v86
	v_sub_nc_u32_e32 v86, 29, v86
	v_lshlrev_b32_e32 v87, v87, v23
	v_cndmask_b32_e32 v22, v22, v86, vcc_lo
	v_lshlrev_b32_e32 v86, 24, v23
	v_and_b32_e32 v87, 7, v87
	v_lshl_add_u32 v22, v22, 23, 0x3b800000
	v_and_b32_e32 v86, 0x80000000, v86
	v_cndmask_b32_e32 v18, v18, v87, vcc_lo
	v_lshlrev_b32_e32 v18, 20, v18
	v_or3_b32 v18, v86, v22, v18
.LBB6_12156:                            ;   in Loop: Header=BB6_10551 Depth=3
	s_or_b32 exec_lo, exec_lo, s16
	v_cmp_gt_i16_sdwa s16, v19, v61 src0_sel:BYTE_0 src1_sel:DWORD
	s_mov_b32 s22, 0
	s_and_saveexec_b32 s23, s16
	s_xor_b32 s16, exec_lo, s23
	s_cbranch_execz .LBB6_13211
; %bb.12157:                            ;   in Loop: Header=BB6_10551 Depth=3
	v_cmp_eq_u16_sdwa s73, v19, v62 src0_sel:BYTE_0 src1_sel:DWORD
	s_mov_b32 s22, -1
	s_and_saveexec_b32 s23, s73
; %bb.12158:                            ;   in Loop: Header=BB6_10551 Depth=3
	s_xor_b32 s22, exec_lo, -1
; %bb.12159:                            ;   in Loop: Header=BB6_10551 Depth=3
	s_or_b32 exec_lo, exec_lo, s23
	s_and_b32 s22, s22, exec_lo
	s_or_saveexec_b32 s16, s16
	v_mov_b32_e32 v22, 0x7f800001
	s_xor_b32 exec_lo, exec_lo, s16
	s_cbranch_execnz .LBB6_13212
.LBB6_12160:                            ;   in Loop: Header=BB6_10551 Depth=3
	s_or_b32 exec_lo, exec_lo, s16
	s_and_saveexec_b32 s16, s22
	s_cbranch_execz .LBB6_12162
.LBB6_12161:                            ;   in Loop: Header=BB6_10551 Depth=3
	v_and_b32_e32 v22, 7, v19
	v_bfe_u32 v86, v19, 3, 4
	v_ffbh_u32_e32 v87, v22
	v_cmp_eq_u32_e32 vcc_lo, 0, v86
	v_min_u32_e32 v87, 32, v87
	v_subrev_nc_u32_e32 v98, 28, v87
	v_sub_nc_u32_e32 v87, 29, v87
	v_lshlrev_b32_e32 v98, v98, v19
	v_cndmask_b32_e32 v86, v86, v87, vcc_lo
	v_lshlrev_b32_e32 v87, 24, v19
	v_and_b32_e32 v98, 7, v98
	v_lshl_add_u32 v86, v86, 23, 0x3b800000
	v_and_b32_e32 v87, 0x80000000, v87
	v_cndmask_b32_e32 v22, v22, v98, vcc_lo
	v_lshlrev_b32_e32 v22, 20, v22
	v_or3_b32 v22, v87, v86, v22
.LBB6_12162:                            ;   in Loop: Header=BB6_10551 Depth=3
	s_or_b32 exec_lo, exec_lo, s16
	v_max_f32_e32 v22, v22, v22
	v_max_f32_e32 v18, v18, v18
	v_min_f32_e32 v22, v18, v22
.LBB6_12163:                            ;   in Loop: Header=BB6_10551 Depth=3
	v_and_b32_e32 v18, 0x7f800000, v22
	v_cmp_ne_u32_e32 vcc_lo, 0x7f800000, v18
	v_mov_b32_e32 v18, 0x80
	s_and_saveexec_b32 s22, vcc_lo
	s_cbranch_execz .LBB6_12171
; %bb.12164:                            ;   in Loop: Header=BB6_10551 Depth=3
	v_mov_b32_e32 v18, 0
	s_mov_b32 s23, exec_lo
	v_cmpx_ne_u32_e32 0, v22
	s_cbranch_execz .LBB6_12170
; %bb.12165:                            ;   in Loop: Header=BB6_10551 Depth=3
	v_bfe_u32 v86, v22, 23, 8
	v_and_b32_e32 v18, 0x7fffff, v22
                                        ; implicit-def: $vgpr112
	v_cmp_gt_u32_e64 s16, 0x79, v86
	v_sub_nc_u32_e32 v87, 0x78, v86
	v_cmp_eq_u32_e32 vcc_lo, 0, v86
	v_or_b32_e32 v98, 0x800000, v18
	v_cndmask_b32_e64 v87, 0, v87, s16
	v_cndmask_b32_e32 v18, v98, v18, vcc_lo
	v_cndmask_b32_e64 v87, v87, 0x77, vcc_lo
	v_lshl_add_u32 v98, 0x100000, v87, -1
	v_lshlrev_b32_e64 v99, v87, 0x80000
	v_and_b32_e32 v98, v98, v18
	v_cmp_eq_u32_e64 s16, v98, v99
	v_lshrrev_b32_e32 v99, v87, v18
	v_add_nc_u32_e32 v18, 0xffffff89, v86
	v_lshrrev_b32_e32 v86, 23, v99
	v_cndmask_b32_e64 v18, v18, 0xffffff8a, vcc_lo
	v_xor_b32_e32 v98, 1, v86
	v_bfe_u32 v86, v99, 20, 1
	v_add_nc_u32_e32 v18, v87, v18
	v_add_nc_u32_e32 v86, -1, v86
	v_cndmask_b32_e64 v86, 0, v86, s16
	s_mov_b32 s16, exec_lo
	v_add_nc_u32_e32 v86, v86, v99
	v_and_b32_e32 v86, 0xfffff, v86
	v_add_nc_u32_e32 v99, v86, v99
	v_cmpx_ne_u32_e64 v18, v98
	s_xor_b32 s16, exec_lo, s16
; %bb.12166:                            ;   in Loop: Header=BB6_10551 Depth=3
	v_cmp_lt_u32_e32 vcc_lo, 0xffffff, v99
	v_sub_nc_u32_e32 v18, v18, v98
	v_cndmask_b32_e64 v86, 0, 1, vcc_lo
	v_add_co_ci_u32_e64 v112, null, 0, v18, vcc_lo
	v_lshrrev_b32_e32 v99, v86, v99
; %bb.12167:                            ;   in Loop: Header=BB6_10551 Depth=3
	s_andn2_saveexec_b32 s16, s16
; %bb.12168:                            ;   in Loop: Header=BB6_10551 Depth=3
	v_bfe_u32 v112, v99, 23, 1
; %bb.12169:                            ;   in Loop: Header=BB6_10551 Depth=3
	s_or_b32 exec_lo, exec_lo, s16
	v_and_b32_sdwa v18, v22, v62 dst_sel:DWORD dst_unused:UNUSED_PAD src0_sel:BYTE_3 src1_sel:DWORD
	v_lshrrev_b32_e32 v22, 20, v99
	v_min_i32_e32 v86, 15, v112
	v_cmp_gt_i32_e32 vcc_lo, 16, v112
	v_lshlrev_b32_e32 v86, 3, v86
	v_cndmask_b32_e32 v22, 7, v22, vcc_lo
	v_and_b32_e32 v86, 0xf8, v86
	v_or_b32_e32 v87, v112, v22
	v_and_b32_e32 v22, 7, v22
	v_cmp_ne_u32_e32 vcc_lo, 0, v87
	v_or3_b32 v18, v86, v18, v22
	v_cndmask_b32_e32 v18, 0, v18, vcc_lo
.LBB6_12170:                            ;   in Loop: Header=BB6_10551 Depth=3
	s_or_b32 exec_lo, exec_lo, s23
.LBB6_12171:                            ;   in Loop: Header=BB6_10551 Depth=3
	s_or_b32 exec_lo, exec_lo, s22
	v_cmp_gt_i16_sdwa s22, v23, v61 src0_sel:BYTE_1 src1_sel:DWORD
	s_andn2_b32 vcc_lo, exec_lo, s19
	s_mov_b32 s16, -1
                                        ; implicit-def: $vgpr98
	s_cbranch_vccnz .LBB6_12185
; %bb.12172:                            ;   in Loop: Header=BB6_10551 Depth=3
	s_mov_b32 s16, 0
	s_and_saveexec_b32 s23, s22
	s_xor_b32 s22, exec_lo, s23
	s_cbranch_execz .LBB6_13213
; %bb.12173:                            ;   in Loop: Header=BB6_10551 Depth=3
	v_cmp_eq_u16_sdwa s73, v23, v62 src0_sel:BYTE_1 src1_sel:DWORD
	s_mov_b32 s16, -1
	s_and_saveexec_b32 s23, s73
; %bb.12174:                            ;   in Loop: Header=BB6_10551 Depth=3
	s_xor_b32 s16, exec_lo, -1
; %bb.12175:                            ;   in Loop: Header=BB6_10551 Depth=3
	s_or_b32 exec_lo, exec_lo, s23
	s_and_b32 s16, s16, exec_lo
	s_or_saveexec_b32 s22, s22
	v_mov_b32_e32 v22, 0x7f800001
	s_xor_b32 exec_lo, exec_lo, s22
	s_cbranch_execnz .LBB6_13214
.LBB6_12176:                            ;   in Loop: Header=BB6_10551 Depth=3
	s_or_b32 exec_lo, exec_lo, s22
	s_and_saveexec_b32 s22, s16
	s_cbranch_execz .LBB6_12178
.LBB6_12177:                            ;   in Loop: Header=BB6_10551 Depth=3
	v_and_b32_sdwa v22, v63, v23 dst_sel:DWORD dst_unused:UNUSED_PAD src0_sel:DWORD src1_sel:BYTE_1
	v_and_b32_e32 v86, 7, v22
	v_bfe_u32 v99, v22, 3, 4
	v_ffbh_u32_e32 v87, v86
	v_cmp_eq_u32_e32 vcc_lo, 0, v99
	v_min_u32_e32 v87, 32, v87
	v_subrev_nc_u32_e32 v98, 28, v87
	v_sub_nc_u32_e32 v87, 29, v87
	v_lshlrev_b32_e32 v22, v98, v22
	v_lshlrev_b32_e32 v98, 16, v23
	v_cndmask_b32_e32 v87, v99, v87, vcc_lo
	v_and_b32_e32 v22, 7, v22
	v_lshl_add_u32 v87, v87, 23, 0x3b800000
	v_cndmask_b32_e32 v22, v86, v22, vcc_lo
	v_and_b32_e32 v86, 0x80000000, v98
	v_lshlrev_b32_e32 v22, 20, v22
	v_or3_b32 v22, v86, v87, v22
.LBB6_12178:                            ;   in Loop: Header=BB6_10551 Depth=3
	s_or_b32 exec_lo, exec_lo, s22
	v_cmp_gt_i16_sdwa s22, v19, v61 src0_sel:BYTE_1 src1_sel:DWORD
	s_mov_b32 s16, 0
	s_and_saveexec_b32 s23, s22
	s_xor_b32 s22, exec_lo, s23
	s_cbranch_execz .LBB6_13215
; %bb.12179:                            ;   in Loop: Header=BB6_10551 Depth=3
	v_cmp_eq_u16_sdwa s73, v19, v62 src0_sel:BYTE_1 src1_sel:DWORD
	s_mov_b32 s16, -1
	s_and_saveexec_b32 s23, s73
; %bb.12180:                            ;   in Loop: Header=BB6_10551 Depth=3
	s_xor_b32 s16, exec_lo, -1
; %bb.12181:                            ;   in Loop: Header=BB6_10551 Depth=3
	s_or_b32 exec_lo, exec_lo, s23
	s_and_b32 s16, s16, exec_lo
	s_or_saveexec_b32 s22, s22
	v_mov_b32_e32 v86, 0x7f800001
	s_xor_b32 exec_lo, exec_lo, s22
	s_cbranch_execnz .LBB6_13216
.LBB6_12182:                            ;   in Loop: Header=BB6_10551 Depth=3
	s_or_b32 exec_lo, exec_lo, s22
	s_and_saveexec_b32 s22, s16
	s_cbranch_execz .LBB6_12184
.LBB6_12183:                            ;   in Loop: Header=BB6_10551 Depth=3
	v_and_b32_sdwa v86, v63, v19 dst_sel:DWORD dst_unused:UNUSED_PAD src0_sel:DWORD src1_sel:BYTE_1
	v_and_b32_e32 v87, 7, v86
	v_bfe_u32 v112, v86, 3, 4
	v_ffbh_u32_e32 v98, v87
	v_cmp_eq_u32_e32 vcc_lo, 0, v112
	v_min_u32_e32 v98, 32, v98
	v_subrev_nc_u32_e32 v99, 28, v98
	v_sub_nc_u32_e32 v98, 29, v98
	v_lshlrev_b32_e32 v86, v99, v86
	v_lshlrev_b32_e32 v99, 16, v19
	v_cndmask_b32_e32 v98, v112, v98, vcc_lo
	v_and_b32_e32 v86, 7, v86
	v_lshl_add_u32 v98, v98, 23, 0x3b800000
	v_cndmask_b32_e32 v86, v87, v86, vcc_lo
	v_and_b32_e32 v87, 0x80000000, v99
	v_lshlrev_b32_e32 v86, 20, v86
	v_or3_b32 v86, v87, v98, v86
.LBB6_12184:                            ;   in Loop: Header=BB6_10551 Depth=3
	s_or_b32 exec_lo, exec_lo, s22
	v_max_f32_e32 v86, v86, v86
	v_max_f32_e32 v22, v22, v22
	s_mov_b32 s16, 0
	v_max_f32_e32 v98, v22, v86
.LBB6_12185:                            ;   in Loop: Header=BB6_10551 Depth=3
	s_and_b32 vcc_lo, exec_lo, s16
	s_cbranch_vccz .LBB6_12199
; %bb.12186:                            ;   in Loop: Header=BB6_10551 Depth=3
	v_cmp_gt_i16_sdwa s22, v23, v61 src0_sel:BYTE_1 src1_sel:DWORD
	s_mov_b32 s16, 0
	s_and_saveexec_b32 s23, s22
	s_xor_b32 s22, exec_lo, s23
	s_cbranch_execz .LBB6_13217
; %bb.12187:                            ;   in Loop: Header=BB6_10551 Depth=3
	v_cmp_eq_u16_sdwa s73, v23, v62 src0_sel:BYTE_1 src1_sel:DWORD
	s_mov_b32 s16, -1
	s_and_saveexec_b32 s23, s73
; %bb.12188:                            ;   in Loop: Header=BB6_10551 Depth=3
	s_xor_b32 s16, exec_lo, -1
; %bb.12189:                            ;   in Loop: Header=BB6_10551 Depth=3
	s_or_b32 exec_lo, exec_lo, s23
	s_and_b32 s16, s16, exec_lo
	s_or_saveexec_b32 s22, s22
	v_mov_b32_e32 v22, 0x7f800001
	s_xor_b32 exec_lo, exec_lo, s22
	s_cbranch_execnz .LBB6_13218
.LBB6_12190:                            ;   in Loop: Header=BB6_10551 Depth=3
	s_or_b32 exec_lo, exec_lo, s22
	s_and_saveexec_b32 s22, s16
	s_cbranch_execz .LBB6_12192
.LBB6_12191:                            ;   in Loop: Header=BB6_10551 Depth=3
	v_and_b32_sdwa v22, v63, v23 dst_sel:DWORD dst_unused:UNUSED_PAD src0_sel:DWORD src1_sel:BYTE_1
	v_and_b32_e32 v86, 7, v22
	v_bfe_u32 v99, v22, 3, 4
	v_ffbh_u32_e32 v87, v86
	v_cmp_eq_u32_e32 vcc_lo, 0, v99
	v_min_u32_e32 v87, 32, v87
	v_subrev_nc_u32_e32 v98, 28, v87
	v_sub_nc_u32_e32 v87, 29, v87
	v_lshlrev_b32_e32 v22, v98, v22
	v_lshlrev_b32_e32 v98, 16, v23
	v_cndmask_b32_e32 v87, v99, v87, vcc_lo
	v_and_b32_e32 v22, 7, v22
	v_lshl_add_u32 v87, v87, 23, 0x3b800000
	v_cndmask_b32_e32 v22, v86, v22, vcc_lo
	v_and_b32_e32 v86, 0x80000000, v98
	v_lshlrev_b32_e32 v22, 20, v22
	v_or3_b32 v22, v86, v87, v22
.LBB6_12192:                            ;   in Loop: Header=BB6_10551 Depth=3
	s_or_b32 exec_lo, exec_lo, s22
	v_cmp_gt_i16_sdwa s22, v19, v61 src0_sel:BYTE_1 src1_sel:DWORD
	s_mov_b32 s16, 0
	s_and_saveexec_b32 s23, s22
	s_xor_b32 s22, exec_lo, s23
	s_cbranch_execz .LBB6_13219
; %bb.12193:                            ;   in Loop: Header=BB6_10551 Depth=3
	v_cmp_eq_u16_sdwa s73, v19, v62 src0_sel:BYTE_1 src1_sel:DWORD
	s_mov_b32 s16, -1
	s_and_saveexec_b32 s23, s73
; %bb.12194:                            ;   in Loop: Header=BB6_10551 Depth=3
	s_xor_b32 s16, exec_lo, -1
; %bb.12195:                            ;   in Loop: Header=BB6_10551 Depth=3
	s_or_b32 exec_lo, exec_lo, s23
	s_and_b32 s16, s16, exec_lo
	s_or_saveexec_b32 s22, s22
	v_mov_b32_e32 v86, 0x7f800001
	s_xor_b32 exec_lo, exec_lo, s22
	s_cbranch_execnz .LBB6_13220
.LBB6_12196:                            ;   in Loop: Header=BB6_10551 Depth=3
	s_or_b32 exec_lo, exec_lo, s22
	s_and_saveexec_b32 s22, s16
	s_cbranch_execz .LBB6_12198
.LBB6_12197:                            ;   in Loop: Header=BB6_10551 Depth=3
	v_and_b32_sdwa v86, v63, v19 dst_sel:DWORD dst_unused:UNUSED_PAD src0_sel:DWORD src1_sel:BYTE_1
	v_and_b32_e32 v87, 7, v86
	v_bfe_u32 v112, v86, 3, 4
	v_ffbh_u32_e32 v98, v87
	v_cmp_eq_u32_e32 vcc_lo, 0, v112
	v_min_u32_e32 v98, 32, v98
	v_subrev_nc_u32_e32 v99, 28, v98
	v_sub_nc_u32_e32 v98, 29, v98
	v_lshlrev_b32_e32 v86, v99, v86
	v_lshlrev_b32_e32 v99, 16, v19
	v_cndmask_b32_e32 v98, v112, v98, vcc_lo
	v_and_b32_e32 v86, 7, v86
	v_lshl_add_u32 v98, v98, 23, 0x3b800000
	v_cndmask_b32_e32 v86, v87, v86, vcc_lo
	v_and_b32_e32 v87, 0x80000000, v99
	v_lshlrev_b32_e32 v86, 20, v86
	v_or3_b32 v86, v87, v98, v86
.LBB6_12198:                            ;   in Loop: Header=BB6_10551 Depth=3
	s_or_b32 exec_lo, exec_lo, s22
	v_max_f32_e32 v86, v86, v86
	v_max_f32_e32 v22, v22, v22
	v_min_f32_e32 v98, v22, v86
.LBB6_12199:                            ;   in Loop: Header=BB6_10551 Depth=3
	v_and_b32_e32 v22, 0x7f800000, v98
	v_cmp_ne_u32_e32 vcc_lo, 0x7f800000, v22
	v_mov_b32_e32 v22, 0x8000
	s_and_saveexec_b32 s22, vcc_lo
	s_cbranch_execz .LBB6_12207
; %bb.12200:                            ;   in Loop: Header=BB6_10551 Depth=3
	v_mov_b32_e32 v22, 0
	s_mov_b32 s23, exec_lo
	v_cmpx_ne_u32_e32 0, v98
	s_cbranch_execz .LBB6_12206
; %bb.12201:                            ;   in Loop: Header=BB6_10551 Depth=3
	v_bfe_u32 v86, v98, 23, 8
	v_and_b32_e32 v22, 0x7fffff, v98
                                        ; implicit-def: $vgpr113
	v_cmp_gt_u32_e64 s16, 0x79, v86
	v_sub_nc_u32_e32 v87, 0x78, v86
	v_cmp_eq_u32_e32 vcc_lo, 0, v86
	v_or_b32_e32 v99, 0x800000, v22
	v_cndmask_b32_e64 v87, 0, v87, s16
	v_cndmask_b32_e32 v22, v99, v22, vcc_lo
	v_cndmask_b32_e64 v87, v87, 0x77, vcc_lo
	v_lshl_add_u32 v99, 0x100000, v87, -1
	v_lshlrev_b32_e64 v112, v87, 0x80000
	v_and_b32_e32 v99, v99, v22
	v_cmp_eq_u32_e64 s16, v99, v112
	v_lshrrev_b32_e32 v112, v87, v22
	v_add_nc_u32_e32 v22, 0xffffff89, v86
	v_lshrrev_b32_e32 v86, 23, v112
	v_cndmask_b32_e64 v22, v22, 0xffffff8a, vcc_lo
	v_xor_b32_e32 v99, 1, v86
	v_bfe_u32 v86, v112, 20, 1
	v_add_nc_u32_e32 v22, v87, v22
	v_add_nc_u32_e32 v86, -1, v86
	v_cndmask_b32_e64 v86, 0, v86, s16
	s_mov_b32 s16, exec_lo
	v_add_nc_u32_e32 v86, v86, v112
	v_and_b32_e32 v86, 0xfffff, v86
	v_add_nc_u32_e32 v112, v86, v112
	v_cmpx_ne_u32_e64 v22, v99
	s_xor_b32 s16, exec_lo, s16
; %bb.12202:                            ;   in Loop: Header=BB6_10551 Depth=3
	v_cmp_lt_u32_e32 vcc_lo, 0xffffff, v112
	v_sub_nc_u32_e32 v22, v22, v99
	v_cndmask_b32_e64 v86, 0, 1, vcc_lo
	v_add_co_ci_u32_e64 v113, null, 0, v22, vcc_lo
	v_lshrrev_b32_e32 v112, v86, v112
; %bb.12203:                            ;   in Loop: Header=BB6_10551 Depth=3
	s_andn2_saveexec_b32 s16, s16
; %bb.12204:                            ;   in Loop: Header=BB6_10551 Depth=3
	v_bfe_u32 v113, v112, 23, 1
; %bb.12205:                            ;   in Loop: Header=BB6_10551 Depth=3
	s_or_b32 exec_lo, exec_lo, s16
	v_lshrrev_b32_e32 v86, 20, v112
	v_min_i32_e32 v87, 15, v113
	v_cmp_gt_i32_e32 vcc_lo, 16, v113
	v_and_b32_sdwa v22, v98, v62 dst_sel:DWORD dst_unused:UNUSED_PAD src0_sel:BYTE_3 src1_sel:DWORD
	v_lshlrev_b32_e32 v87, 3, v87
	v_cndmask_b32_e32 v86, 7, v86, vcc_lo
	v_and_b32_e32 v87, 0xf8, v87
	v_or_b32_e32 v98, v113, v86
	v_and_b32_e32 v86, 7, v86
	v_cmp_ne_u32_e32 vcc_lo, 0, v98
	v_or3_b32 v22, v22, v87, v86
	v_lshlrev_b32_e32 v22, 8, v22
	v_cndmask_b32_e32 v22, 0, v22, vcc_lo
.LBB6_12206:                            ;   in Loop: Header=BB6_10551 Depth=3
	s_or_b32 exec_lo, exec_lo, s23
.LBB6_12207:                            ;   in Loop: Header=BB6_10551 Depth=3
	s_or_b32 exec_lo, exec_lo, s22
	v_and_b32_sdwa v98, v23, v72 dst_sel:DWORD dst_unused:UNUSED_PAD src0_sel:WORD_1 src1_sel:DWORD
	s_andn2_b32 vcc_lo, exec_lo, s19
	s_mov_b32 s22, -1
                                        ; implicit-def: $vgpr99
	v_cmp_lt_i16_e64 s16, 0x7f, v98
	s_cbranch_vccnz .LBB6_12221
; %bb.12208:                            ;   in Loop: Header=BB6_10551 Depth=3
	s_mov_b32 s22, 0
	s_and_saveexec_b32 s23, s16
	s_xor_b32 s16, exec_lo, s23
	s_cbranch_execz .LBB6_13221
; %bb.12209:                            ;   in Loop: Header=BB6_10551 Depth=3
	s_mov_b32 s22, -1
	s_mov_b32 s23, exec_lo
	v_cmpx_eq_u16_e32 0x80, v98
; %bb.12210:                            ;   in Loop: Header=BB6_10551 Depth=3
	s_xor_b32 s22, exec_lo, -1
; %bb.12211:                            ;   in Loop: Header=BB6_10551 Depth=3
	s_or_b32 exec_lo, exec_lo, s23
	s_and_b32 s22, s22, exec_lo
	s_or_saveexec_b32 s16, s16
	v_mov_b32_e32 v99, 0x7f800001
	s_xor_b32 exec_lo, exec_lo, s16
	s_cbranch_execnz .LBB6_13222
.LBB6_12212:                            ;   in Loop: Header=BB6_10551 Depth=3
	s_or_b32 exec_lo, exec_lo, s16
	s_and_saveexec_b32 s16, s22
	s_cbranch_execz .LBB6_12214
.LBB6_12213:                            ;   in Loop: Header=BB6_10551 Depth=3
	v_bfe_u32 v86, v23, 16, 3
	v_bfe_u32 v87, v23, 19, 4
	v_ffbh_u32_e32 v99, v86
	v_cmp_eq_u32_e32 vcc_lo, 0, v87
	v_min_u32_e32 v99, 32, v99
	v_subrev_nc_u32_e32 v112, 28, v99
	v_sub_nc_u32_e32 v99, 29, v99
	v_lshlrev_b32_sdwa v112, v112, v23 dst_sel:DWORD dst_unused:UNUSED_PAD src0_sel:DWORD src1_sel:WORD_1
	v_cndmask_b32_e32 v87, v87, v99, vcc_lo
	v_lshlrev_b32_sdwa v99, v73, v23 dst_sel:DWORD dst_unused:UNUSED_PAD src0_sel:DWORD src1_sel:WORD_1
	v_and_b32_e32 v112, 7, v112
	v_lshl_add_u32 v87, v87, 23, 0x3b800000
	v_and_b32_e32 v99, 0x80000000, v99
	v_cndmask_b32_e32 v86, v86, v112, vcc_lo
	v_lshlrev_b32_e32 v86, 20, v86
	v_or3_b32 v99, v99, v87, v86
.LBB6_12214:                            ;   in Loop: Header=BB6_10551 Depth=3
	s_or_b32 exec_lo, exec_lo, s16
	v_and_b32_sdwa v87, v19, v72 dst_sel:DWORD dst_unused:UNUSED_PAD src0_sel:WORD_1 src1_sel:DWORD
	s_mov_b32 s22, 0
	s_mov_b32 s16, exec_lo
	v_cmpx_lt_i16_e32 0x7f, v87
	s_xor_b32 s16, exec_lo, s16
	s_cbranch_execz .LBB6_13223
; %bb.12215:                            ;   in Loop: Header=BB6_10551 Depth=3
	s_mov_b32 s22, -1
	s_mov_b32 s23, exec_lo
	v_cmpx_eq_u16_e32 0x80, v87
; %bb.12216:                            ;   in Loop: Header=BB6_10551 Depth=3
	s_xor_b32 s22, exec_lo, -1
; %bb.12217:                            ;   in Loop: Header=BB6_10551 Depth=3
	s_or_b32 exec_lo, exec_lo, s23
	s_and_b32 s22, s22, exec_lo
                                        ; implicit-def: $vgpr87
	s_or_saveexec_b32 s16, s16
	v_mov_b32_e32 v86, 0x7f800001
	s_xor_b32 exec_lo, exec_lo, s16
	s_cbranch_execnz .LBB6_13224
.LBB6_12218:                            ;   in Loop: Header=BB6_10551 Depth=3
	s_or_b32 exec_lo, exec_lo, s16
	s_and_saveexec_b32 s16, s22
	s_cbranch_execz .LBB6_12220
.LBB6_12219:                            ;   in Loop: Header=BB6_10551 Depth=3
	v_bfe_u32 v86, v19, 16, 3
	v_bfe_u32 v87, v19, 19, 4
	v_ffbh_u32_e32 v112, v86
	v_cmp_eq_u32_e32 vcc_lo, 0, v87
	v_min_u32_e32 v112, 32, v112
	v_subrev_nc_u32_e32 v113, 28, v112
	v_sub_nc_u32_e32 v112, 29, v112
	v_lshlrev_b32_sdwa v113, v113, v19 dst_sel:DWORD dst_unused:UNUSED_PAD src0_sel:DWORD src1_sel:WORD_1
	v_cndmask_b32_e32 v87, v87, v112, vcc_lo
	v_lshlrev_b32_sdwa v112, v73, v19 dst_sel:DWORD dst_unused:UNUSED_PAD src0_sel:DWORD src1_sel:WORD_1
	v_and_b32_e32 v113, 7, v113
	v_lshl_add_u32 v87, v87, 23, 0x3b800000
	v_and_b32_e32 v112, 0x80000000, v112
	v_cndmask_b32_e32 v86, v86, v113, vcc_lo
	v_lshlrev_b32_e32 v86, 20, v86
	v_or3_b32 v86, v112, v87, v86
.LBB6_12220:                            ;   in Loop: Header=BB6_10551 Depth=3
	s_or_b32 exec_lo, exec_lo, s16
	v_max_f32_e32 v86, v86, v86
	v_max_f32_e32 v87, v99, v99
	s_mov_b32 s22, 0
	v_max_f32_e32 v99, v87, v86
.LBB6_12221:                            ;   in Loop: Header=BB6_10551 Depth=3
	s_and_b32 vcc_lo, exec_lo, s22
	s_cbranch_vccz .LBB6_12235
; %bb.12222:                            ;   in Loop: Header=BB6_10551 Depth=3
	s_mov_b32 s22, 0
	s_mov_b32 s16, exec_lo
	v_cmpx_lt_i16_e32 0x7f, v98
	s_xor_b32 s16, exec_lo, s16
	s_cbranch_execz .LBB6_13225
; %bb.12223:                            ;   in Loop: Header=BB6_10551 Depth=3
	s_mov_b32 s22, -1
	s_mov_b32 s23, exec_lo
	v_cmpx_eq_u16_e32 0x80, v98
; %bb.12224:                            ;   in Loop: Header=BB6_10551 Depth=3
	s_xor_b32 s22, exec_lo, -1
; %bb.12225:                            ;   in Loop: Header=BB6_10551 Depth=3
	s_or_b32 exec_lo, exec_lo, s23
	s_and_b32 s22, s22, exec_lo
                                        ; implicit-def: $vgpr98
	s_or_saveexec_b32 s16, s16
	v_mov_b32_e32 v99, 0x7f800001
	s_xor_b32 exec_lo, exec_lo, s16
	s_cbranch_execnz .LBB6_13226
.LBB6_12226:                            ;   in Loop: Header=BB6_10551 Depth=3
	s_or_b32 exec_lo, exec_lo, s16
	s_and_saveexec_b32 s16, s22
	s_cbranch_execz .LBB6_12228
.LBB6_12227:                            ;   in Loop: Header=BB6_10551 Depth=3
	v_bfe_u32 v86, v23, 16, 3
	v_bfe_u32 v87, v23, 19, 4
	v_ffbh_u32_e32 v98, v86
	v_cmp_eq_u32_e32 vcc_lo, 0, v87
	v_min_u32_e32 v98, 32, v98
	v_subrev_nc_u32_e32 v99, 28, v98
	v_sub_nc_u32_e32 v98, 29, v98
	v_lshlrev_b32_sdwa v99, v99, v23 dst_sel:DWORD dst_unused:UNUSED_PAD src0_sel:DWORD src1_sel:WORD_1
	v_cndmask_b32_e32 v87, v87, v98, vcc_lo
	v_lshlrev_b32_sdwa v98, v73, v23 dst_sel:DWORD dst_unused:UNUSED_PAD src0_sel:DWORD src1_sel:WORD_1
	v_and_b32_e32 v99, 7, v99
	v_lshl_add_u32 v87, v87, 23, 0x3b800000
	v_and_b32_e32 v98, 0x80000000, v98
	v_cndmask_b32_e32 v86, v86, v99, vcc_lo
	v_lshlrev_b32_e32 v86, 20, v86
	v_or3_b32 v99, v98, v87, v86
.LBB6_12228:                            ;   in Loop: Header=BB6_10551 Depth=3
	s_or_b32 exec_lo, exec_lo, s16
	v_and_b32_sdwa v87, v19, v72 dst_sel:DWORD dst_unused:UNUSED_PAD src0_sel:WORD_1 src1_sel:DWORD
	s_mov_b32 s22, 0
	s_mov_b32 s16, exec_lo
	v_cmpx_lt_i16_e32 0x7f, v87
	s_xor_b32 s16, exec_lo, s16
	s_cbranch_execz .LBB6_13227
; %bb.12229:                            ;   in Loop: Header=BB6_10551 Depth=3
	s_mov_b32 s22, -1
	s_mov_b32 s23, exec_lo
	v_cmpx_eq_u16_e32 0x80, v87
; %bb.12230:                            ;   in Loop: Header=BB6_10551 Depth=3
	s_xor_b32 s22, exec_lo, -1
; %bb.12231:                            ;   in Loop: Header=BB6_10551 Depth=3
	s_or_b32 exec_lo, exec_lo, s23
	s_and_b32 s22, s22, exec_lo
                                        ; implicit-def: $vgpr87
	s_or_saveexec_b32 s16, s16
	v_mov_b32_e32 v86, 0x7f800001
	s_xor_b32 exec_lo, exec_lo, s16
	s_cbranch_execnz .LBB6_13228
.LBB6_12232:                            ;   in Loop: Header=BB6_10551 Depth=3
	s_or_b32 exec_lo, exec_lo, s16
	s_and_saveexec_b32 s16, s22
	s_cbranch_execz .LBB6_12234
.LBB6_12233:                            ;   in Loop: Header=BB6_10551 Depth=3
	v_bfe_u32 v86, v19, 16, 3
	v_bfe_u32 v87, v19, 19, 4
	v_ffbh_u32_e32 v98, v86
	v_cmp_eq_u32_e32 vcc_lo, 0, v87
	v_min_u32_e32 v98, 32, v98
	v_subrev_nc_u32_e32 v112, 28, v98
	v_sub_nc_u32_e32 v98, 29, v98
	v_lshlrev_b32_sdwa v112, v112, v19 dst_sel:DWORD dst_unused:UNUSED_PAD src0_sel:DWORD src1_sel:WORD_1
	v_cndmask_b32_e32 v87, v87, v98, vcc_lo
	v_lshlrev_b32_sdwa v98, v73, v19 dst_sel:DWORD dst_unused:UNUSED_PAD src0_sel:DWORD src1_sel:WORD_1
	v_and_b32_e32 v112, 7, v112
	v_lshl_add_u32 v87, v87, 23, 0x3b800000
	v_and_b32_e32 v98, 0x80000000, v98
	v_cndmask_b32_e32 v86, v86, v112, vcc_lo
	v_lshlrev_b32_e32 v86, 20, v86
	v_or3_b32 v86, v98, v87, v86
.LBB6_12234:                            ;   in Loop: Header=BB6_10551 Depth=3
	s_or_b32 exec_lo, exec_lo, s16
	v_max_f32_e32 v86, v86, v86
	v_max_f32_e32 v87, v99, v99
	v_min_f32_e32 v99, v87, v86
.LBB6_12235:                            ;   in Loop: Header=BB6_10551 Depth=3
	v_and_b32_e32 v86, 0x7f800000, v99
	v_mov_b32_e32 v124, 0x80
	s_mov_b32 s22, exec_lo
	v_cmpx_ne_u32_e32 0x7f800000, v86
	s_cbranch_execz .LBB6_12243
; %bb.12236:                            ;   in Loop: Header=BB6_10551 Depth=3
	v_mov_b32_e32 v124, 0
	s_mov_b32 s23, exec_lo
	v_cmpx_ne_u32_e32 0, v99
	s_cbranch_execz .LBB6_12242
; %bb.12237:                            ;   in Loop: Header=BB6_10551 Depth=3
	v_bfe_u32 v87, v99, 23, 8
	v_and_b32_e32 v86, 0x7fffff, v99
                                        ; implicit-def: $vgpr46
	v_cmp_gt_u32_e64 s16, 0x79, v87
	v_sub_nc_u32_e32 v98, 0x78, v87
	v_cmp_eq_u32_e32 vcc_lo, 0, v87
	v_or_b32_e32 v112, 0x800000, v86
	v_add_nc_u32_e32 v87, 0xffffff89, v87
	v_cndmask_b32_e64 v98, 0, v98, s16
	v_cndmask_b32_e32 v86, v112, v86, vcc_lo
	v_cndmask_b32_e64 v87, v87, 0xffffff8a, vcc_lo
	v_cndmask_b32_e64 v98, v98, 0x77, vcc_lo
	v_lshl_add_u32 v112, 0x100000, v98, -1
	v_lshlrev_b32_e64 v113, v98, 0x80000
	v_and_b32_e32 v112, v112, v86
	v_lshrrev_b32_e32 v86, v98, v86
	v_add_nc_u32_e32 v98, v98, v87
	v_cmp_eq_u32_e64 s16, v112, v113
	v_lshrrev_b32_e32 v87, 23, v86
	v_xor_b32_e32 v112, 1, v87
	v_bfe_u32 v87, v86, 20, 1
	v_add_nc_u32_e32 v87, -1, v87
	v_cndmask_b32_e64 v87, 0, v87, s16
	s_mov_b32 s16, exec_lo
	v_add_nc_u32_e32 v87, v87, v86
	v_and_b32_e32 v87, 0xfffff, v87
	v_add_nc_u32_e32 v113, v87, v86
	v_cmpx_ne_u32_e64 v98, v112
	s_xor_b32 s16, exec_lo, s16
; %bb.12238:                            ;   in Loop: Header=BB6_10551 Depth=3
	v_cmp_lt_u32_e32 vcc_lo, 0xffffff, v113
	v_sub_nc_u32_e32 v86, v98, v112
	v_cndmask_b32_e64 v87, 0, 1, vcc_lo
	v_add_co_ci_u32_e64 v46, null, 0, v86, vcc_lo
	v_lshrrev_b32_e32 v113, v87, v113
; %bb.12239:                            ;   in Loop: Header=BB6_10551 Depth=3
	s_andn2_saveexec_b32 s16, s16
; %bb.12240:                            ;   in Loop: Header=BB6_10551 Depth=3
	v_bfe_u32 v46, v113, 23, 1
; %bb.12241:                            ;   in Loop: Header=BB6_10551 Depth=3
	s_or_b32 exec_lo, exec_lo, s16
	v_lshrrev_b32_e32 v87, 20, v113
	v_min_i32_e32 v98, 15, v46
	v_cmp_gt_i32_e32 vcc_lo, 16, v46
	v_and_b32_sdwa v86, v99, v62 dst_sel:DWORD dst_unused:UNUSED_PAD src0_sel:BYTE_3 src1_sel:DWORD
	v_lshlrev_b32_e32 v98, 3, v98
	v_cndmask_b32_e32 v87, 7, v87, vcc_lo
	v_and_b32_e32 v98, 0xf8, v98
	v_or_b32_e32 v99, v46, v87
	v_and_b32_e32 v87, 7, v87
	v_cmp_ne_u32_e32 vcc_lo, 0, v99
	v_or3_b32 v86, v98, v86, v87
	v_cndmask_b32_e32 v124, 0, v86, vcc_lo
.LBB6_12242:                            ;   in Loop: Header=BB6_10551 Depth=3
	s_or_b32 exec_lo, exec_lo, s23
.LBB6_12243:                            ;   in Loop: Header=BB6_10551 Depth=3
	s_or_b32 exec_lo, exec_lo, s22
	v_cmp_gt_i16_sdwa s22, v23, v61 src0_sel:BYTE_3 src1_sel:DWORD
	s_andn2_b32 vcc_lo, exec_lo, s19
	s_mov_b32 s16, -1
                                        ; implicit-def: $vgpr98
	s_cbranch_vccnz .LBB6_12257
; %bb.12244:                            ;   in Loop: Header=BB6_10551 Depth=3
	s_mov_b32 s16, 0
	s_and_saveexec_b32 s23, s22
	s_xor_b32 s22, exec_lo, s23
	s_cbranch_execz .LBB6_13229
; %bb.12245:                            ;   in Loop: Header=BB6_10551 Depth=3
	v_cmp_eq_u16_sdwa s73, v23, v62 src0_sel:BYTE_3 src1_sel:DWORD
	s_mov_b32 s16, -1
	s_and_saveexec_b32 s23, s73
; %bb.12246:                            ;   in Loop: Header=BB6_10551 Depth=3
	s_xor_b32 s16, exec_lo, -1
; %bb.12247:                            ;   in Loop: Header=BB6_10551 Depth=3
	s_or_b32 exec_lo, exec_lo, s23
	s_and_b32 s16, s16, exec_lo
	s_or_saveexec_b32 s22, s22
	v_mov_b32_e32 v98, 0x7f800001
	s_xor_b32 exec_lo, exec_lo, s22
	s_cbranch_execnz .LBB6_13230
.LBB6_12248:                            ;   in Loop: Header=BB6_10551 Depth=3
	s_or_b32 exec_lo, exec_lo, s22
	s_and_saveexec_b32 s22, s16
	s_cbranch_execz .LBB6_12250
.LBB6_12249:                            ;   in Loop: Header=BB6_10551 Depth=3
	v_bfe_u32 v86, v23, 24, 3
	v_bfe_u32 v99, v23, 27, 4
	v_ffbh_u32_e32 v87, v86
	v_cmp_eq_u32_e32 vcc_lo, 0, v99
	v_min_u32_e32 v87, 32, v87
	v_subrev_nc_u32_e32 v98, 28, v87
	v_sub_nc_u32_e32 v87, 29, v87
	v_lshlrev_b32_sdwa v98, v98, v23 dst_sel:DWORD dst_unused:UNUSED_PAD src0_sel:DWORD src1_sel:BYTE_3
	v_cndmask_b32_e32 v87, v99, v87, vcc_lo
	v_and_b32_e32 v98, 7, v98
	v_lshl_add_u32 v87, v87, 23, 0x3b800000
	v_cndmask_b32_e32 v86, v86, v98, vcc_lo
	v_and_b32_e32 v98, 0x80000000, v23
	v_lshlrev_b32_e32 v86, 20, v86
	v_or3_b32 v98, v98, v87, v86
.LBB6_12250:                            ;   in Loop: Header=BB6_10551 Depth=3
	s_or_b32 exec_lo, exec_lo, s22
	v_cmp_gt_i16_sdwa s22, v19, v61 src0_sel:BYTE_3 src1_sel:DWORD
	s_mov_b32 s16, 0
	s_and_saveexec_b32 s23, s22
	s_xor_b32 s22, exec_lo, s23
	s_cbranch_execz .LBB6_13231
; %bb.12251:                            ;   in Loop: Header=BB6_10551 Depth=3
	v_cmp_eq_u16_sdwa s73, v19, v62 src0_sel:BYTE_3 src1_sel:DWORD
	s_mov_b32 s16, -1
	s_and_saveexec_b32 s23, s73
; %bb.12252:                            ;   in Loop: Header=BB6_10551 Depth=3
	s_xor_b32 s16, exec_lo, -1
; %bb.12253:                            ;   in Loop: Header=BB6_10551 Depth=3
	s_or_b32 exec_lo, exec_lo, s23
	s_and_b32 s16, s16, exec_lo
	s_or_saveexec_b32 s22, s22
	v_mov_b32_e32 v86, 0x7f800001
	s_xor_b32 exec_lo, exec_lo, s22
	s_cbranch_execnz .LBB6_13232
.LBB6_12254:                            ;   in Loop: Header=BB6_10551 Depth=3
	s_or_b32 exec_lo, exec_lo, s22
	s_and_saveexec_b32 s22, s16
	s_cbranch_execz .LBB6_12256
.LBB6_12255:                            ;   in Loop: Header=BB6_10551 Depth=3
	v_bfe_u32 v86, v19, 24, 3
	v_bfe_u32 v112, v19, 27, 4
	v_ffbh_u32_e32 v87, v86
	v_cmp_eq_u32_e32 vcc_lo, 0, v112
	v_min_u32_e32 v87, 32, v87
	v_subrev_nc_u32_e32 v99, 28, v87
	v_sub_nc_u32_e32 v87, 29, v87
	v_lshlrev_b32_sdwa v99, v99, v19 dst_sel:DWORD dst_unused:UNUSED_PAD src0_sel:DWORD src1_sel:BYTE_3
	v_cndmask_b32_e32 v87, v112, v87, vcc_lo
	v_and_b32_e32 v99, 7, v99
	v_lshl_add_u32 v87, v87, 23, 0x3b800000
	v_cndmask_b32_e32 v86, v86, v99, vcc_lo
	v_and_b32_e32 v99, 0x80000000, v19
	v_lshlrev_b32_e32 v86, 20, v86
	v_or3_b32 v86, v99, v87, v86
.LBB6_12256:                            ;   in Loop: Header=BB6_10551 Depth=3
	s_or_b32 exec_lo, exec_lo, s22
	v_max_f32_e32 v86, v86, v86
	v_max_f32_e32 v87, v98, v98
	s_mov_b32 s16, 0
	v_max_f32_e32 v98, v87, v86
.LBB6_12257:                            ;   in Loop: Header=BB6_10551 Depth=3
	s_and_b32 vcc_lo, exec_lo, s16
	s_cbranch_vccz .LBB6_12271
; %bb.12258:                            ;   in Loop: Header=BB6_10551 Depth=3
	v_cmp_gt_i16_sdwa s22, v23, v61 src0_sel:BYTE_3 src1_sel:DWORD
	s_mov_b32 s16, 0
	s_and_saveexec_b32 s23, s22
	s_xor_b32 s22, exec_lo, s23
	s_cbranch_execz .LBB6_13233
; %bb.12259:                            ;   in Loop: Header=BB6_10551 Depth=3
	v_cmp_eq_u16_sdwa s73, v23, v62 src0_sel:BYTE_3 src1_sel:DWORD
	s_mov_b32 s16, -1
	s_and_saveexec_b32 s23, s73
; %bb.12260:                            ;   in Loop: Header=BB6_10551 Depth=3
	s_xor_b32 s16, exec_lo, -1
; %bb.12261:                            ;   in Loop: Header=BB6_10551 Depth=3
	s_or_b32 exec_lo, exec_lo, s23
	s_and_b32 s16, s16, exec_lo
	s_or_saveexec_b32 s22, s22
	v_mov_b32_e32 v98, 0x7f800001
	s_xor_b32 exec_lo, exec_lo, s22
	s_cbranch_execnz .LBB6_13234
.LBB6_12262:                            ;   in Loop: Header=BB6_10551 Depth=3
	s_or_b32 exec_lo, exec_lo, s22
	s_and_saveexec_b32 s22, s16
	s_cbranch_execz .LBB6_12264
.LBB6_12263:                            ;   in Loop: Header=BB6_10551 Depth=3
	v_bfe_u32 v86, v23, 24, 3
	v_bfe_u32 v99, v23, 27, 4
	v_ffbh_u32_e32 v87, v86
	v_cmp_eq_u32_e32 vcc_lo, 0, v99
	v_min_u32_e32 v87, 32, v87
	v_subrev_nc_u32_e32 v98, 28, v87
	v_sub_nc_u32_e32 v87, 29, v87
	v_lshlrev_b32_sdwa v98, v98, v23 dst_sel:DWORD dst_unused:UNUSED_PAD src0_sel:DWORD src1_sel:BYTE_3
	v_cndmask_b32_e32 v87, v99, v87, vcc_lo
	v_and_b32_e32 v23, 0x80000000, v23
	v_and_b32_e32 v98, 7, v98
	v_lshl_add_u32 v87, v87, 23, 0x3b800000
	v_cndmask_b32_e32 v86, v86, v98, vcc_lo
	v_lshlrev_b32_e32 v86, 20, v86
	v_or3_b32 v98, v23, v87, v86
.LBB6_12264:                            ;   in Loop: Header=BB6_10551 Depth=3
	s_or_b32 exec_lo, exec_lo, s22
	v_cmp_gt_i16_sdwa s22, v19, v61 src0_sel:BYTE_3 src1_sel:DWORD
	s_mov_b32 s16, 0
	s_and_saveexec_b32 s23, s22
	s_xor_b32 s22, exec_lo, s23
	s_cbranch_execz .LBB6_13235
; %bb.12265:                            ;   in Loop: Header=BB6_10551 Depth=3
	v_cmp_eq_u16_sdwa s73, v19, v62 src0_sel:BYTE_3 src1_sel:DWORD
	s_mov_b32 s16, -1
	s_and_saveexec_b32 s23, s73
; %bb.12266:                            ;   in Loop: Header=BB6_10551 Depth=3
	s_xor_b32 s16, exec_lo, -1
; %bb.12267:                            ;   in Loop: Header=BB6_10551 Depth=3
	s_or_b32 exec_lo, exec_lo, s23
	s_and_b32 s16, s16, exec_lo
	s_or_saveexec_b32 s22, s22
	v_mov_b32_e32 v23, 0x7f800001
	s_xor_b32 exec_lo, exec_lo, s22
	s_cbranch_execnz .LBB6_13236
.LBB6_12268:                            ;   in Loop: Header=BB6_10551 Depth=3
	s_or_b32 exec_lo, exec_lo, s22
	s_and_saveexec_b32 s22, s16
	s_cbranch_execz .LBB6_12270
.LBB6_12269:                            ;   in Loop: Header=BB6_10551 Depth=3
	v_bfe_u32 v23, v19, 24, 3
	v_bfe_u32 v99, v19, 27, 4
	v_ffbh_u32_e32 v86, v23
	v_cmp_eq_u32_e32 vcc_lo, 0, v99
	v_min_u32_e32 v86, 32, v86
	v_subrev_nc_u32_e32 v87, 28, v86
	v_sub_nc_u32_e32 v86, 29, v86
	v_lshlrev_b32_sdwa v87, v87, v19 dst_sel:DWORD dst_unused:UNUSED_PAD src0_sel:DWORD src1_sel:BYTE_3
	v_cndmask_b32_e32 v86, v99, v86, vcc_lo
	v_and_b32_e32 v19, 0x80000000, v19
	v_and_b32_e32 v87, 7, v87
	v_lshl_add_u32 v86, v86, 23, 0x3b800000
	v_cndmask_b32_e32 v23, v23, v87, vcc_lo
	v_lshlrev_b32_e32 v23, 20, v23
	v_or3_b32 v23, v19, v86, v23
.LBB6_12270:                            ;   in Loop: Header=BB6_10551 Depth=3
	s_or_b32 exec_lo, exec_lo, s22
	v_max_f32_e32 v19, v23, v23
	v_max_f32_e32 v23, v98, v98
	v_min_f32_e32 v98, v23, v19
.LBB6_12271:                            ;   in Loop: Header=BB6_10551 Depth=3
	v_and_b32_e32 v19, 0x7f800000, v98
	v_cmp_ne_u32_e32 vcc_lo, 0x7f800000, v19
	v_mov_b32_e32 v19, 0x8000
	s_and_saveexec_b32 s22, vcc_lo
	s_cbranch_execz .LBB6_12279
; %bb.12272:                            ;   in Loop: Header=BB6_10551 Depth=3
	v_mov_b32_e32 v19, 0
	s_mov_b32 s23, exec_lo
	v_cmpx_ne_u32_e32 0, v98
	s_cbranch_execz .LBB6_12278
; %bb.12273:                            ;   in Loop: Header=BB6_10551 Depth=3
	v_bfe_u32 v23, v98, 23, 8
	v_and_b32_e32 v19, 0x7fffff, v98
                                        ; implicit-def: $vgpr112
	v_cmp_gt_u32_e64 s16, 0x79, v23
	v_sub_nc_u32_e32 v86, 0x78, v23
	v_cmp_eq_u32_e32 vcc_lo, 0, v23
	v_or_b32_e32 v87, 0x800000, v19
	v_cndmask_b32_e64 v86, 0, v86, s16
	v_cndmask_b32_e32 v19, v87, v19, vcc_lo
	v_cndmask_b32_e64 v86, v86, 0x77, vcc_lo
	v_lshl_add_u32 v87, 0x100000, v86, -1
	v_lshlrev_b32_e64 v99, v86, 0x80000
	v_and_b32_e32 v87, v87, v19
	v_cmp_eq_u32_e64 s16, v87, v99
	v_lshrrev_b32_e32 v87, v86, v19
	v_add_nc_u32_e32 v19, 0xffffff89, v23
	v_lshrrev_b32_e32 v23, 23, v87
	v_cndmask_b32_e64 v19, v19, 0xffffff8a, vcc_lo
	v_xor_b32_e32 v23, 1, v23
	v_add_nc_u32_e32 v19, v86, v19
	v_bfe_u32 v86, v87, 20, 1
	v_add_nc_u32_e32 v86, -1, v86
	v_cndmask_b32_e64 v86, 0, v86, s16
	s_mov_b32 s16, exec_lo
	v_add_nc_u32_e32 v86, v86, v87
	v_and_b32_e32 v86, 0xfffff, v86
	v_add_nc_u32_e32 v99, v86, v87
	v_cmpx_ne_u32_e64 v19, v23
	s_xor_b32 s16, exec_lo, s16
; %bb.12274:                            ;   in Loop: Header=BB6_10551 Depth=3
	v_cmp_lt_u32_e32 vcc_lo, 0xffffff, v99
	v_sub_nc_u32_e32 v19, v19, v23
	v_cndmask_b32_e64 v23, 0, 1, vcc_lo
	v_add_co_ci_u32_e64 v112, null, 0, v19, vcc_lo
	v_lshrrev_b32_e32 v99, v23, v99
; %bb.12275:                            ;   in Loop: Header=BB6_10551 Depth=3
	s_andn2_saveexec_b32 s16, s16
; %bb.12276:                            ;   in Loop: Header=BB6_10551 Depth=3
	v_bfe_u32 v112, v99, 23, 1
; %bb.12277:                            ;   in Loop: Header=BB6_10551 Depth=3
	s_or_b32 exec_lo, exec_lo, s16
	v_lshrrev_b32_e32 v23, 20, v99
	v_min_i32_e32 v86, 15, v112
	v_cmp_gt_i32_e32 vcc_lo, 16, v112
	v_and_b32_sdwa v19, v98, v62 dst_sel:DWORD dst_unused:UNUSED_PAD src0_sel:BYTE_3 src1_sel:DWORD
	v_lshlrev_b32_e32 v86, 3, v86
	v_cndmask_b32_e32 v23, 7, v23, vcc_lo
	v_and_b32_e32 v86, 0xf8, v86
	v_or_b32_e32 v87, v112, v23
	v_and_b32_e32 v23, 7, v23
	v_cmp_ne_u32_e32 vcc_lo, 0, v87
	v_or3_b32 v19, v19, v86, v23
	v_lshlrev_b32_e32 v19, 8, v19
	v_cndmask_b32_e32 v19, 0, v19, vcc_lo
.LBB6_12278:                            ;   in Loop: Header=BB6_10551 Depth=3
	s_or_b32 exec_lo, exec_lo, s23
.LBB6_12279:                            ;   in Loop: Header=BB6_10551 Depth=3
	s_or_b32 exec_lo, exec_lo, s22
	v_cmp_gt_i16_sdwa s23, v12, v61 src0_sel:BYTE_0 src1_sel:DWORD
	s_andn2_b32 vcc_lo, exec_lo, s19
	s_mov_b32 s16, -1
                                        ; implicit-def: $vgpr98
	s_cbranch_vccnz .LBB6_12293
; %bb.12280:                            ;   in Loop: Header=BB6_10551 Depth=3
	s_mov_b32 s22, 0
	s_and_saveexec_b32 s16, s23
	s_xor_b32 s16, exec_lo, s16
	s_cbranch_execz .LBB6_13237
; %bb.12281:                            ;   in Loop: Header=BB6_10551 Depth=3
	v_cmp_eq_u16_sdwa s73, v12, v62 src0_sel:BYTE_0 src1_sel:DWORD
	s_mov_b32 s22, -1
	s_and_saveexec_b32 s23, s73
; %bb.12282:                            ;   in Loop: Header=BB6_10551 Depth=3
	s_xor_b32 s22, exec_lo, -1
; %bb.12283:                            ;   in Loop: Header=BB6_10551 Depth=3
	s_or_b32 exec_lo, exec_lo, s23
	s_and_b32 s22, s22, exec_lo
	s_or_saveexec_b32 s16, s16
	v_mov_b32_e32 v23, 0x7f800001
	s_xor_b32 exec_lo, exec_lo, s16
	s_cbranch_execnz .LBB6_13238
.LBB6_12284:                            ;   in Loop: Header=BB6_10551 Depth=3
	s_or_b32 exec_lo, exec_lo, s16
	s_and_saveexec_b32 s16, s22
	s_cbranch_execz .LBB6_12286
.LBB6_12285:                            ;   in Loop: Header=BB6_10551 Depth=3
	v_and_b32_e32 v23, 7, v12
	v_bfe_u32 v86, v12, 3, 4
	v_ffbh_u32_e32 v87, v23
	v_cmp_eq_u32_e32 vcc_lo, 0, v86
	v_min_u32_e32 v87, 32, v87
	v_subrev_nc_u32_e32 v98, 28, v87
	v_sub_nc_u32_e32 v87, 29, v87
	v_lshlrev_b32_e32 v98, v98, v12
	v_cndmask_b32_e32 v86, v86, v87, vcc_lo
	v_lshlrev_b32_e32 v87, 24, v12
	v_and_b32_e32 v98, 7, v98
	v_lshl_add_u32 v86, v86, 23, 0x3b800000
	v_and_b32_e32 v87, 0x80000000, v87
	v_cndmask_b32_e32 v23, v23, v98, vcc_lo
	v_lshlrev_b32_e32 v23, 20, v23
	v_or3_b32 v23, v87, v86, v23
.LBB6_12286:                            ;   in Loop: Header=BB6_10551 Depth=3
	s_or_b32 exec_lo, exec_lo, s16
	s_waitcnt vmcnt(0)
	v_cmp_gt_i16_sdwa s16, v8, v61 src0_sel:BYTE_0 src1_sel:DWORD
	s_mov_b32 s22, 0
	s_and_saveexec_b32 s23, s16
	s_xor_b32 s16, exec_lo, s23
	s_cbranch_execz .LBB6_13239
; %bb.12287:                            ;   in Loop: Header=BB6_10551 Depth=3
	v_cmp_eq_u16_sdwa s73, v8, v62 src0_sel:BYTE_0 src1_sel:DWORD
	s_mov_b32 s22, -1
	s_and_saveexec_b32 s23, s73
; %bb.12288:                            ;   in Loop: Header=BB6_10551 Depth=3
	s_xor_b32 s22, exec_lo, -1
; %bb.12289:                            ;   in Loop: Header=BB6_10551 Depth=3
	s_or_b32 exec_lo, exec_lo, s23
	s_and_b32 s22, s22, exec_lo
	s_or_saveexec_b32 s16, s16
	v_mov_b32_e32 v86, 0x7f800001
	s_xor_b32 exec_lo, exec_lo, s16
	s_cbranch_execnz .LBB6_13240
.LBB6_12290:                            ;   in Loop: Header=BB6_10551 Depth=3
	s_or_b32 exec_lo, exec_lo, s16
	s_and_saveexec_b32 s16, s22
	s_cbranch_execz .LBB6_12292
.LBB6_12291:                            ;   in Loop: Header=BB6_10551 Depth=3
	v_and_b32_e32 v86, 7, v8
	v_bfe_u32 v87, v8, 3, 4
	v_ffbh_u32_e32 v98, v86
	v_cmp_eq_u32_e32 vcc_lo, 0, v87
	v_min_u32_e32 v98, 32, v98
	v_subrev_nc_u32_e32 v99, 28, v98
	v_sub_nc_u32_e32 v98, 29, v98
	v_lshlrev_b32_e32 v99, v99, v8
	v_cndmask_b32_e32 v87, v87, v98, vcc_lo
	v_lshlrev_b32_e32 v98, 24, v8
	v_and_b32_e32 v99, 7, v99
	v_lshl_add_u32 v87, v87, 23, 0x3b800000
	v_and_b32_e32 v98, 0x80000000, v98
	v_cndmask_b32_e32 v86, v86, v99, vcc_lo
	v_lshlrev_b32_e32 v86, 20, v86
	v_or3_b32 v86, v98, v87, v86
.LBB6_12292:                            ;   in Loop: Header=BB6_10551 Depth=3
	s_or_b32 exec_lo, exec_lo, s16
	v_max_f32_e32 v86, v86, v86
	v_max_f32_e32 v23, v23, v23
	s_mov_b32 s16, 0
	v_max_f32_e32 v98, v23, v86
.LBB6_12293:                            ;   in Loop: Header=BB6_10551 Depth=3
	s_and_b32 vcc_lo, exec_lo, s16
	s_cbranch_vccz .LBB6_12307
; %bb.12294:                            ;   in Loop: Header=BB6_10551 Depth=3
	v_cmp_gt_i16_sdwa s16, v12, v61 src0_sel:BYTE_0 src1_sel:DWORD
	s_mov_b32 s22, 0
	s_and_saveexec_b32 s23, s16
	s_xor_b32 s16, exec_lo, s23
	s_cbranch_execz .LBB6_13241
; %bb.12295:                            ;   in Loop: Header=BB6_10551 Depth=3
	v_cmp_eq_u16_sdwa s73, v12, v62 src0_sel:BYTE_0 src1_sel:DWORD
	s_mov_b32 s22, -1
	s_and_saveexec_b32 s23, s73
; %bb.12296:                            ;   in Loop: Header=BB6_10551 Depth=3
	s_xor_b32 s22, exec_lo, -1
; %bb.12297:                            ;   in Loop: Header=BB6_10551 Depth=3
	s_or_b32 exec_lo, exec_lo, s23
	s_and_b32 s22, s22, exec_lo
	s_or_saveexec_b32 s16, s16
	v_mov_b32_e32 v23, 0x7f800001
	s_xor_b32 exec_lo, exec_lo, s16
	s_cbranch_execnz .LBB6_13242
.LBB6_12298:                            ;   in Loop: Header=BB6_10551 Depth=3
	s_or_b32 exec_lo, exec_lo, s16
	s_and_saveexec_b32 s16, s22
	s_cbranch_execz .LBB6_12300
.LBB6_12299:                            ;   in Loop: Header=BB6_10551 Depth=3
	v_and_b32_e32 v23, 7, v12
	v_bfe_u32 v86, v12, 3, 4
	v_ffbh_u32_e32 v87, v23
	v_cmp_eq_u32_e32 vcc_lo, 0, v86
	v_min_u32_e32 v87, 32, v87
	v_subrev_nc_u32_e32 v98, 28, v87
	v_sub_nc_u32_e32 v87, 29, v87
	v_lshlrev_b32_e32 v98, v98, v12
	v_cndmask_b32_e32 v86, v86, v87, vcc_lo
	v_lshlrev_b32_e32 v87, 24, v12
	v_and_b32_e32 v98, 7, v98
	v_lshl_add_u32 v86, v86, 23, 0x3b800000
	v_and_b32_e32 v87, 0x80000000, v87
	v_cndmask_b32_e32 v23, v23, v98, vcc_lo
	v_lshlrev_b32_e32 v23, 20, v23
	v_or3_b32 v23, v87, v86, v23
.LBB6_12300:                            ;   in Loop: Header=BB6_10551 Depth=3
	s_or_b32 exec_lo, exec_lo, s16
	s_waitcnt vmcnt(0)
	v_cmp_gt_i16_sdwa s16, v8, v61 src0_sel:BYTE_0 src1_sel:DWORD
	s_mov_b32 s22, 0
	s_and_saveexec_b32 s23, s16
	s_xor_b32 s16, exec_lo, s23
	s_cbranch_execz .LBB6_13243
; %bb.12301:                            ;   in Loop: Header=BB6_10551 Depth=3
	v_cmp_eq_u16_sdwa s73, v8, v62 src0_sel:BYTE_0 src1_sel:DWORD
	s_mov_b32 s22, -1
	s_and_saveexec_b32 s23, s73
; %bb.12302:                            ;   in Loop: Header=BB6_10551 Depth=3
	s_xor_b32 s22, exec_lo, -1
; %bb.12303:                            ;   in Loop: Header=BB6_10551 Depth=3
	s_or_b32 exec_lo, exec_lo, s23
	s_and_b32 s22, s22, exec_lo
	s_or_saveexec_b32 s16, s16
	v_mov_b32_e32 v86, 0x7f800001
	s_xor_b32 exec_lo, exec_lo, s16
	s_cbranch_execnz .LBB6_13244
.LBB6_12304:                            ;   in Loop: Header=BB6_10551 Depth=3
	s_or_b32 exec_lo, exec_lo, s16
	s_and_saveexec_b32 s16, s22
	s_cbranch_execz .LBB6_12306
.LBB6_12305:                            ;   in Loop: Header=BB6_10551 Depth=3
	v_and_b32_e32 v86, 7, v8
	v_bfe_u32 v87, v8, 3, 4
	v_ffbh_u32_e32 v98, v86
	v_cmp_eq_u32_e32 vcc_lo, 0, v87
	v_min_u32_e32 v98, 32, v98
	v_subrev_nc_u32_e32 v99, 28, v98
	v_sub_nc_u32_e32 v98, 29, v98
	v_lshlrev_b32_e32 v99, v99, v8
	v_cndmask_b32_e32 v87, v87, v98, vcc_lo
	v_lshlrev_b32_e32 v98, 24, v8
	v_and_b32_e32 v99, 7, v99
	v_lshl_add_u32 v87, v87, 23, 0x3b800000
	v_and_b32_e32 v98, 0x80000000, v98
	v_cndmask_b32_e32 v86, v86, v99, vcc_lo
	v_lshlrev_b32_e32 v86, 20, v86
	v_or3_b32 v86, v98, v87, v86
.LBB6_12306:                            ;   in Loop: Header=BB6_10551 Depth=3
	s_or_b32 exec_lo, exec_lo, s16
	v_max_f32_e32 v86, v86, v86
	v_max_f32_e32 v23, v23, v23
	v_min_f32_e32 v98, v23, v86
.LBB6_12307:                            ;   in Loop: Header=BB6_10551 Depth=3
	v_and_b32_e32 v23, 0x7f800000, v98
	v_cmp_ne_u32_e32 vcc_lo, 0x7f800000, v23
	v_mov_b32_e32 v23, 0x80
	s_and_saveexec_b32 s22, vcc_lo
	s_cbranch_execz .LBB6_12315
; %bb.12308:                            ;   in Loop: Header=BB6_10551 Depth=3
	v_mov_b32_e32 v23, 0
	s_mov_b32 s23, exec_lo
	v_cmpx_ne_u32_e32 0, v98
	s_cbranch_execz .LBB6_12314
; %bb.12309:                            ;   in Loop: Header=BB6_10551 Depth=3
	v_bfe_u32 v86, v98, 23, 8
	v_and_b32_e32 v23, 0x7fffff, v98
                                        ; implicit-def: $vgpr113
	v_cmp_gt_u32_e64 s16, 0x79, v86
	v_sub_nc_u32_e32 v87, 0x78, v86
	v_cmp_eq_u32_e32 vcc_lo, 0, v86
	v_or_b32_e32 v99, 0x800000, v23
	v_cndmask_b32_e64 v87, 0, v87, s16
	v_cndmask_b32_e32 v23, v99, v23, vcc_lo
	v_cndmask_b32_e64 v87, v87, 0x77, vcc_lo
	v_lshl_add_u32 v99, 0x100000, v87, -1
	v_lshlrev_b32_e64 v112, v87, 0x80000
	v_and_b32_e32 v99, v99, v23
	v_cmp_eq_u32_e64 s16, v99, v112
	v_lshrrev_b32_e32 v112, v87, v23
	v_add_nc_u32_e32 v23, 0xffffff89, v86
	v_lshrrev_b32_e32 v86, 23, v112
	v_cndmask_b32_e64 v23, v23, 0xffffff8a, vcc_lo
	v_xor_b32_e32 v99, 1, v86
	v_bfe_u32 v86, v112, 20, 1
	v_add_nc_u32_e32 v23, v87, v23
	v_add_nc_u32_e32 v86, -1, v86
	v_cndmask_b32_e64 v86, 0, v86, s16
	s_mov_b32 s16, exec_lo
	v_add_nc_u32_e32 v86, v86, v112
	v_and_b32_e32 v86, 0xfffff, v86
	v_add_nc_u32_e32 v112, v86, v112
	v_cmpx_ne_u32_e64 v23, v99
	s_xor_b32 s16, exec_lo, s16
; %bb.12310:                            ;   in Loop: Header=BB6_10551 Depth=3
	v_cmp_lt_u32_e32 vcc_lo, 0xffffff, v112
	v_sub_nc_u32_e32 v23, v23, v99
	v_cndmask_b32_e64 v86, 0, 1, vcc_lo
	v_add_co_ci_u32_e64 v113, null, 0, v23, vcc_lo
	v_lshrrev_b32_e32 v112, v86, v112
; %bb.12311:                            ;   in Loop: Header=BB6_10551 Depth=3
	s_andn2_saveexec_b32 s16, s16
; %bb.12312:                            ;   in Loop: Header=BB6_10551 Depth=3
	v_bfe_u32 v113, v112, 23, 1
; %bb.12313:                            ;   in Loop: Header=BB6_10551 Depth=3
	s_or_b32 exec_lo, exec_lo, s16
	v_lshrrev_b32_e32 v86, 20, v112
	v_min_i32_e32 v87, 15, v113
	v_cmp_gt_i32_e32 vcc_lo, 16, v113
	v_and_b32_sdwa v23, v98, v62 dst_sel:DWORD dst_unused:UNUSED_PAD src0_sel:BYTE_3 src1_sel:DWORD
	v_lshlrev_b32_e32 v87, 3, v87
	v_cndmask_b32_e32 v86, 7, v86, vcc_lo
	v_and_b32_e32 v87, 0xf8, v87
	v_or_b32_e32 v98, v113, v86
	v_and_b32_e32 v86, 7, v86
	v_cmp_ne_u32_e32 vcc_lo, 0, v98
	v_or3_b32 v23, v87, v23, v86
	v_cndmask_b32_e32 v23, 0, v23, vcc_lo
.LBB6_12314:                            ;   in Loop: Header=BB6_10551 Depth=3
	s_or_b32 exec_lo, exec_lo, s23
.LBB6_12315:                            ;   in Loop: Header=BB6_10551 Depth=3
	s_or_b32 exec_lo, exec_lo, s22
	v_cmp_gt_i16_sdwa s22, v12, v61 src0_sel:BYTE_1 src1_sel:DWORD
	s_andn2_b32 vcc_lo, exec_lo, s19
	s_mov_b32 s16, -1
                                        ; implicit-def: $vgpr98
	s_cbranch_vccnz .LBB6_12329
; %bb.12316:                            ;   in Loop: Header=BB6_10551 Depth=3
	s_mov_b32 s16, 0
	s_and_saveexec_b32 s23, s22
	s_xor_b32 s22, exec_lo, s23
	s_cbranch_execz .LBB6_13245
; %bb.12317:                            ;   in Loop: Header=BB6_10551 Depth=3
	v_cmp_eq_u16_sdwa s73, v12, v62 src0_sel:BYTE_1 src1_sel:DWORD
	s_mov_b32 s16, -1
	s_and_saveexec_b32 s23, s73
; %bb.12318:                            ;   in Loop: Header=BB6_10551 Depth=3
	s_xor_b32 s16, exec_lo, -1
; %bb.12319:                            ;   in Loop: Header=BB6_10551 Depth=3
	s_or_b32 exec_lo, exec_lo, s23
	s_and_b32 s16, s16, exec_lo
	s_or_saveexec_b32 s22, s22
	v_mov_b32_e32 v98, 0x7f800001
	s_xor_b32 exec_lo, exec_lo, s22
	s_cbranch_execnz .LBB6_13246
.LBB6_12320:                            ;   in Loop: Header=BB6_10551 Depth=3
	s_or_b32 exec_lo, exec_lo, s22
	s_and_saveexec_b32 s22, s16
	s_cbranch_execz .LBB6_12322
.LBB6_12321:                            ;   in Loop: Header=BB6_10551 Depth=3
	v_and_b32_sdwa v86, v63, v12 dst_sel:DWORD dst_unused:UNUSED_PAD src0_sel:DWORD src1_sel:BYTE_1
	v_and_b32_e32 v87, 7, v86
	v_bfe_u32 v112, v86, 3, 4
	v_ffbh_u32_e32 v98, v87
	v_cmp_eq_u32_e32 vcc_lo, 0, v112
	v_min_u32_e32 v98, 32, v98
	v_subrev_nc_u32_e32 v99, 28, v98
	v_sub_nc_u32_e32 v98, 29, v98
	v_lshlrev_b32_e32 v86, v99, v86
	v_lshlrev_b32_e32 v99, 16, v12
	v_cndmask_b32_e32 v98, v112, v98, vcc_lo
	v_and_b32_e32 v86, 7, v86
	v_lshl_add_u32 v98, v98, 23, 0x3b800000
	v_cndmask_b32_e32 v86, v87, v86, vcc_lo
	v_and_b32_e32 v87, 0x80000000, v99
	v_lshlrev_b32_e32 v86, 20, v86
	v_or3_b32 v98, v87, v98, v86
.LBB6_12322:                            ;   in Loop: Header=BB6_10551 Depth=3
	s_or_b32 exec_lo, exec_lo, s22
	s_waitcnt vmcnt(0)
	v_cmp_gt_i16_sdwa s22, v8, v61 src0_sel:BYTE_1 src1_sel:DWORD
	s_mov_b32 s16, 0
	s_and_saveexec_b32 s23, s22
	s_xor_b32 s22, exec_lo, s23
	s_cbranch_execz .LBB6_13247
; %bb.12323:                            ;   in Loop: Header=BB6_10551 Depth=3
	v_cmp_eq_u16_sdwa s73, v8, v62 src0_sel:BYTE_1 src1_sel:DWORD
	s_mov_b32 s16, -1
	s_and_saveexec_b32 s23, s73
; %bb.12324:                            ;   in Loop: Header=BB6_10551 Depth=3
	s_xor_b32 s16, exec_lo, -1
; %bb.12325:                            ;   in Loop: Header=BB6_10551 Depth=3
	s_or_b32 exec_lo, exec_lo, s23
	s_and_b32 s16, s16, exec_lo
	s_or_saveexec_b32 s22, s22
	v_mov_b32_e32 v86, 0x7f800001
	s_xor_b32 exec_lo, exec_lo, s22
	s_cbranch_execnz .LBB6_13248
.LBB6_12326:                            ;   in Loop: Header=BB6_10551 Depth=3
	s_or_b32 exec_lo, exec_lo, s22
	s_and_saveexec_b32 s22, s16
	s_cbranch_execz .LBB6_12328
.LBB6_12327:                            ;   in Loop: Header=BB6_10551 Depth=3
	v_and_b32_sdwa v86, v63, v8 dst_sel:DWORD dst_unused:UNUSED_PAD src0_sel:DWORD src1_sel:BYTE_1
	v_and_b32_e32 v87, 7, v86
	v_bfe_u32 v113, v86, 3, 4
	v_ffbh_u32_e32 v99, v87
	v_cmp_eq_u32_e32 vcc_lo, 0, v113
	v_min_u32_e32 v99, 32, v99
	v_subrev_nc_u32_e32 v112, 28, v99
	v_sub_nc_u32_e32 v99, 29, v99
	v_lshlrev_b32_e32 v86, v112, v86
	v_lshlrev_b32_e32 v112, 16, v8
	v_cndmask_b32_e32 v99, v113, v99, vcc_lo
	v_and_b32_e32 v86, 7, v86
	v_lshl_add_u32 v99, v99, 23, 0x3b800000
	v_cndmask_b32_e32 v86, v87, v86, vcc_lo
	v_and_b32_e32 v87, 0x80000000, v112
	v_lshlrev_b32_e32 v86, 20, v86
	v_or3_b32 v86, v87, v99, v86
.LBB6_12328:                            ;   in Loop: Header=BB6_10551 Depth=3
	s_or_b32 exec_lo, exec_lo, s22
	v_max_f32_e32 v86, v86, v86
	v_max_f32_e32 v87, v98, v98
	s_mov_b32 s16, 0
	v_max_f32_e32 v98, v87, v86
.LBB6_12329:                            ;   in Loop: Header=BB6_10551 Depth=3
	s_and_b32 vcc_lo, exec_lo, s16
	s_cbranch_vccz .LBB6_12343
; %bb.12330:                            ;   in Loop: Header=BB6_10551 Depth=3
	v_cmp_gt_i16_sdwa s22, v12, v61 src0_sel:BYTE_1 src1_sel:DWORD
	s_mov_b32 s16, 0
	s_and_saveexec_b32 s23, s22
	s_xor_b32 s22, exec_lo, s23
	s_cbranch_execz .LBB6_13249
; %bb.12331:                            ;   in Loop: Header=BB6_10551 Depth=3
	v_cmp_eq_u16_sdwa s73, v12, v62 src0_sel:BYTE_1 src1_sel:DWORD
	s_mov_b32 s16, -1
	s_and_saveexec_b32 s23, s73
; %bb.12332:                            ;   in Loop: Header=BB6_10551 Depth=3
	s_xor_b32 s16, exec_lo, -1
; %bb.12333:                            ;   in Loop: Header=BB6_10551 Depth=3
	s_or_b32 exec_lo, exec_lo, s23
	s_and_b32 s16, s16, exec_lo
	s_or_saveexec_b32 s22, s22
	v_mov_b32_e32 v98, 0x7f800001
	s_xor_b32 exec_lo, exec_lo, s22
	s_cbranch_execnz .LBB6_13250
.LBB6_12334:                            ;   in Loop: Header=BB6_10551 Depth=3
	s_or_b32 exec_lo, exec_lo, s22
	s_and_saveexec_b32 s22, s16
	s_cbranch_execz .LBB6_12336
.LBB6_12335:                            ;   in Loop: Header=BB6_10551 Depth=3
	v_and_b32_sdwa v86, v63, v12 dst_sel:DWORD dst_unused:UNUSED_PAD src0_sel:DWORD src1_sel:BYTE_1
	v_and_b32_e32 v87, 7, v86
	v_bfe_u32 v112, v86, 3, 4
	v_ffbh_u32_e32 v98, v87
	v_cmp_eq_u32_e32 vcc_lo, 0, v112
	v_min_u32_e32 v98, 32, v98
	v_subrev_nc_u32_e32 v99, 28, v98
	v_sub_nc_u32_e32 v98, 29, v98
	v_lshlrev_b32_e32 v86, v99, v86
	v_lshlrev_b32_e32 v99, 16, v12
	v_cndmask_b32_e32 v98, v112, v98, vcc_lo
	v_and_b32_e32 v86, 7, v86
	v_lshl_add_u32 v98, v98, 23, 0x3b800000
	v_cndmask_b32_e32 v86, v87, v86, vcc_lo
	v_and_b32_e32 v87, 0x80000000, v99
	v_lshlrev_b32_e32 v86, 20, v86
	v_or3_b32 v98, v87, v98, v86
.LBB6_12336:                            ;   in Loop: Header=BB6_10551 Depth=3
	s_or_b32 exec_lo, exec_lo, s22
	s_waitcnt vmcnt(0)
	v_cmp_gt_i16_sdwa s22, v8, v61 src0_sel:BYTE_1 src1_sel:DWORD
	s_mov_b32 s16, 0
	s_and_saveexec_b32 s23, s22
	s_xor_b32 s22, exec_lo, s23
	s_cbranch_execz .LBB6_13251
; %bb.12337:                            ;   in Loop: Header=BB6_10551 Depth=3
	v_cmp_eq_u16_sdwa s73, v8, v62 src0_sel:BYTE_1 src1_sel:DWORD
	s_mov_b32 s16, -1
	s_and_saveexec_b32 s23, s73
; %bb.12338:                            ;   in Loop: Header=BB6_10551 Depth=3
	s_xor_b32 s16, exec_lo, -1
; %bb.12339:                            ;   in Loop: Header=BB6_10551 Depth=3
	s_or_b32 exec_lo, exec_lo, s23
	s_and_b32 s16, s16, exec_lo
	s_or_saveexec_b32 s22, s22
	v_mov_b32_e32 v86, 0x7f800001
	s_xor_b32 exec_lo, exec_lo, s22
	s_cbranch_execnz .LBB6_13252
.LBB6_12340:                            ;   in Loop: Header=BB6_10551 Depth=3
	s_or_b32 exec_lo, exec_lo, s22
	s_and_saveexec_b32 s22, s16
	s_cbranch_execz .LBB6_12342
.LBB6_12341:                            ;   in Loop: Header=BB6_10551 Depth=3
	v_and_b32_sdwa v86, v63, v8 dst_sel:DWORD dst_unused:UNUSED_PAD src0_sel:DWORD src1_sel:BYTE_1
	v_and_b32_e32 v87, 7, v86
	v_bfe_u32 v113, v86, 3, 4
	v_ffbh_u32_e32 v99, v87
	v_cmp_eq_u32_e32 vcc_lo, 0, v113
	v_min_u32_e32 v99, 32, v99
	v_subrev_nc_u32_e32 v112, 28, v99
	v_sub_nc_u32_e32 v99, 29, v99
	v_lshlrev_b32_e32 v86, v112, v86
	v_lshlrev_b32_e32 v112, 16, v8
	v_cndmask_b32_e32 v99, v113, v99, vcc_lo
	v_and_b32_e32 v86, 7, v86
	v_lshl_add_u32 v99, v99, 23, 0x3b800000
	v_cndmask_b32_e32 v86, v87, v86, vcc_lo
	v_and_b32_e32 v87, 0x80000000, v112
	v_lshlrev_b32_e32 v86, 20, v86
	v_or3_b32 v86, v87, v99, v86
.LBB6_12342:                            ;   in Loop: Header=BB6_10551 Depth=3
	s_or_b32 exec_lo, exec_lo, s22
	v_max_f32_e32 v86, v86, v86
	v_max_f32_e32 v87, v98, v98
	v_min_f32_e32 v98, v87, v86
.LBB6_12343:                            ;   in Loop: Header=BB6_10551 Depth=3
	v_and_b32_e32 v86, 0x7f800000, v98
	v_mov_b32_e32 v107, 0x8000
	s_mov_b32 s22, exec_lo
	v_cmpx_ne_u32_e32 0x7f800000, v86
	s_cbranch_execz .LBB6_12351
; %bb.12344:                            ;   in Loop: Header=BB6_10551 Depth=3
	v_mov_b32_e32 v107, 0
	s_mov_b32 s23, exec_lo
	v_cmpx_ne_u32_e32 0, v98
	s_cbranch_execz .LBB6_12350
; %bb.12345:                            ;   in Loop: Header=BB6_10551 Depth=3
	v_bfe_u32 v87, v98, 23, 8
	v_and_b32_e32 v86, 0x7fffff, v98
                                        ; implicit-def: $vgpr46
	v_cmp_gt_u32_e64 s16, 0x79, v87
	v_sub_nc_u32_e32 v99, 0x78, v87
	v_cmp_eq_u32_e32 vcc_lo, 0, v87
	v_or_b32_e32 v112, 0x800000, v86
	v_add_nc_u32_e32 v87, 0xffffff89, v87
	v_cndmask_b32_e64 v99, 0, v99, s16
	v_cndmask_b32_e32 v86, v112, v86, vcc_lo
	v_cndmask_b32_e64 v87, v87, 0xffffff8a, vcc_lo
	v_cndmask_b32_e64 v99, v99, 0x77, vcc_lo
	v_lshl_add_u32 v112, 0x100000, v99, -1
	v_lshlrev_b32_e64 v113, v99, 0x80000
	v_and_b32_e32 v112, v112, v86
	v_lshrrev_b32_e32 v86, v99, v86
	v_add_nc_u32_e32 v99, v99, v87
	v_cmp_eq_u32_e64 s16, v112, v113
	v_lshrrev_b32_e32 v87, 23, v86
	v_xor_b32_e32 v112, 1, v87
	v_bfe_u32 v87, v86, 20, 1
	v_add_nc_u32_e32 v87, -1, v87
	v_cndmask_b32_e64 v87, 0, v87, s16
	s_mov_b32 s16, exec_lo
	v_add_nc_u32_e32 v87, v87, v86
	v_and_b32_e32 v87, 0xfffff, v87
	v_add_nc_u32_e32 v113, v87, v86
	v_cmpx_ne_u32_e64 v99, v112
	s_xor_b32 s16, exec_lo, s16
; %bb.12346:                            ;   in Loop: Header=BB6_10551 Depth=3
	v_cmp_lt_u32_e32 vcc_lo, 0xffffff, v113
	v_sub_nc_u32_e32 v86, v99, v112
	v_cndmask_b32_e64 v87, 0, 1, vcc_lo
	v_add_co_ci_u32_e64 v46, null, 0, v86, vcc_lo
	v_lshrrev_b32_e32 v113, v87, v113
; %bb.12347:                            ;   in Loop: Header=BB6_10551 Depth=3
	s_andn2_saveexec_b32 s16, s16
; %bb.12348:                            ;   in Loop: Header=BB6_10551 Depth=3
	v_bfe_u32 v46, v113, 23, 1
; %bb.12349:                            ;   in Loop: Header=BB6_10551 Depth=3
	s_or_b32 exec_lo, exec_lo, s16
	v_and_b32_sdwa v86, v98, v62 dst_sel:DWORD dst_unused:UNUSED_PAD src0_sel:BYTE_3 src1_sel:DWORD
	v_lshrrev_b32_e32 v87, 20, v113
	v_min_i32_e32 v98, 15, v46
	v_cmp_gt_i32_e32 vcc_lo, 16, v46
	v_lshlrev_b32_e32 v98, 3, v98
	v_cndmask_b32_e32 v87, 7, v87, vcc_lo
	v_and_b32_e32 v98, 0xf8, v98
	v_or_b32_e32 v99, v46, v87
	v_and_b32_e32 v87, 7, v87
	v_cmp_ne_u32_e32 vcc_lo, 0, v99
	v_or3_b32 v86, v86, v98, v87
	v_lshlrev_b32_e32 v86, 8, v86
	v_cndmask_b32_e32 v107, 0, v86, vcc_lo
.LBB6_12350:                            ;   in Loop: Header=BB6_10551 Depth=3
	s_or_b32 exec_lo, exec_lo, s23
.LBB6_12351:                            ;   in Loop: Header=BB6_10551 Depth=3
	s_or_b32 exec_lo, exec_lo, s22
	v_and_b32_sdwa v98, v12, v72 dst_sel:DWORD dst_unused:UNUSED_PAD src0_sel:WORD_1 src1_sel:DWORD
	s_andn2_b32 vcc_lo, exec_lo, s19
	s_mov_b32 s22, -1
                                        ; implicit-def: $vgpr99
	v_cmp_lt_i16_e64 s16, 0x7f, v98
	s_cbranch_vccnz .LBB6_12365
; %bb.12352:                            ;   in Loop: Header=BB6_10551 Depth=3
	s_mov_b32 s22, 0
	s_and_saveexec_b32 s23, s16
	s_xor_b32 s16, exec_lo, s23
	s_cbranch_execz .LBB6_13253
; %bb.12353:                            ;   in Loop: Header=BB6_10551 Depth=3
	s_mov_b32 s22, -1
	s_mov_b32 s23, exec_lo
	v_cmpx_eq_u16_e32 0x80, v98
; %bb.12354:                            ;   in Loop: Header=BB6_10551 Depth=3
	s_xor_b32 s22, exec_lo, -1
; %bb.12355:                            ;   in Loop: Header=BB6_10551 Depth=3
	s_or_b32 exec_lo, exec_lo, s23
	s_and_b32 s22, s22, exec_lo
	s_or_saveexec_b32 s16, s16
	v_mov_b32_e32 v99, 0x7f800001
	s_xor_b32 exec_lo, exec_lo, s16
	s_cbranch_execnz .LBB6_13254
.LBB6_12356:                            ;   in Loop: Header=BB6_10551 Depth=3
	s_or_b32 exec_lo, exec_lo, s16
	s_and_saveexec_b32 s16, s22
	s_cbranch_execz .LBB6_12358
.LBB6_12357:                            ;   in Loop: Header=BB6_10551 Depth=3
	v_bfe_u32 v86, v12, 16, 3
	v_bfe_u32 v87, v12, 19, 4
	v_ffbh_u32_e32 v99, v86
	v_cmp_eq_u32_e32 vcc_lo, 0, v87
	v_min_u32_e32 v99, 32, v99
	v_subrev_nc_u32_e32 v112, 28, v99
	v_sub_nc_u32_e32 v99, 29, v99
	v_lshlrev_b32_sdwa v112, v112, v12 dst_sel:DWORD dst_unused:UNUSED_PAD src0_sel:DWORD src1_sel:WORD_1
	v_cndmask_b32_e32 v87, v87, v99, vcc_lo
	v_lshlrev_b32_sdwa v99, v73, v12 dst_sel:DWORD dst_unused:UNUSED_PAD src0_sel:DWORD src1_sel:WORD_1
	v_and_b32_e32 v112, 7, v112
	v_lshl_add_u32 v87, v87, 23, 0x3b800000
	v_and_b32_e32 v99, 0x80000000, v99
	v_cndmask_b32_e32 v86, v86, v112, vcc_lo
	v_lshlrev_b32_e32 v86, 20, v86
	v_or3_b32 v99, v99, v87, v86
.LBB6_12358:                            ;   in Loop: Header=BB6_10551 Depth=3
	s_or_b32 exec_lo, exec_lo, s16
	s_waitcnt vmcnt(0)
	v_and_b32_sdwa v87, v8, v72 dst_sel:DWORD dst_unused:UNUSED_PAD src0_sel:WORD_1 src1_sel:DWORD
	s_mov_b32 s22, 0
	s_mov_b32 s16, exec_lo
	v_cmpx_lt_i16_e32 0x7f, v87
	s_xor_b32 s16, exec_lo, s16
	s_cbranch_execz .LBB6_13255
; %bb.12359:                            ;   in Loop: Header=BB6_10551 Depth=3
	s_mov_b32 s22, -1
	s_mov_b32 s23, exec_lo
	v_cmpx_eq_u16_e32 0x80, v87
; %bb.12360:                            ;   in Loop: Header=BB6_10551 Depth=3
	s_xor_b32 s22, exec_lo, -1
; %bb.12361:                            ;   in Loop: Header=BB6_10551 Depth=3
	s_or_b32 exec_lo, exec_lo, s23
	s_and_b32 s22, s22, exec_lo
                                        ; implicit-def: $vgpr87
	s_or_saveexec_b32 s16, s16
	v_mov_b32_e32 v86, 0x7f800001
	s_xor_b32 exec_lo, exec_lo, s16
	s_cbranch_execnz .LBB6_13256
.LBB6_12362:                            ;   in Loop: Header=BB6_10551 Depth=3
	s_or_b32 exec_lo, exec_lo, s16
	s_and_saveexec_b32 s16, s22
	s_cbranch_execz .LBB6_12364
.LBB6_12363:                            ;   in Loop: Header=BB6_10551 Depth=3
	v_bfe_u32 v86, v8, 16, 3
	v_bfe_u32 v87, v8, 19, 4
	v_ffbh_u32_e32 v112, v86
	v_cmp_eq_u32_e32 vcc_lo, 0, v87
	v_min_u32_e32 v112, 32, v112
	v_subrev_nc_u32_e32 v113, 28, v112
	v_sub_nc_u32_e32 v112, 29, v112
	v_lshlrev_b32_sdwa v113, v113, v8 dst_sel:DWORD dst_unused:UNUSED_PAD src0_sel:DWORD src1_sel:WORD_1
	v_cndmask_b32_e32 v87, v87, v112, vcc_lo
	v_lshlrev_b32_sdwa v112, v73, v8 dst_sel:DWORD dst_unused:UNUSED_PAD src0_sel:DWORD src1_sel:WORD_1
	v_and_b32_e32 v113, 7, v113
	v_lshl_add_u32 v87, v87, 23, 0x3b800000
	v_and_b32_e32 v112, 0x80000000, v112
	v_cndmask_b32_e32 v86, v86, v113, vcc_lo
	v_lshlrev_b32_e32 v86, 20, v86
	v_or3_b32 v86, v112, v87, v86
.LBB6_12364:                            ;   in Loop: Header=BB6_10551 Depth=3
	s_or_b32 exec_lo, exec_lo, s16
	v_max_f32_e32 v86, v86, v86
	v_max_f32_e32 v87, v99, v99
	s_mov_b32 s22, 0
	v_max_f32_e32 v99, v87, v86
.LBB6_12365:                            ;   in Loop: Header=BB6_10551 Depth=3
	s_and_b32 vcc_lo, exec_lo, s22
	s_cbranch_vccz .LBB6_12379
; %bb.12366:                            ;   in Loop: Header=BB6_10551 Depth=3
	s_mov_b32 s22, 0
	s_mov_b32 s16, exec_lo
	v_cmpx_lt_i16_e32 0x7f, v98
	s_xor_b32 s16, exec_lo, s16
	s_cbranch_execz .LBB6_13257
; %bb.12367:                            ;   in Loop: Header=BB6_10551 Depth=3
	s_mov_b32 s22, -1
	s_mov_b32 s23, exec_lo
	v_cmpx_eq_u16_e32 0x80, v98
; %bb.12368:                            ;   in Loop: Header=BB6_10551 Depth=3
	s_xor_b32 s22, exec_lo, -1
; %bb.12369:                            ;   in Loop: Header=BB6_10551 Depth=3
	s_or_b32 exec_lo, exec_lo, s23
	s_and_b32 s22, s22, exec_lo
                                        ; implicit-def: $vgpr98
	s_or_saveexec_b32 s16, s16
	v_mov_b32_e32 v99, 0x7f800001
	s_xor_b32 exec_lo, exec_lo, s16
	s_cbranch_execnz .LBB6_13258
.LBB6_12370:                            ;   in Loop: Header=BB6_10551 Depth=3
	s_or_b32 exec_lo, exec_lo, s16
	s_and_saveexec_b32 s16, s22
	s_cbranch_execz .LBB6_12372
.LBB6_12371:                            ;   in Loop: Header=BB6_10551 Depth=3
	v_bfe_u32 v86, v12, 16, 3
	v_bfe_u32 v87, v12, 19, 4
	v_ffbh_u32_e32 v98, v86
	v_cmp_eq_u32_e32 vcc_lo, 0, v87
	v_min_u32_e32 v98, 32, v98
	v_subrev_nc_u32_e32 v99, 28, v98
	v_sub_nc_u32_e32 v98, 29, v98
	v_lshlrev_b32_sdwa v99, v99, v12 dst_sel:DWORD dst_unused:UNUSED_PAD src0_sel:DWORD src1_sel:WORD_1
	v_cndmask_b32_e32 v87, v87, v98, vcc_lo
	v_lshlrev_b32_sdwa v98, v73, v12 dst_sel:DWORD dst_unused:UNUSED_PAD src0_sel:DWORD src1_sel:WORD_1
	v_and_b32_e32 v99, 7, v99
	v_lshl_add_u32 v87, v87, 23, 0x3b800000
	v_and_b32_e32 v98, 0x80000000, v98
	v_cndmask_b32_e32 v86, v86, v99, vcc_lo
	v_lshlrev_b32_e32 v86, 20, v86
	v_or3_b32 v99, v98, v87, v86
.LBB6_12372:                            ;   in Loop: Header=BB6_10551 Depth=3
	s_or_b32 exec_lo, exec_lo, s16
	s_waitcnt vmcnt(0)
	v_and_b32_sdwa v87, v8, v72 dst_sel:DWORD dst_unused:UNUSED_PAD src0_sel:WORD_1 src1_sel:DWORD
	s_mov_b32 s22, 0
	s_mov_b32 s16, exec_lo
	v_cmpx_lt_i16_e32 0x7f, v87
	s_xor_b32 s16, exec_lo, s16
	s_cbranch_execz .LBB6_13259
; %bb.12373:                            ;   in Loop: Header=BB6_10551 Depth=3
	s_mov_b32 s22, -1
	s_mov_b32 s23, exec_lo
	v_cmpx_eq_u16_e32 0x80, v87
; %bb.12374:                            ;   in Loop: Header=BB6_10551 Depth=3
	s_xor_b32 s22, exec_lo, -1
; %bb.12375:                            ;   in Loop: Header=BB6_10551 Depth=3
	s_or_b32 exec_lo, exec_lo, s23
	s_and_b32 s22, s22, exec_lo
                                        ; implicit-def: $vgpr87
	s_or_saveexec_b32 s16, s16
	v_mov_b32_e32 v86, 0x7f800001
	s_xor_b32 exec_lo, exec_lo, s16
	s_cbranch_execnz .LBB6_13260
.LBB6_12376:                            ;   in Loop: Header=BB6_10551 Depth=3
	s_or_b32 exec_lo, exec_lo, s16
	s_and_saveexec_b32 s16, s22
	s_cbranch_execz .LBB6_12378
.LBB6_12377:                            ;   in Loop: Header=BB6_10551 Depth=3
	v_bfe_u32 v86, v8, 16, 3
	v_bfe_u32 v87, v8, 19, 4
	v_ffbh_u32_e32 v98, v86
	v_cmp_eq_u32_e32 vcc_lo, 0, v87
	v_min_u32_e32 v98, 32, v98
	v_subrev_nc_u32_e32 v112, 28, v98
	v_sub_nc_u32_e32 v98, 29, v98
	v_lshlrev_b32_sdwa v112, v112, v8 dst_sel:DWORD dst_unused:UNUSED_PAD src0_sel:DWORD src1_sel:WORD_1
	v_cndmask_b32_e32 v87, v87, v98, vcc_lo
	v_lshlrev_b32_sdwa v98, v73, v8 dst_sel:DWORD dst_unused:UNUSED_PAD src0_sel:DWORD src1_sel:WORD_1
	v_and_b32_e32 v112, 7, v112
	v_lshl_add_u32 v87, v87, 23, 0x3b800000
	v_and_b32_e32 v98, 0x80000000, v98
	v_cndmask_b32_e32 v86, v86, v112, vcc_lo
	v_lshlrev_b32_e32 v86, 20, v86
	v_or3_b32 v86, v98, v87, v86
.LBB6_12378:                            ;   in Loop: Header=BB6_10551 Depth=3
	s_or_b32 exec_lo, exec_lo, s16
	v_max_f32_e32 v86, v86, v86
	v_max_f32_e32 v87, v99, v99
	v_min_f32_e32 v99, v87, v86
.LBB6_12379:                            ;   in Loop: Header=BB6_10551 Depth=3
	v_and_b32_e32 v86, 0x7f800000, v99
	v_mov_b32_e32 v108, 0x80
	s_mov_b32 s22, exec_lo
	v_cmpx_ne_u32_e32 0x7f800000, v86
	s_cbranch_execz .LBB6_12387
; %bb.12380:                            ;   in Loop: Header=BB6_10551 Depth=3
	v_mov_b32_e32 v108, 0
	s_mov_b32 s23, exec_lo
	v_cmpx_ne_u32_e32 0, v99
	s_cbranch_execz .LBB6_12386
; %bb.12381:                            ;   in Loop: Header=BB6_10551 Depth=3
	v_bfe_u32 v87, v99, 23, 8
	v_and_b32_e32 v86, 0x7fffff, v99
                                        ; implicit-def: $vgpr46
	v_cmp_gt_u32_e64 s16, 0x79, v87
	v_sub_nc_u32_e32 v98, 0x78, v87
	v_cmp_eq_u32_e32 vcc_lo, 0, v87
	v_or_b32_e32 v112, 0x800000, v86
	v_add_nc_u32_e32 v87, 0xffffff89, v87
	v_cndmask_b32_e64 v98, 0, v98, s16
	v_cndmask_b32_e32 v86, v112, v86, vcc_lo
	v_cndmask_b32_e64 v87, v87, 0xffffff8a, vcc_lo
	v_cndmask_b32_e64 v98, v98, 0x77, vcc_lo
	v_lshl_add_u32 v112, 0x100000, v98, -1
	v_lshlrev_b32_e64 v113, v98, 0x80000
	v_and_b32_e32 v112, v112, v86
	v_lshrrev_b32_e32 v86, v98, v86
	v_add_nc_u32_e32 v98, v98, v87
	v_cmp_eq_u32_e64 s16, v112, v113
	v_lshrrev_b32_e32 v87, 23, v86
	v_xor_b32_e32 v112, 1, v87
	v_bfe_u32 v87, v86, 20, 1
	v_add_nc_u32_e32 v87, -1, v87
	v_cndmask_b32_e64 v87, 0, v87, s16
	s_mov_b32 s16, exec_lo
	v_add_nc_u32_e32 v87, v87, v86
	v_and_b32_e32 v87, 0xfffff, v87
	v_add_nc_u32_e32 v113, v87, v86
	v_cmpx_ne_u32_e64 v98, v112
	s_xor_b32 s16, exec_lo, s16
; %bb.12382:                            ;   in Loop: Header=BB6_10551 Depth=3
	v_cmp_lt_u32_e32 vcc_lo, 0xffffff, v113
	v_sub_nc_u32_e32 v86, v98, v112
	v_cndmask_b32_e64 v87, 0, 1, vcc_lo
	v_add_co_ci_u32_e64 v46, null, 0, v86, vcc_lo
	v_lshrrev_b32_e32 v113, v87, v113
; %bb.12383:                            ;   in Loop: Header=BB6_10551 Depth=3
	s_andn2_saveexec_b32 s16, s16
; %bb.12384:                            ;   in Loop: Header=BB6_10551 Depth=3
	v_bfe_u32 v46, v113, 23, 1
; %bb.12385:                            ;   in Loop: Header=BB6_10551 Depth=3
	s_or_b32 exec_lo, exec_lo, s16
	v_lshrrev_b32_e32 v87, 20, v113
	v_min_i32_e32 v98, 15, v46
	v_cmp_gt_i32_e32 vcc_lo, 16, v46
	v_and_b32_sdwa v86, v99, v62 dst_sel:DWORD dst_unused:UNUSED_PAD src0_sel:BYTE_3 src1_sel:DWORD
	v_lshlrev_b32_e32 v98, 3, v98
	v_cndmask_b32_e32 v87, 7, v87, vcc_lo
	v_and_b32_e32 v98, 0xf8, v98
	v_or_b32_e32 v99, v46, v87
	v_and_b32_e32 v87, 7, v87
	v_cmp_ne_u32_e32 vcc_lo, 0, v99
	v_or3_b32 v86, v98, v86, v87
	v_cndmask_b32_e32 v108, 0, v86, vcc_lo
.LBB6_12386:                            ;   in Loop: Header=BB6_10551 Depth=3
	s_or_b32 exec_lo, exec_lo, s23
.LBB6_12387:                            ;   in Loop: Header=BB6_10551 Depth=3
	s_or_b32 exec_lo, exec_lo, s22
	v_cmp_gt_i16_sdwa s22, v12, v61 src0_sel:BYTE_3 src1_sel:DWORD
	s_andn2_b32 vcc_lo, exec_lo, s19
	s_mov_b32 s16, -1
                                        ; implicit-def: $vgpr98
	s_cbranch_vccnz .LBB6_12401
; %bb.12388:                            ;   in Loop: Header=BB6_10551 Depth=3
	s_mov_b32 s16, 0
	s_and_saveexec_b32 s23, s22
	s_xor_b32 s22, exec_lo, s23
	s_cbranch_execz .LBB6_13261
; %bb.12389:                            ;   in Loop: Header=BB6_10551 Depth=3
	v_cmp_eq_u16_sdwa s73, v12, v62 src0_sel:BYTE_3 src1_sel:DWORD
	s_mov_b32 s16, -1
	s_and_saveexec_b32 s23, s73
; %bb.12390:                            ;   in Loop: Header=BB6_10551 Depth=3
	s_xor_b32 s16, exec_lo, -1
; %bb.12391:                            ;   in Loop: Header=BB6_10551 Depth=3
	s_or_b32 exec_lo, exec_lo, s23
	s_and_b32 s16, s16, exec_lo
	s_or_saveexec_b32 s22, s22
	v_mov_b32_e32 v98, 0x7f800001
	s_xor_b32 exec_lo, exec_lo, s22
	s_cbranch_execnz .LBB6_13262
.LBB6_12392:                            ;   in Loop: Header=BB6_10551 Depth=3
	s_or_b32 exec_lo, exec_lo, s22
	s_and_saveexec_b32 s22, s16
	s_cbranch_execz .LBB6_12394
.LBB6_12393:                            ;   in Loop: Header=BB6_10551 Depth=3
	v_bfe_u32 v86, v12, 24, 3
	v_bfe_u32 v99, v12, 27, 4
	v_ffbh_u32_e32 v87, v86
	v_cmp_eq_u32_e32 vcc_lo, 0, v99
	v_min_u32_e32 v87, 32, v87
	v_subrev_nc_u32_e32 v98, 28, v87
	v_sub_nc_u32_e32 v87, 29, v87
	v_lshlrev_b32_sdwa v98, v98, v12 dst_sel:DWORD dst_unused:UNUSED_PAD src0_sel:DWORD src1_sel:BYTE_3
	v_cndmask_b32_e32 v87, v99, v87, vcc_lo
	v_and_b32_e32 v98, 7, v98
	v_lshl_add_u32 v87, v87, 23, 0x3b800000
	v_cndmask_b32_e32 v86, v86, v98, vcc_lo
	v_and_b32_e32 v98, 0x80000000, v12
	v_lshlrev_b32_e32 v86, 20, v86
	v_or3_b32 v98, v98, v87, v86
.LBB6_12394:                            ;   in Loop: Header=BB6_10551 Depth=3
	s_or_b32 exec_lo, exec_lo, s22
	s_waitcnt vmcnt(0)
	v_cmp_gt_i16_sdwa s22, v8, v61 src0_sel:BYTE_3 src1_sel:DWORD
	s_mov_b32 s16, 0
	s_and_saveexec_b32 s23, s22
	s_xor_b32 s22, exec_lo, s23
	s_cbranch_execz .LBB6_13263
; %bb.12395:                            ;   in Loop: Header=BB6_10551 Depth=3
	v_cmp_eq_u16_sdwa s73, v8, v62 src0_sel:BYTE_3 src1_sel:DWORD
	s_mov_b32 s16, -1
	s_and_saveexec_b32 s23, s73
; %bb.12396:                            ;   in Loop: Header=BB6_10551 Depth=3
	s_xor_b32 s16, exec_lo, -1
; %bb.12397:                            ;   in Loop: Header=BB6_10551 Depth=3
	s_or_b32 exec_lo, exec_lo, s23
	s_and_b32 s16, s16, exec_lo
	s_or_saveexec_b32 s22, s22
	v_mov_b32_e32 v86, 0x7f800001
	s_xor_b32 exec_lo, exec_lo, s22
	s_cbranch_execnz .LBB6_13264
.LBB6_12398:                            ;   in Loop: Header=BB6_10551 Depth=3
	s_or_b32 exec_lo, exec_lo, s22
	s_and_saveexec_b32 s22, s16
	s_cbranch_execz .LBB6_12400
.LBB6_12399:                            ;   in Loop: Header=BB6_10551 Depth=3
	v_bfe_u32 v86, v8, 24, 3
	v_bfe_u32 v112, v8, 27, 4
	v_ffbh_u32_e32 v87, v86
	v_cmp_eq_u32_e32 vcc_lo, 0, v112
	v_min_u32_e32 v87, 32, v87
	v_subrev_nc_u32_e32 v99, 28, v87
	v_sub_nc_u32_e32 v87, 29, v87
	v_lshlrev_b32_sdwa v99, v99, v8 dst_sel:DWORD dst_unused:UNUSED_PAD src0_sel:DWORD src1_sel:BYTE_3
	v_cndmask_b32_e32 v87, v112, v87, vcc_lo
	v_and_b32_e32 v99, 7, v99
	v_lshl_add_u32 v87, v87, 23, 0x3b800000
	v_cndmask_b32_e32 v86, v86, v99, vcc_lo
	v_and_b32_e32 v99, 0x80000000, v8
	v_lshlrev_b32_e32 v86, 20, v86
	v_or3_b32 v86, v99, v87, v86
.LBB6_12400:                            ;   in Loop: Header=BB6_10551 Depth=3
	s_or_b32 exec_lo, exec_lo, s22
	v_max_f32_e32 v86, v86, v86
	v_max_f32_e32 v87, v98, v98
	s_mov_b32 s16, 0
	v_max_f32_e32 v98, v87, v86
.LBB6_12401:                            ;   in Loop: Header=BB6_10551 Depth=3
	s_and_b32 vcc_lo, exec_lo, s16
	s_cbranch_vccz .LBB6_12415
; %bb.12402:                            ;   in Loop: Header=BB6_10551 Depth=3
	v_cmp_gt_i16_sdwa s22, v12, v61 src0_sel:BYTE_3 src1_sel:DWORD
	s_mov_b32 s16, 0
	s_and_saveexec_b32 s23, s22
	s_xor_b32 s22, exec_lo, s23
	s_cbranch_execz .LBB6_13265
; %bb.12403:                            ;   in Loop: Header=BB6_10551 Depth=3
	v_cmp_eq_u16_sdwa s73, v12, v62 src0_sel:BYTE_3 src1_sel:DWORD
	s_mov_b32 s16, -1
	s_and_saveexec_b32 s23, s73
; %bb.12404:                            ;   in Loop: Header=BB6_10551 Depth=3
	s_xor_b32 s16, exec_lo, -1
; %bb.12405:                            ;   in Loop: Header=BB6_10551 Depth=3
	s_or_b32 exec_lo, exec_lo, s23
	s_and_b32 s16, s16, exec_lo
	s_or_saveexec_b32 s22, s22
	v_mov_b32_e32 v98, 0x7f800001
	s_xor_b32 exec_lo, exec_lo, s22
	s_cbranch_execnz .LBB6_13266
.LBB6_12406:                            ;   in Loop: Header=BB6_10551 Depth=3
	s_or_b32 exec_lo, exec_lo, s22
	s_and_saveexec_b32 s22, s16
	s_cbranch_execz .LBB6_12408
.LBB6_12407:                            ;   in Loop: Header=BB6_10551 Depth=3
	v_bfe_u32 v86, v12, 24, 3
	v_bfe_u32 v99, v12, 27, 4
	v_ffbh_u32_e32 v87, v86
	v_cmp_eq_u32_e32 vcc_lo, 0, v99
	v_min_u32_e32 v87, 32, v87
	v_subrev_nc_u32_e32 v98, 28, v87
	v_sub_nc_u32_e32 v87, 29, v87
	v_lshlrev_b32_sdwa v98, v98, v12 dst_sel:DWORD dst_unused:UNUSED_PAD src0_sel:DWORD src1_sel:BYTE_3
	v_cndmask_b32_e32 v87, v99, v87, vcc_lo
	v_and_b32_e32 v12, 0x80000000, v12
	v_and_b32_e32 v98, 7, v98
	v_lshl_add_u32 v87, v87, 23, 0x3b800000
	v_cndmask_b32_e32 v86, v86, v98, vcc_lo
	v_lshlrev_b32_e32 v86, 20, v86
	v_or3_b32 v98, v12, v87, v86
.LBB6_12408:                            ;   in Loop: Header=BB6_10551 Depth=3
	s_or_b32 exec_lo, exec_lo, s22
	s_waitcnt vmcnt(0)
	v_cmp_gt_i16_sdwa s22, v8, v61 src0_sel:BYTE_3 src1_sel:DWORD
	s_mov_b32 s16, 0
	s_and_saveexec_b32 s23, s22
	s_xor_b32 s22, exec_lo, s23
	s_cbranch_execz .LBB6_13267
; %bb.12409:                            ;   in Loop: Header=BB6_10551 Depth=3
	v_cmp_eq_u16_sdwa s73, v8, v62 src0_sel:BYTE_3 src1_sel:DWORD
	s_mov_b32 s16, -1
	s_and_saveexec_b32 s23, s73
; %bb.12410:                            ;   in Loop: Header=BB6_10551 Depth=3
	s_xor_b32 s16, exec_lo, -1
; %bb.12411:                            ;   in Loop: Header=BB6_10551 Depth=3
	s_or_b32 exec_lo, exec_lo, s23
	s_and_b32 s16, s16, exec_lo
	s_or_saveexec_b32 s22, s22
	v_mov_b32_e32 v12, 0x7f800001
	s_xor_b32 exec_lo, exec_lo, s22
	s_cbranch_execnz .LBB6_13268
.LBB6_12412:                            ;   in Loop: Header=BB6_10551 Depth=3
	s_or_b32 exec_lo, exec_lo, s22
	s_and_saveexec_b32 s22, s16
	s_cbranch_execz .LBB6_12414
.LBB6_12413:                            ;   in Loop: Header=BB6_10551 Depth=3
	v_bfe_u32 v12, v8, 24, 3
	v_bfe_u32 v99, v8, 27, 4
	v_ffbh_u32_e32 v86, v12
	v_cmp_eq_u32_e32 vcc_lo, 0, v99
	v_min_u32_e32 v86, 32, v86
	v_subrev_nc_u32_e32 v87, 28, v86
	v_sub_nc_u32_e32 v86, 29, v86
	v_lshlrev_b32_sdwa v87, v87, v8 dst_sel:DWORD dst_unused:UNUSED_PAD src0_sel:DWORD src1_sel:BYTE_3
	v_cndmask_b32_e32 v86, v99, v86, vcc_lo
	v_and_b32_e32 v8, 0x80000000, v8
	v_and_b32_e32 v87, 7, v87
	v_lshl_add_u32 v86, v86, 23, 0x3b800000
	v_cndmask_b32_e32 v12, v12, v87, vcc_lo
	v_lshlrev_b32_e32 v12, 20, v12
	v_or3_b32 v12, v8, v86, v12
.LBB6_12414:                            ;   in Loop: Header=BB6_10551 Depth=3
	s_or_b32 exec_lo, exec_lo, s22
	v_max_f32_e32 v8, v12, v12
	v_max_f32_e32 v12, v98, v98
	v_min_f32_e32 v98, v12, v8
.LBB6_12415:                            ;   in Loop: Header=BB6_10551 Depth=3
	s_waitcnt vmcnt(0)
	v_and_b32_e32 v8, 0x7f800000, v98
	v_cmp_ne_u32_e32 vcc_lo, 0x7f800000, v8
	v_mov_b32_e32 v8, 0x8000
	s_and_saveexec_b32 s22, vcc_lo
	s_cbranch_execz .LBB6_12423
; %bb.12416:                            ;   in Loop: Header=BB6_10551 Depth=3
	v_mov_b32_e32 v8, 0
	s_mov_b32 s23, exec_lo
	v_cmpx_ne_u32_e32 0, v98
	s_cbranch_execz .LBB6_12422
; %bb.12417:                            ;   in Loop: Header=BB6_10551 Depth=3
	v_bfe_u32 v12, v98, 23, 8
	v_and_b32_e32 v8, 0x7fffff, v98
                                        ; implicit-def: $vgpr112
	v_cmp_gt_u32_e64 s16, 0x79, v12
	v_sub_nc_u32_e32 v86, 0x78, v12
	v_cmp_eq_u32_e32 vcc_lo, 0, v12
	v_or_b32_e32 v87, 0x800000, v8
	v_cndmask_b32_e64 v86, 0, v86, s16
	v_cndmask_b32_e32 v8, v87, v8, vcc_lo
	v_cndmask_b32_e64 v86, v86, 0x77, vcc_lo
	v_lshl_add_u32 v87, 0x100000, v86, -1
	v_lshlrev_b32_e64 v99, v86, 0x80000
	v_and_b32_e32 v87, v87, v8
	v_cmp_eq_u32_e64 s16, v87, v99
	v_lshrrev_b32_e32 v87, v86, v8
	v_add_nc_u32_e32 v8, 0xffffff89, v12
	v_lshrrev_b32_e32 v12, 23, v87
	v_cndmask_b32_e64 v8, v8, 0xffffff8a, vcc_lo
	v_xor_b32_e32 v12, 1, v12
	v_add_nc_u32_e32 v8, v86, v8
	v_bfe_u32 v86, v87, 20, 1
	v_add_nc_u32_e32 v86, -1, v86
	v_cndmask_b32_e64 v86, 0, v86, s16
	s_mov_b32 s16, exec_lo
	v_add_nc_u32_e32 v86, v86, v87
	v_and_b32_e32 v86, 0xfffff, v86
	v_add_nc_u32_e32 v99, v86, v87
	v_cmpx_ne_u32_e64 v8, v12
	s_xor_b32 s16, exec_lo, s16
; %bb.12418:                            ;   in Loop: Header=BB6_10551 Depth=3
	v_cmp_lt_u32_e32 vcc_lo, 0xffffff, v99
	v_sub_nc_u32_e32 v8, v8, v12
	v_cndmask_b32_e64 v12, 0, 1, vcc_lo
	v_add_co_ci_u32_e64 v112, null, 0, v8, vcc_lo
	v_lshrrev_b32_e32 v99, v12, v99
; %bb.12419:                            ;   in Loop: Header=BB6_10551 Depth=3
	s_andn2_saveexec_b32 s16, s16
; %bb.12420:                            ;   in Loop: Header=BB6_10551 Depth=3
	v_bfe_u32 v112, v99, 23, 1
; %bb.12421:                            ;   in Loop: Header=BB6_10551 Depth=3
	s_or_b32 exec_lo, exec_lo, s16
	v_lshrrev_b32_e32 v12, 20, v99
	v_min_i32_e32 v86, 15, v112
	v_cmp_gt_i32_e32 vcc_lo, 16, v112
	v_and_b32_sdwa v8, v98, v62 dst_sel:DWORD dst_unused:UNUSED_PAD src0_sel:BYTE_3 src1_sel:DWORD
	v_lshlrev_b32_e32 v86, 3, v86
	v_cndmask_b32_e32 v12, 7, v12, vcc_lo
	v_and_b32_e32 v86, 0xf8, v86
	v_or_b32_e32 v87, v112, v12
	v_and_b32_e32 v12, 7, v12
	v_cmp_ne_u32_e32 vcc_lo, 0, v87
	v_or3_b32 v8, v8, v86, v12
	v_lshlrev_b32_e32 v8, 8, v8
	v_cndmask_b32_e32 v8, 0, v8, vcc_lo
.LBB6_12422:                            ;   in Loop: Header=BB6_10551 Depth=3
	s_or_b32 exec_lo, exec_lo, s23
.LBB6_12423:                            ;   in Loop: Header=BB6_10551 Depth=3
	s_or_b32 exec_lo, exec_lo, s22
	v_cmp_gt_i16_sdwa s23, v13, v61 src0_sel:BYTE_0 src1_sel:DWORD
	s_andn2_b32 vcc_lo, exec_lo, s19
	s_mov_b32 s16, -1
                                        ; implicit-def: $vgpr98
	s_cbranch_vccnz .LBB6_12437
; %bb.12424:                            ;   in Loop: Header=BB6_10551 Depth=3
	s_mov_b32 s22, 0
	s_and_saveexec_b32 s16, s23
	s_xor_b32 s16, exec_lo, s16
	s_cbranch_execz .LBB6_13269
; %bb.12425:                            ;   in Loop: Header=BB6_10551 Depth=3
	v_cmp_eq_u16_sdwa s73, v13, v62 src0_sel:BYTE_0 src1_sel:DWORD
	s_mov_b32 s22, -1
	s_and_saveexec_b32 s23, s73
; %bb.12426:                            ;   in Loop: Header=BB6_10551 Depth=3
	s_xor_b32 s22, exec_lo, -1
; %bb.12427:                            ;   in Loop: Header=BB6_10551 Depth=3
	s_or_b32 exec_lo, exec_lo, s23
	s_and_b32 s22, s22, exec_lo
	s_or_saveexec_b32 s16, s16
	v_mov_b32_e32 v12, 0x7f800001
	s_xor_b32 exec_lo, exec_lo, s16
	s_cbranch_execnz .LBB6_13270
.LBB6_12428:                            ;   in Loop: Header=BB6_10551 Depth=3
	s_or_b32 exec_lo, exec_lo, s16
	s_and_saveexec_b32 s16, s22
	s_cbranch_execz .LBB6_12430
.LBB6_12429:                            ;   in Loop: Header=BB6_10551 Depth=3
	v_and_b32_e32 v12, 7, v13
	v_bfe_u32 v86, v13, 3, 4
	v_ffbh_u32_e32 v87, v12
	v_cmp_eq_u32_e32 vcc_lo, 0, v86
	v_min_u32_e32 v87, 32, v87
	v_subrev_nc_u32_e32 v98, 28, v87
	v_sub_nc_u32_e32 v87, 29, v87
	v_lshlrev_b32_e32 v98, v98, v13
	v_cndmask_b32_e32 v86, v86, v87, vcc_lo
	v_lshlrev_b32_e32 v87, 24, v13
	v_and_b32_e32 v98, 7, v98
	v_lshl_add_u32 v86, v86, 23, 0x3b800000
	v_and_b32_e32 v87, 0x80000000, v87
	v_cndmask_b32_e32 v12, v12, v98, vcc_lo
	v_lshlrev_b32_e32 v12, 20, v12
	v_or3_b32 v12, v87, v86, v12
.LBB6_12430:                            ;   in Loop: Header=BB6_10551 Depth=3
	s_or_b32 exec_lo, exec_lo, s16
	v_cmp_gt_i16_sdwa s16, v9, v61 src0_sel:BYTE_0 src1_sel:DWORD
	s_mov_b32 s22, 0
	s_and_saveexec_b32 s23, s16
	s_xor_b32 s16, exec_lo, s23
	s_cbranch_execz .LBB6_13271
; %bb.12431:                            ;   in Loop: Header=BB6_10551 Depth=3
	v_cmp_eq_u16_sdwa s73, v9, v62 src0_sel:BYTE_0 src1_sel:DWORD
	s_mov_b32 s22, -1
	s_and_saveexec_b32 s23, s73
; %bb.12432:                            ;   in Loop: Header=BB6_10551 Depth=3
	s_xor_b32 s22, exec_lo, -1
; %bb.12433:                            ;   in Loop: Header=BB6_10551 Depth=3
	s_or_b32 exec_lo, exec_lo, s23
	s_and_b32 s22, s22, exec_lo
	s_or_saveexec_b32 s16, s16
	v_mov_b32_e32 v86, 0x7f800001
	s_xor_b32 exec_lo, exec_lo, s16
	s_cbranch_execnz .LBB6_13272
.LBB6_12434:                            ;   in Loop: Header=BB6_10551 Depth=3
	s_or_b32 exec_lo, exec_lo, s16
	s_and_saveexec_b32 s16, s22
	s_cbranch_execz .LBB6_12436
.LBB6_12435:                            ;   in Loop: Header=BB6_10551 Depth=3
	v_and_b32_e32 v86, 7, v9
	v_bfe_u32 v87, v9, 3, 4
	v_ffbh_u32_e32 v98, v86
	v_cmp_eq_u32_e32 vcc_lo, 0, v87
	v_min_u32_e32 v98, 32, v98
	v_subrev_nc_u32_e32 v99, 28, v98
	v_sub_nc_u32_e32 v98, 29, v98
	v_lshlrev_b32_e32 v99, v99, v9
	v_cndmask_b32_e32 v87, v87, v98, vcc_lo
	v_lshlrev_b32_e32 v98, 24, v9
	v_and_b32_e32 v99, 7, v99
	v_lshl_add_u32 v87, v87, 23, 0x3b800000
	v_and_b32_e32 v98, 0x80000000, v98
	v_cndmask_b32_e32 v86, v86, v99, vcc_lo
	v_lshlrev_b32_e32 v86, 20, v86
	v_or3_b32 v86, v98, v87, v86
.LBB6_12436:                            ;   in Loop: Header=BB6_10551 Depth=3
	s_or_b32 exec_lo, exec_lo, s16
	v_max_f32_e32 v86, v86, v86
	v_max_f32_e32 v12, v12, v12
	s_mov_b32 s16, 0
	v_max_f32_e32 v98, v12, v86
.LBB6_12437:                            ;   in Loop: Header=BB6_10551 Depth=3
	s_and_b32 vcc_lo, exec_lo, s16
	s_cbranch_vccz .LBB6_12451
; %bb.12438:                            ;   in Loop: Header=BB6_10551 Depth=3
	v_cmp_gt_i16_sdwa s16, v13, v61 src0_sel:BYTE_0 src1_sel:DWORD
	s_mov_b32 s22, 0
	s_and_saveexec_b32 s23, s16
	s_xor_b32 s16, exec_lo, s23
	s_cbranch_execz .LBB6_13273
; %bb.12439:                            ;   in Loop: Header=BB6_10551 Depth=3
	v_cmp_eq_u16_sdwa s73, v13, v62 src0_sel:BYTE_0 src1_sel:DWORD
	s_mov_b32 s22, -1
	s_and_saveexec_b32 s23, s73
; %bb.12440:                            ;   in Loop: Header=BB6_10551 Depth=3
	s_xor_b32 s22, exec_lo, -1
; %bb.12441:                            ;   in Loop: Header=BB6_10551 Depth=3
	s_or_b32 exec_lo, exec_lo, s23
	s_and_b32 s22, s22, exec_lo
	s_or_saveexec_b32 s16, s16
	v_mov_b32_e32 v12, 0x7f800001
	s_xor_b32 exec_lo, exec_lo, s16
	s_cbranch_execnz .LBB6_13274
.LBB6_12442:                            ;   in Loop: Header=BB6_10551 Depth=3
	s_or_b32 exec_lo, exec_lo, s16
	s_and_saveexec_b32 s16, s22
	s_cbranch_execz .LBB6_12444
.LBB6_12443:                            ;   in Loop: Header=BB6_10551 Depth=3
	v_and_b32_e32 v12, 7, v13
	v_bfe_u32 v86, v13, 3, 4
	v_ffbh_u32_e32 v87, v12
	v_cmp_eq_u32_e32 vcc_lo, 0, v86
	v_min_u32_e32 v87, 32, v87
	v_subrev_nc_u32_e32 v98, 28, v87
	v_sub_nc_u32_e32 v87, 29, v87
	v_lshlrev_b32_e32 v98, v98, v13
	v_cndmask_b32_e32 v86, v86, v87, vcc_lo
	v_lshlrev_b32_e32 v87, 24, v13
	v_and_b32_e32 v98, 7, v98
	v_lshl_add_u32 v86, v86, 23, 0x3b800000
	v_and_b32_e32 v87, 0x80000000, v87
	v_cndmask_b32_e32 v12, v12, v98, vcc_lo
	v_lshlrev_b32_e32 v12, 20, v12
	v_or3_b32 v12, v87, v86, v12
.LBB6_12444:                            ;   in Loop: Header=BB6_10551 Depth=3
	s_or_b32 exec_lo, exec_lo, s16
	v_cmp_gt_i16_sdwa s16, v9, v61 src0_sel:BYTE_0 src1_sel:DWORD
	s_mov_b32 s22, 0
	s_and_saveexec_b32 s23, s16
	s_xor_b32 s16, exec_lo, s23
	s_cbranch_execz .LBB6_13275
; %bb.12445:                            ;   in Loop: Header=BB6_10551 Depth=3
	v_cmp_eq_u16_sdwa s73, v9, v62 src0_sel:BYTE_0 src1_sel:DWORD
	s_mov_b32 s22, -1
	s_and_saveexec_b32 s23, s73
; %bb.12446:                            ;   in Loop: Header=BB6_10551 Depth=3
	s_xor_b32 s22, exec_lo, -1
; %bb.12447:                            ;   in Loop: Header=BB6_10551 Depth=3
	s_or_b32 exec_lo, exec_lo, s23
	s_and_b32 s22, s22, exec_lo
	s_or_saveexec_b32 s16, s16
	v_mov_b32_e32 v86, 0x7f800001
	s_xor_b32 exec_lo, exec_lo, s16
	s_cbranch_execnz .LBB6_13276
.LBB6_12448:                            ;   in Loop: Header=BB6_10551 Depth=3
	s_or_b32 exec_lo, exec_lo, s16
	s_and_saveexec_b32 s16, s22
	s_cbranch_execz .LBB6_12450
.LBB6_12449:                            ;   in Loop: Header=BB6_10551 Depth=3
	v_and_b32_e32 v86, 7, v9
	v_bfe_u32 v87, v9, 3, 4
	v_ffbh_u32_e32 v98, v86
	v_cmp_eq_u32_e32 vcc_lo, 0, v87
	v_min_u32_e32 v98, 32, v98
	v_subrev_nc_u32_e32 v99, 28, v98
	v_sub_nc_u32_e32 v98, 29, v98
	v_lshlrev_b32_e32 v99, v99, v9
	v_cndmask_b32_e32 v87, v87, v98, vcc_lo
	v_lshlrev_b32_e32 v98, 24, v9
	v_and_b32_e32 v99, 7, v99
	v_lshl_add_u32 v87, v87, 23, 0x3b800000
	v_and_b32_e32 v98, 0x80000000, v98
	v_cndmask_b32_e32 v86, v86, v99, vcc_lo
	v_lshlrev_b32_e32 v86, 20, v86
	v_or3_b32 v86, v98, v87, v86
.LBB6_12450:                            ;   in Loop: Header=BB6_10551 Depth=3
	s_or_b32 exec_lo, exec_lo, s16
	v_max_f32_e32 v86, v86, v86
	v_max_f32_e32 v12, v12, v12
	v_min_f32_e32 v98, v12, v86
.LBB6_12451:                            ;   in Loop: Header=BB6_10551 Depth=3
	v_and_b32_e32 v12, 0x7f800000, v98
	v_cmp_ne_u32_e32 vcc_lo, 0x7f800000, v12
	v_mov_b32_e32 v12, 0x80
	s_and_saveexec_b32 s22, vcc_lo
	s_cbranch_execz .LBB6_12459
; %bb.12452:                            ;   in Loop: Header=BB6_10551 Depth=3
	v_mov_b32_e32 v12, 0
	s_mov_b32 s23, exec_lo
	v_cmpx_ne_u32_e32 0, v98
	s_cbranch_execz .LBB6_12458
; %bb.12453:                            ;   in Loop: Header=BB6_10551 Depth=3
	v_bfe_u32 v86, v98, 23, 8
	v_and_b32_e32 v12, 0x7fffff, v98
                                        ; implicit-def: $vgpr113
	v_cmp_gt_u32_e64 s16, 0x79, v86
	v_sub_nc_u32_e32 v87, 0x78, v86
	v_cmp_eq_u32_e32 vcc_lo, 0, v86
	v_or_b32_e32 v99, 0x800000, v12
	v_cndmask_b32_e64 v87, 0, v87, s16
	v_cndmask_b32_e32 v12, v99, v12, vcc_lo
	v_cndmask_b32_e64 v87, v87, 0x77, vcc_lo
	v_lshl_add_u32 v99, 0x100000, v87, -1
	v_lshlrev_b32_e64 v112, v87, 0x80000
	v_and_b32_e32 v99, v99, v12
	v_cmp_eq_u32_e64 s16, v99, v112
	v_lshrrev_b32_e32 v112, v87, v12
	v_add_nc_u32_e32 v12, 0xffffff89, v86
	v_lshrrev_b32_e32 v86, 23, v112
	v_cndmask_b32_e64 v12, v12, 0xffffff8a, vcc_lo
	v_xor_b32_e32 v99, 1, v86
	v_bfe_u32 v86, v112, 20, 1
	v_add_nc_u32_e32 v12, v87, v12
	v_add_nc_u32_e32 v86, -1, v86
	v_cndmask_b32_e64 v86, 0, v86, s16
	s_mov_b32 s16, exec_lo
	v_add_nc_u32_e32 v86, v86, v112
	v_and_b32_e32 v86, 0xfffff, v86
	v_add_nc_u32_e32 v112, v86, v112
	v_cmpx_ne_u32_e64 v12, v99
	s_xor_b32 s16, exec_lo, s16
; %bb.12454:                            ;   in Loop: Header=BB6_10551 Depth=3
	v_cmp_lt_u32_e32 vcc_lo, 0xffffff, v112
	v_sub_nc_u32_e32 v12, v12, v99
	v_cndmask_b32_e64 v86, 0, 1, vcc_lo
	v_add_co_ci_u32_e64 v113, null, 0, v12, vcc_lo
	v_lshrrev_b32_e32 v112, v86, v112
; %bb.12455:                            ;   in Loop: Header=BB6_10551 Depth=3
	s_andn2_saveexec_b32 s16, s16
; %bb.12456:                            ;   in Loop: Header=BB6_10551 Depth=3
	v_bfe_u32 v113, v112, 23, 1
; %bb.12457:                            ;   in Loop: Header=BB6_10551 Depth=3
	s_or_b32 exec_lo, exec_lo, s16
	v_lshrrev_b32_e32 v86, 20, v112
	v_min_i32_e32 v87, 15, v113
	v_cmp_gt_i32_e32 vcc_lo, 16, v113
	v_and_b32_sdwa v12, v98, v62 dst_sel:DWORD dst_unused:UNUSED_PAD src0_sel:BYTE_3 src1_sel:DWORD
	v_lshlrev_b32_e32 v87, 3, v87
	v_cndmask_b32_e32 v86, 7, v86, vcc_lo
	v_and_b32_e32 v87, 0xf8, v87
	v_or_b32_e32 v98, v113, v86
	v_and_b32_e32 v86, 7, v86
	v_cmp_ne_u32_e32 vcc_lo, 0, v98
	v_or3_b32 v12, v87, v12, v86
	v_cndmask_b32_e32 v12, 0, v12, vcc_lo
.LBB6_12458:                            ;   in Loop: Header=BB6_10551 Depth=3
	s_or_b32 exec_lo, exec_lo, s23
.LBB6_12459:                            ;   in Loop: Header=BB6_10551 Depth=3
	s_or_b32 exec_lo, exec_lo, s22
	v_cmp_gt_i16_sdwa s22, v13, v61 src0_sel:BYTE_1 src1_sel:DWORD
	s_andn2_b32 vcc_lo, exec_lo, s19
	s_mov_b32 s16, -1
                                        ; implicit-def: $vgpr98
	s_cbranch_vccnz .LBB6_12473
; %bb.12460:                            ;   in Loop: Header=BB6_10551 Depth=3
	s_mov_b32 s16, 0
	s_and_saveexec_b32 s23, s22
	s_xor_b32 s22, exec_lo, s23
	s_cbranch_execz .LBB6_13277
; %bb.12461:                            ;   in Loop: Header=BB6_10551 Depth=3
	v_cmp_eq_u16_sdwa s73, v13, v62 src0_sel:BYTE_1 src1_sel:DWORD
	s_mov_b32 s16, -1
	s_and_saveexec_b32 s23, s73
; %bb.12462:                            ;   in Loop: Header=BB6_10551 Depth=3
	s_xor_b32 s16, exec_lo, -1
; %bb.12463:                            ;   in Loop: Header=BB6_10551 Depth=3
	s_or_b32 exec_lo, exec_lo, s23
	s_and_b32 s16, s16, exec_lo
	s_or_saveexec_b32 s22, s22
	v_mov_b32_e32 v98, 0x7f800001
	s_xor_b32 exec_lo, exec_lo, s22
	s_cbranch_execnz .LBB6_13278
.LBB6_12464:                            ;   in Loop: Header=BB6_10551 Depth=3
	s_or_b32 exec_lo, exec_lo, s22
	s_and_saveexec_b32 s22, s16
	s_cbranch_execz .LBB6_12466
.LBB6_12465:                            ;   in Loop: Header=BB6_10551 Depth=3
	v_and_b32_sdwa v86, v63, v13 dst_sel:DWORD dst_unused:UNUSED_PAD src0_sel:DWORD src1_sel:BYTE_1
	v_and_b32_e32 v87, 7, v86
	v_bfe_u32 v112, v86, 3, 4
	v_ffbh_u32_e32 v98, v87
	v_cmp_eq_u32_e32 vcc_lo, 0, v112
	v_min_u32_e32 v98, 32, v98
	v_subrev_nc_u32_e32 v99, 28, v98
	v_sub_nc_u32_e32 v98, 29, v98
	v_lshlrev_b32_e32 v86, v99, v86
	v_lshlrev_b32_e32 v99, 16, v13
	v_cndmask_b32_e32 v98, v112, v98, vcc_lo
	v_and_b32_e32 v86, 7, v86
	v_lshl_add_u32 v98, v98, 23, 0x3b800000
	v_cndmask_b32_e32 v86, v87, v86, vcc_lo
	v_and_b32_e32 v87, 0x80000000, v99
	v_lshlrev_b32_e32 v86, 20, v86
	v_or3_b32 v98, v87, v98, v86
.LBB6_12466:                            ;   in Loop: Header=BB6_10551 Depth=3
	s_or_b32 exec_lo, exec_lo, s22
	v_cmp_gt_i16_sdwa s22, v9, v61 src0_sel:BYTE_1 src1_sel:DWORD
	s_mov_b32 s16, 0
	s_and_saveexec_b32 s23, s22
	s_xor_b32 s22, exec_lo, s23
	s_cbranch_execz .LBB6_13279
; %bb.12467:                            ;   in Loop: Header=BB6_10551 Depth=3
	v_cmp_eq_u16_sdwa s73, v9, v62 src0_sel:BYTE_1 src1_sel:DWORD
	s_mov_b32 s16, -1
	s_and_saveexec_b32 s23, s73
; %bb.12468:                            ;   in Loop: Header=BB6_10551 Depth=3
	s_xor_b32 s16, exec_lo, -1
; %bb.12469:                            ;   in Loop: Header=BB6_10551 Depth=3
	s_or_b32 exec_lo, exec_lo, s23
	s_and_b32 s16, s16, exec_lo
	s_or_saveexec_b32 s22, s22
	v_mov_b32_e32 v86, 0x7f800001
	s_xor_b32 exec_lo, exec_lo, s22
	s_cbranch_execnz .LBB6_13280
.LBB6_12470:                            ;   in Loop: Header=BB6_10551 Depth=3
	s_or_b32 exec_lo, exec_lo, s22
	s_and_saveexec_b32 s22, s16
	s_cbranch_execz .LBB6_12472
.LBB6_12471:                            ;   in Loop: Header=BB6_10551 Depth=3
	v_and_b32_sdwa v86, v63, v9 dst_sel:DWORD dst_unused:UNUSED_PAD src0_sel:DWORD src1_sel:BYTE_1
	v_and_b32_e32 v87, 7, v86
	v_bfe_u32 v113, v86, 3, 4
	v_ffbh_u32_e32 v99, v87
	v_cmp_eq_u32_e32 vcc_lo, 0, v113
	v_min_u32_e32 v99, 32, v99
	v_subrev_nc_u32_e32 v112, 28, v99
	v_sub_nc_u32_e32 v99, 29, v99
	v_lshlrev_b32_e32 v86, v112, v86
	v_lshlrev_b32_e32 v112, 16, v9
	v_cndmask_b32_e32 v99, v113, v99, vcc_lo
	v_and_b32_e32 v86, 7, v86
	v_lshl_add_u32 v99, v99, 23, 0x3b800000
	v_cndmask_b32_e32 v86, v87, v86, vcc_lo
	v_and_b32_e32 v87, 0x80000000, v112
	v_lshlrev_b32_e32 v86, 20, v86
	v_or3_b32 v86, v87, v99, v86
.LBB6_12472:                            ;   in Loop: Header=BB6_10551 Depth=3
	s_or_b32 exec_lo, exec_lo, s22
	v_max_f32_e32 v86, v86, v86
	v_max_f32_e32 v87, v98, v98
	s_mov_b32 s16, 0
	v_max_f32_e32 v98, v87, v86
.LBB6_12473:                            ;   in Loop: Header=BB6_10551 Depth=3
	s_and_b32 vcc_lo, exec_lo, s16
	s_cbranch_vccz .LBB6_12487
; %bb.12474:                            ;   in Loop: Header=BB6_10551 Depth=3
	v_cmp_gt_i16_sdwa s22, v13, v61 src0_sel:BYTE_1 src1_sel:DWORD
	s_mov_b32 s16, 0
	s_and_saveexec_b32 s23, s22
	s_xor_b32 s22, exec_lo, s23
	s_cbranch_execz .LBB6_13281
; %bb.12475:                            ;   in Loop: Header=BB6_10551 Depth=3
	v_cmp_eq_u16_sdwa s73, v13, v62 src0_sel:BYTE_1 src1_sel:DWORD
	s_mov_b32 s16, -1
	s_and_saveexec_b32 s23, s73
; %bb.12476:                            ;   in Loop: Header=BB6_10551 Depth=3
	s_xor_b32 s16, exec_lo, -1
; %bb.12477:                            ;   in Loop: Header=BB6_10551 Depth=3
	s_or_b32 exec_lo, exec_lo, s23
	s_and_b32 s16, s16, exec_lo
	s_or_saveexec_b32 s22, s22
	v_mov_b32_e32 v98, 0x7f800001
	s_xor_b32 exec_lo, exec_lo, s22
	s_cbranch_execnz .LBB6_13282
.LBB6_12478:                            ;   in Loop: Header=BB6_10551 Depth=3
	s_or_b32 exec_lo, exec_lo, s22
	s_and_saveexec_b32 s22, s16
	s_cbranch_execz .LBB6_12480
.LBB6_12479:                            ;   in Loop: Header=BB6_10551 Depth=3
	v_and_b32_sdwa v86, v63, v13 dst_sel:DWORD dst_unused:UNUSED_PAD src0_sel:DWORD src1_sel:BYTE_1
	v_and_b32_e32 v87, 7, v86
	v_bfe_u32 v112, v86, 3, 4
	v_ffbh_u32_e32 v98, v87
	v_cmp_eq_u32_e32 vcc_lo, 0, v112
	v_min_u32_e32 v98, 32, v98
	v_subrev_nc_u32_e32 v99, 28, v98
	v_sub_nc_u32_e32 v98, 29, v98
	v_lshlrev_b32_e32 v86, v99, v86
	v_lshlrev_b32_e32 v99, 16, v13
	v_cndmask_b32_e32 v98, v112, v98, vcc_lo
	v_and_b32_e32 v86, 7, v86
	v_lshl_add_u32 v98, v98, 23, 0x3b800000
	v_cndmask_b32_e32 v86, v87, v86, vcc_lo
	v_and_b32_e32 v87, 0x80000000, v99
	v_lshlrev_b32_e32 v86, 20, v86
	v_or3_b32 v98, v87, v98, v86
.LBB6_12480:                            ;   in Loop: Header=BB6_10551 Depth=3
	s_or_b32 exec_lo, exec_lo, s22
	v_cmp_gt_i16_sdwa s22, v9, v61 src0_sel:BYTE_1 src1_sel:DWORD
	s_mov_b32 s16, 0
	s_and_saveexec_b32 s23, s22
	s_xor_b32 s22, exec_lo, s23
	s_cbranch_execz .LBB6_13283
; %bb.12481:                            ;   in Loop: Header=BB6_10551 Depth=3
	v_cmp_eq_u16_sdwa s73, v9, v62 src0_sel:BYTE_1 src1_sel:DWORD
	s_mov_b32 s16, -1
	s_and_saveexec_b32 s23, s73
; %bb.12482:                            ;   in Loop: Header=BB6_10551 Depth=3
	s_xor_b32 s16, exec_lo, -1
; %bb.12483:                            ;   in Loop: Header=BB6_10551 Depth=3
	s_or_b32 exec_lo, exec_lo, s23
	s_and_b32 s16, s16, exec_lo
	s_or_saveexec_b32 s22, s22
	v_mov_b32_e32 v86, 0x7f800001
	s_xor_b32 exec_lo, exec_lo, s22
	s_cbranch_execnz .LBB6_13284
.LBB6_12484:                            ;   in Loop: Header=BB6_10551 Depth=3
	s_or_b32 exec_lo, exec_lo, s22
	s_and_saveexec_b32 s22, s16
	s_cbranch_execz .LBB6_12486
.LBB6_12485:                            ;   in Loop: Header=BB6_10551 Depth=3
	v_and_b32_sdwa v86, v63, v9 dst_sel:DWORD dst_unused:UNUSED_PAD src0_sel:DWORD src1_sel:BYTE_1
	v_and_b32_e32 v87, 7, v86
	v_bfe_u32 v113, v86, 3, 4
	v_ffbh_u32_e32 v99, v87
	v_cmp_eq_u32_e32 vcc_lo, 0, v113
	v_min_u32_e32 v99, 32, v99
	v_subrev_nc_u32_e32 v112, 28, v99
	v_sub_nc_u32_e32 v99, 29, v99
	v_lshlrev_b32_e32 v86, v112, v86
	v_lshlrev_b32_e32 v112, 16, v9
	v_cndmask_b32_e32 v99, v113, v99, vcc_lo
	v_and_b32_e32 v86, 7, v86
	v_lshl_add_u32 v99, v99, 23, 0x3b800000
	v_cndmask_b32_e32 v86, v87, v86, vcc_lo
	v_and_b32_e32 v87, 0x80000000, v112
	v_lshlrev_b32_e32 v86, 20, v86
	v_or3_b32 v86, v87, v99, v86
.LBB6_12486:                            ;   in Loop: Header=BB6_10551 Depth=3
	s_or_b32 exec_lo, exec_lo, s22
	v_max_f32_e32 v86, v86, v86
	v_max_f32_e32 v87, v98, v98
	v_min_f32_e32 v98, v87, v86
.LBB6_12487:                            ;   in Loop: Header=BB6_10551 Depth=3
	v_and_b32_e32 v86, 0x7f800000, v98
	v_mov_b32_e32 v57, 0x8000
	s_mov_b32 s22, exec_lo
	v_cmpx_ne_u32_e32 0x7f800000, v86
	s_cbranch_execz .LBB6_12495
; %bb.12488:                            ;   in Loop: Header=BB6_10551 Depth=3
	v_mov_b32_e32 v57, 0
	s_mov_b32 s23, exec_lo
	v_cmpx_ne_u32_e32 0, v98
	s_cbranch_execz .LBB6_12494
; %bb.12489:                            ;   in Loop: Header=BB6_10551 Depth=3
	v_bfe_u32 v87, v98, 23, 8
	v_and_b32_e32 v86, 0x7fffff, v98
                                        ; implicit-def: $vgpr46
	v_cmp_gt_u32_e64 s16, 0x79, v87
	v_sub_nc_u32_e32 v99, 0x78, v87
	v_cmp_eq_u32_e32 vcc_lo, 0, v87
	v_or_b32_e32 v112, 0x800000, v86
	v_add_nc_u32_e32 v87, 0xffffff89, v87
	v_cndmask_b32_e64 v99, 0, v99, s16
	v_cndmask_b32_e32 v86, v112, v86, vcc_lo
	v_cndmask_b32_e64 v87, v87, 0xffffff8a, vcc_lo
	v_cndmask_b32_e64 v99, v99, 0x77, vcc_lo
	v_lshl_add_u32 v112, 0x100000, v99, -1
	v_lshlrev_b32_e64 v113, v99, 0x80000
	v_and_b32_e32 v112, v112, v86
	v_lshrrev_b32_e32 v86, v99, v86
	v_add_nc_u32_e32 v99, v99, v87
	v_cmp_eq_u32_e64 s16, v112, v113
	v_lshrrev_b32_e32 v87, 23, v86
	v_xor_b32_e32 v112, 1, v87
	v_bfe_u32 v87, v86, 20, 1
	v_add_nc_u32_e32 v87, -1, v87
	v_cndmask_b32_e64 v87, 0, v87, s16
	s_mov_b32 s16, exec_lo
	v_add_nc_u32_e32 v87, v87, v86
	v_and_b32_e32 v87, 0xfffff, v87
	v_add_nc_u32_e32 v113, v87, v86
	v_cmpx_ne_u32_e64 v99, v112
	s_xor_b32 s16, exec_lo, s16
; %bb.12490:                            ;   in Loop: Header=BB6_10551 Depth=3
	v_cmp_lt_u32_e32 vcc_lo, 0xffffff, v113
	v_sub_nc_u32_e32 v86, v99, v112
	v_cndmask_b32_e64 v87, 0, 1, vcc_lo
	v_add_co_ci_u32_e64 v46, null, 0, v86, vcc_lo
	v_lshrrev_b32_e32 v113, v87, v113
; %bb.12491:                            ;   in Loop: Header=BB6_10551 Depth=3
	s_andn2_saveexec_b32 s16, s16
; %bb.12492:                            ;   in Loop: Header=BB6_10551 Depth=3
	v_bfe_u32 v46, v113, 23, 1
; %bb.12493:                            ;   in Loop: Header=BB6_10551 Depth=3
	s_or_b32 exec_lo, exec_lo, s16
	v_and_b32_sdwa v86, v98, v62 dst_sel:DWORD dst_unused:UNUSED_PAD src0_sel:BYTE_3 src1_sel:DWORD
	v_lshrrev_b32_e32 v87, 20, v113
	v_min_i32_e32 v98, 15, v46
	v_cmp_gt_i32_e32 vcc_lo, 16, v46
	v_lshlrev_b32_e32 v98, 3, v98
	v_cndmask_b32_e32 v87, 7, v87, vcc_lo
	v_and_b32_e32 v98, 0xf8, v98
	v_or_b32_e32 v99, v46, v87
	v_and_b32_e32 v87, 7, v87
	v_cmp_ne_u32_e32 vcc_lo, 0, v99
	v_or3_b32 v86, v86, v98, v87
	v_lshlrev_b32_e32 v86, 8, v86
	v_cndmask_b32_e32 v57, 0, v86, vcc_lo
.LBB6_12494:                            ;   in Loop: Header=BB6_10551 Depth=3
	s_or_b32 exec_lo, exec_lo, s23
.LBB6_12495:                            ;   in Loop: Header=BB6_10551 Depth=3
	s_or_b32 exec_lo, exec_lo, s22
	v_and_b32_sdwa v98, v13, v72 dst_sel:DWORD dst_unused:UNUSED_PAD src0_sel:WORD_1 src1_sel:DWORD
	s_andn2_b32 vcc_lo, exec_lo, s19
	s_mov_b32 s22, -1
                                        ; implicit-def: $vgpr99
	v_cmp_lt_i16_e64 s16, 0x7f, v98
	s_cbranch_vccnz .LBB6_12509
; %bb.12496:                            ;   in Loop: Header=BB6_10551 Depth=3
	s_mov_b32 s22, 0
	s_and_saveexec_b32 s23, s16
	s_xor_b32 s16, exec_lo, s23
	s_cbranch_execz .LBB6_13285
; %bb.12497:                            ;   in Loop: Header=BB6_10551 Depth=3
	s_mov_b32 s22, -1
	s_mov_b32 s23, exec_lo
	v_cmpx_eq_u16_e32 0x80, v98
; %bb.12498:                            ;   in Loop: Header=BB6_10551 Depth=3
	s_xor_b32 s22, exec_lo, -1
; %bb.12499:                            ;   in Loop: Header=BB6_10551 Depth=3
	s_or_b32 exec_lo, exec_lo, s23
	s_and_b32 s22, s22, exec_lo
	s_or_saveexec_b32 s16, s16
	v_mov_b32_e32 v99, 0x7f800001
	s_xor_b32 exec_lo, exec_lo, s16
	s_cbranch_execnz .LBB6_13286
.LBB6_12500:                            ;   in Loop: Header=BB6_10551 Depth=3
	s_or_b32 exec_lo, exec_lo, s16
	s_and_saveexec_b32 s16, s22
	s_cbranch_execz .LBB6_12502
.LBB6_12501:                            ;   in Loop: Header=BB6_10551 Depth=3
	v_bfe_u32 v86, v13, 16, 3
	v_bfe_u32 v87, v13, 19, 4
	v_ffbh_u32_e32 v99, v86
	v_cmp_eq_u32_e32 vcc_lo, 0, v87
	v_min_u32_e32 v99, 32, v99
	v_subrev_nc_u32_e32 v112, 28, v99
	v_sub_nc_u32_e32 v99, 29, v99
	v_lshlrev_b32_sdwa v112, v112, v13 dst_sel:DWORD dst_unused:UNUSED_PAD src0_sel:DWORD src1_sel:WORD_1
	v_cndmask_b32_e32 v87, v87, v99, vcc_lo
	v_lshlrev_b32_sdwa v99, v73, v13 dst_sel:DWORD dst_unused:UNUSED_PAD src0_sel:DWORD src1_sel:WORD_1
	v_and_b32_e32 v112, 7, v112
	v_lshl_add_u32 v87, v87, 23, 0x3b800000
	v_and_b32_e32 v99, 0x80000000, v99
	v_cndmask_b32_e32 v86, v86, v112, vcc_lo
	v_lshlrev_b32_e32 v86, 20, v86
	v_or3_b32 v99, v99, v87, v86
.LBB6_12502:                            ;   in Loop: Header=BB6_10551 Depth=3
	s_or_b32 exec_lo, exec_lo, s16
	v_and_b32_sdwa v87, v9, v72 dst_sel:DWORD dst_unused:UNUSED_PAD src0_sel:WORD_1 src1_sel:DWORD
	s_mov_b32 s22, 0
	s_mov_b32 s16, exec_lo
	v_cmpx_lt_i16_e32 0x7f, v87
	s_xor_b32 s16, exec_lo, s16
	s_cbranch_execz .LBB6_13287
; %bb.12503:                            ;   in Loop: Header=BB6_10551 Depth=3
	s_mov_b32 s22, -1
	s_mov_b32 s23, exec_lo
	v_cmpx_eq_u16_e32 0x80, v87
; %bb.12504:                            ;   in Loop: Header=BB6_10551 Depth=3
	s_xor_b32 s22, exec_lo, -1
; %bb.12505:                            ;   in Loop: Header=BB6_10551 Depth=3
	s_or_b32 exec_lo, exec_lo, s23
	s_and_b32 s22, s22, exec_lo
                                        ; implicit-def: $vgpr87
	s_or_saveexec_b32 s16, s16
	v_mov_b32_e32 v86, 0x7f800001
	s_xor_b32 exec_lo, exec_lo, s16
	s_cbranch_execnz .LBB6_13288
.LBB6_12506:                            ;   in Loop: Header=BB6_10551 Depth=3
	s_or_b32 exec_lo, exec_lo, s16
	s_and_saveexec_b32 s16, s22
	s_cbranch_execz .LBB6_12508
.LBB6_12507:                            ;   in Loop: Header=BB6_10551 Depth=3
	v_bfe_u32 v86, v9, 16, 3
	v_bfe_u32 v87, v9, 19, 4
	v_ffbh_u32_e32 v112, v86
	v_cmp_eq_u32_e32 vcc_lo, 0, v87
	v_min_u32_e32 v112, 32, v112
	v_subrev_nc_u32_e32 v113, 28, v112
	v_sub_nc_u32_e32 v112, 29, v112
	v_lshlrev_b32_sdwa v113, v113, v9 dst_sel:DWORD dst_unused:UNUSED_PAD src0_sel:DWORD src1_sel:WORD_1
	v_cndmask_b32_e32 v87, v87, v112, vcc_lo
	v_lshlrev_b32_sdwa v112, v73, v9 dst_sel:DWORD dst_unused:UNUSED_PAD src0_sel:DWORD src1_sel:WORD_1
	v_and_b32_e32 v113, 7, v113
	v_lshl_add_u32 v87, v87, 23, 0x3b800000
	v_and_b32_e32 v112, 0x80000000, v112
	v_cndmask_b32_e32 v86, v86, v113, vcc_lo
	v_lshlrev_b32_e32 v86, 20, v86
	v_or3_b32 v86, v112, v87, v86
.LBB6_12508:                            ;   in Loop: Header=BB6_10551 Depth=3
	s_or_b32 exec_lo, exec_lo, s16
	v_max_f32_e32 v86, v86, v86
	v_max_f32_e32 v87, v99, v99
	s_mov_b32 s22, 0
	v_max_f32_e32 v99, v87, v86
.LBB6_12509:                            ;   in Loop: Header=BB6_10551 Depth=3
	s_and_b32 vcc_lo, exec_lo, s22
	s_cbranch_vccz .LBB6_12523
; %bb.12510:                            ;   in Loop: Header=BB6_10551 Depth=3
	s_mov_b32 s22, 0
	s_mov_b32 s16, exec_lo
	v_cmpx_lt_i16_e32 0x7f, v98
	s_xor_b32 s16, exec_lo, s16
	s_cbranch_execz .LBB6_13289
; %bb.12511:                            ;   in Loop: Header=BB6_10551 Depth=3
	s_mov_b32 s22, -1
	s_mov_b32 s23, exec_lo
	v_cmpx_eq_u16_e32 0x80, v98
; %bb.12512:                            ;   in Loop: Header=BB6_10551 Depth=3
	s_xor_b32 s22, exec_lo, -1
; %bb.12513:                            ;   in Loop: Header=BB6_10551 Depth=3
	s_or_b32 exec_lo, exec_lo, s23
	s_and_b32 s22, s22, exec_lo
                                        ; implicit-def: $vgpr98
	s_or_saveexec_b32 s16, s16
	v_mov_b32_e32 v99, 0x7f800001
	s_xor_b32 exec_lo, exec_lo, s16
	s_cbranch_execnz .LBB6_13290
.LBB6_12514:                            ;   in Loop: Header=BB6_10551 Depth=3
	s_or_b32 exec_lo, exec_lo, s16
	s_and_saveexec_b32 s16, s22
	s_cbranch_execz .LBB6_12516
.LBB6_12515:                            ;   in Loop: Header=BB6_10551 Depth=3
	v_bfe_u32 v86, v13, 16, 3
	v_bfe_u32 v87, v13, 19, 4
	v_ffbh_u32_e32 v98, v86
	v_cmp_eq_u32_e32 vcc_lo, 0, v87
	v_min_u32_e32 v98, 32, v98
	v_subrev_nc_u32_e32 v99, 28, v98
	v_sub_nc_u32_e32 v98, 29, v98
	v_lshlrev_b32_sdwa v99, v99, v13 dst_sel:DWORD dst_unused:UNUSED_PAD src0_sel:DWORD src1_sel:WORD_1
	v_cndmask_b32_e32 v87, v87, v98, vcc_lo
	v_lshlrev_b32_sdwa v98, v73, v13 dst_sel:DWORD dst_unused:UNUSED_PAD src0_sel:DWORD src1_sel:WORD_1
	v_and_b32_e32 v99, 7, v99
	v_lshl_add_u32 v87, v87, 23, 0x3b800000
	v_and_b32_e32 v98, 0x80000000, v98
	v_cndmask_b32_e32 v86, v86, v99, vcc_lo
	v_lshlrev_b32_e32 v86, 20, v86
	v_or3_b32 v99, v98, v87, v86
.LBB6_12516:                            ;   in Loop: Header=BB6_10551 Depth=3
	s_or_b32 exec_lo, exec_lo, s16
	v_and_b32_sdwa v87, v9, v72 dst_sel:DWORD dst_unused:UNUSED_PAD src0_sel:WORD_1 src1_sel:DWORD
	s_mov_b32 s22, 0
	s_mov_b32 s16, exec_lo
	v_cmpx_lt_i16_e32 0x7f, v87
	s_xor_b32 s16, exec_lo, s16
	s_cbranch_execz .LBB6_13291
; %bb.12517:                            ;   in Loop: Header=BB6_10551 Depth=3
	s_mov_b32 s22, -1
	s_mov_b32 s23, exec_lo
	v_cmpx_eq_u16_e32 0x80, v87
; %bb.12518:                            ;   in Loop: Header=BB6_10551 Depth=3
	s_xor_b32 s22, exec_lo, -1
; %bb.12519:                            ;   in Loop: Header=BB6_10551 Depth=3
	s_or_b32 exec_lo, exec_lo, s23
	s_and_b32 s22, s22, exec_lo
                                        ; implicit-def: $vgpr87
	s_or_saveexec_b32 s16, s16
	v_mov_b32_e32 v86, 0x7f800001
	s_xor_b32 exec_lo, exec_lo, s16
	s_cbranch_execnz .LBB6_13292
.LBB6_12520:                            ;   in Loop: Header=BB6_10551 Depth=3
	s_or_b32 exec_lo, exec_lo, s16
	s_and_saveexec_b32 s16, s22
	s_cbranch_execz .LBB6_12522
.LBB6_12521:                            ;   in Loop: Header=BB6_10551 Depth=3
	v_bfe_u32 v86, v9, 16, 3
	v_bfe_u32 v87, v9, 19, 4
	v_ffbh_u32_e32 v98, v86
	v_cmp_eq_u32_e32 vcc_lo, 0, v87
	v_min_u32_e32 v98, 32, v98
	v_subrev_nc_u32_e32 v112, 28, v98
	v_sub_nc_u32_e32 v98, 29, v98
	v_lshlrev_b32_sdwa v112, v112, v9 dst_sel:DWORD dst_unused:UNUSED_PAD src0_sel:DWORD src1_sel:WORD_1
	v_cndmask_b32_e32 v87, v87, v98, vcc_lo
	v_lshlrev_b32_sdwa v98, v73, v9 dst_sel:DWORD dst_unused:UNUSED_PAD src0_sel:DWORD src1_sel:WORD_1
	v_and_b32_e32 v112, 7, v112
	v_lshl_add_u32 v87, v87, 23, 0x3b800000
	v_and_b32_e32 v98, 0x80000000, v98
	v_cndmask_b32_e32 v86, v86, v112, vcc_lo
	v_lshlrev_b32_e32 v86, 20, v86
	v_or3_b32 v86, v98, v87, v86
.LBB6_12522:                            ;   in Loop: Header=BB6_10551 Depth=3
	s_or_b32 exec_lo, exec_lo, s16
	v_max_f32_e32 v86, v86, v86
	v_max_f32_e32 v87, v99, v99
	v_min_f32_e32 v99, v87, v86
.LBB6_12523:                            ;   in Loop: Header=BB6_10551 Depth=3
	v_and_b32_e32 v86, 0x7f800000, v99
	v_mov_b32_e32 v109, 0x80
	s_mov_b32 s22, exec_lo
	v_cmpx_ne_u32_e32 0x7f800000, v86
	s_cbranch_execz .LBB6_12531
; %bb.12524:                            ;   in Loop: Header=BB6_10551 Depth=3
	v_mov_b32_e32 v109, 0
	s_mov_b32 s23, exec_lo
	v_cmpx_ne_u32_e32 0, v99
	s_cbranch_execz .LBB6_12530
; %bb.12525:                            ;   in Loop: Header=BB6_10551 Depth=3
	v_bfe_u32 v87, v99, 23, 8
	v_and_b32_e32 v86, 0x7fffff, v99
                                        ; implicit-def: $vgpr46
	v_cmp_gt_u32_e64 s16, 0x79, v87
	v_sub_nc_u32_e32 v98, 0x78, v87
	v_cmp_eq_u32_e32 vcc_lo, 0, v87
	v_or_b32_e32 v112, 0x800000, v86
	v_add_nc_u32_e32 v87, 0xffffff89, v87
	v_cndmask_b32_e64 v98, 0, v98, s16
	v_cndmask_b32_e32 v86, v112, v86, vcc_lo
	v_cndmask_b32_e64 v87, v87, 0xffffff8a, vcc_lo
	v_cndmask_b32_e64 v98, v98, 0x77, vcc_lo
	v_lshl_add_u32 v112, 0x100000, v98, -1
	v_lshlrev_b32_e64 v113, v98, 0x80000
	v_and_b32_e32 v112, v112, v86
	v_lshrrev_b32_e32 v86, v98, v86
	v_add_nc_u32_e32 v98, v98, v87
	v_cmp_eq_u32_e64 s16, v112, v113
	v_lshrrev_b32_e32 v87, 23, v86
	v_xor_b32_e32 v112, 1, v87
	v_bfe_u32 v87, v86, 20, 1
	v_add_nc_u32_e32 v87, -1, v87
	v_cndmask_b32_e64 v87, 0, v87, s16
	s_mov_b32 s16, exec_lo
	v_add_nc_u32_e32 v87, v87, v86
	v_and_b32_e32 v87, 0xfffff, v87
	v_add_nc_u32_e32 v113, v87, v86
	v_cmpx_ne_u32_e64 v98, v112
	s_xor_b32 s16, exec_lo, s16
; %bb.12526:                            ;   in Loop: Header=BB6_10551 Depth=3
	v_cmp_lt_u32_e32 vcc_lo, 0xffffff, v113
	v_sub_nc_u32_e32 v86, v98, v112
	v_cndmask_b32_e64 v87, 0, 1, vcc_lo
	v_add_co_ci_u32_e64 v46, null, 0, v86, vcc_lo
	v_lshrrev_b32_e32 v113, v87, v113
; %bb.12527:                            ;   in Loop: Header=BB6_10551 Depth=3
	s_andn2_saveexec_b32 s16, s16
; %bb.12528:                            ;   in Loop: Header=BB6_10551 Depth=3
	v_bfe_u32 v46, v113, 23, 1
; %bb.12529:                            ;   in Loop: Header=BB6_10551 Depth=3
	s_or_b32 exec_lo, exec_lo, s16
	v_lshrrev_b32_e32 v87, 20, v113
	v_min_i32_e32 v98, 15, v46
	v_cmp_gt_i32_e32 vcc_lo, 16, v46
	v_and_b32_sdwa v86, v99, v62 dst_sel:DWORD dst_unused:UNUSED_PAD src0_sel:BYTE_3 src1_sel:DWORD
	v_lshlrev_b32_e32 v98, 3, v98
	v_cndmask_b32_e32 v87, 7, v87, vcc_lo
	v_and_b32_e32 v98, 0xf8, v98
	v_or_b32_e32 v99, v46, v87
	v_and_b32_e32 v87, 7, v87
	v_cmp_ne_u32_e32 vcc_lo, 0, v99
	v_or3_b32 v86, v98, v86, v87
	v_cndmask_b32_e32 v109, 0, v86, vcc_lo
.LBB6_12530:                            ;   in Loop: Header=BB6_10551 Depth=3
	s_or_b32 exec_lo, exec_lo, s23
.LBB6_12531:                            ;   in Loop: Header=BB6_10551 Depth=3
	s_or_b32 exec_lo, exec_lo, s22
	v_cmp_gt_i16_sdwa s22, v13, v61 src0_sel:BYTE_3 src1_sel:DWORD
	s_andn2_b32 vcc_lo, exec_lo, s19
	s_mov_b32 s16, -1
                                        ; implicit-def: $vgpr98
	s_cbranch_vccnz .LBB6_12545
; %bb.12532:                            ;   in Loop: Header=BB6_10551 Depth=3
	s_mov_b32 s16, 0
	s_and_saveexec_b32 s23, s22
	s_xor_b32 s22, exec_lo, s23
	s_cbranch_execz .LBB6_13293
; %bb.12533:                            ;   in Loop: Header=BB6_10551 Depth=3
	v_cmp_eq_u16_sdwa s73, v13, v62 src0_sel:BYTE_3 src1_sel:DWORD
	s_mov_b32 s16, -1
	s_and_saveexec_b32 s23, s73
; %bb.12534:                            ;   in Loop: Header=BB6_10551 Depth=3
	s_xor_b32 s16, exec_lo, -1
; %bb.12535:                            ;   in Loop: Header=BB6_10551 Depth=3
	s_or_b32 exec_lo, exec_lo, s23
	s_and_b32 s16, s16, exec_lo
	s_or_saveexec_b32 s22, s22
	v_mov_b32_e32 v98, 0x7f800001
	s_xor_b32 exec_lo, exec_lo, s22
	s_cbranch_execnz .LBB6_13294
.LBB6_12536:                            ;   in Loop: Header=BB6_10551 Depth=3
	s_or_b32 exec_lo, exec_lo, s22
	s_and_saveexec_b32 s22, s16
	s_cbranch_execz .LBB6_12538
.LBB6_12537:                            ;   in Loop: Header=BB6_10551 Depth=3
	v_bfe_u32 v86, v13, 24, 3
	v_bfe_u32 v99, v13, 27, 4
	v_ffbh_u32_e32 v87, v86
	v_cmp_eq_u32_e32 vcc_lo, 0, v99
	v_min_u32_e32 v87, 32, v87
	v_subrev_nc_u32_e32 v98, 28, v87
	v_sub_nc_u32_e32 v87, 29, v87
	v_lshlrev_b32_sdwa v98, v98, v13 dst_sel:DWORD dst_unused:UNUSED_PAD src0_sel:DWORD src1_sel:BYTE_3
	v_cndmask_b32_e32 v87, v99, v87, vcc_lo
	v_and_b32_e32 v98, 7, v98
	v_lshl_add_u32 v87, v87, 23, 0x3b800000
	v_cndmask_b32_e32 v86, v86, v98, vcc_lo
	v_and_b32_e32 v98, 0x80000000, v13
	v_lshlrev_b32_e32 v86, 20, v86
	v_or3_b32 v98, v98, v87, v86
.LBB6_12538:                            ;   in Loop: Header=BB6_10551 Depth=3
	s_or_b32 exec_lo, exec_lo, s22
	v_cmp_gt_i16_sdwa s22, v9, v61 src0_sel:BYTE_3 src1_sel:DWORD
	s_mov_b32 s16, 0
	s_and_saveexec_b32 s23, s22
	s_xor_b32 s22, exec_lo, s23
	s_cbranch_execz .LBB6_13295
; %bb.12539:                            ;   in Loop: Header=BB6_10551 Depth=3
	v_cmp_eq_u16_sdwa s73, v9, v62 src0_sel:BYTE_3 src1_sel:DWORD
	s_mov_b32 s16, -1
	s_and_saveexec_b32 s23, s73
; %bb.12540:                            ;   in Loop: Header=BB6_10551 Depth=3
	s_xor_b32 s16, exec_lo, -1
; %bb.12541:                            ;   in Loop: Header=BB6_10551 Depth=3
	s_or_b32 exec_lo, exec_lo, s23
	s_and_b32 s16, s16, exec_lo
	s_or_saveexec_b32 s22, s22
	v_mov_b32_e32 v86, 0x7f800001
	s_xor_b32 exec_lo, exec_lo, s22
	s_cbranch_execnz .LBB6_13296
.LBB6_12542:                            ;   in Loop: Header=BB6_10551 Depth=3
	s_or_b32 exec_lo, exec_lo, s22
	s_and_saveexec_b32 s22, s16
	s_cbranch_execz .LBB6_12544
.LBB6_12543:                            ;   in Loop: Header=BB6_10551 Depth=3
	v_bfe_u32 v86, v9, 24, 3
	v_bfe_u32 v112, v9, 27, 4
	v_ffbh_u32_e32 v87, v86
	v_cmp_eq_u32_e32 vcc_lo, 0, v112
	v_min_u32_e32 v87, 32, v87
	v_subrev_nc_u32_e32 v99, 28, v87
	v_sub_nc_u32_e32 v87, 29, v87
	v_lshlrev_b32_sdwa v99, v99, v9 dst_sel:DWORD dst_unused:UNUSED_PAD src0_sel:DWORD src1_sel:BYTE_3
	v_cndmask_b32_e32 v87, v112, v87, vcc_lo
	v_and_b32_e32 v99, 7, v99
	v_lshl_add_u32 v87, v87, 23, 0x3b800000
	v_cndmask_b32_e32 v86, v86, v99, vcc_lo
	v_and_b32_e32 v99, 0x80000000, v9
	v_lshlrev_b32_e32 v86, 20, v86
	v_or3_b32 v86, v99, v87, v86
.LBB6_12544:                            ;   in Loop: Header=BB6_10551 Depth=3
	s_or_b32 exec_lo, exec_lo, s22
	v_max_f32_e32 v86, v86, v86
	v_max_f32_e32 v87, v98, v98
	s_mov_b32 s16, 0
	v_max_f32_e32 v98, v87, v86
.LBB6_12545:                            ;   in Loop: Header=BB6_10551 Depth=3
	s_and_b32 vcc_lo, exec_lo, s16
	s_cbranch_vccz .LBB6_12559
; %bb.12546:                            ;   in Loop: Header=BB6_10551 Depth=3
	v_cmp_gt_i16_sdwa s22, v13, v61 src0_sel:BYTE_3 src1_sel:DWORD
	s_mov_b32 s16, 0
	s_and_saveexec_b32 s23, s22
	s_xor_b32 s22, exec_lo, s23
	s_cbranch_execz .LBB6_13297
; %bb.12547:                            ;   in Loop: Header=BB6_10551 Depth=3
	v_cmp_eq_u16_sdwa s73, v13, v62 src0_sel:BYTE_3 src1_sel:DWORD
	s_mov_b32 s16, -1
	s_and_saveexec_b32 s23, s73
; %bb.12548:                            ;   in Loop: Header=BB6_10551 Depth=3
	s_xor_b32 s16, exec_lo, -1
; %bb.12549:                            ;   in Loop: Header=BB6_10551 Depth=3
	s_or_b32 exec_lo, exec_lo, s23
	s_and_b32 s16, s16, exec_lo
	s_or_saveexec_b32 s22, s22
	v_mov_b32_e32 v98, 0x7f800001
	s_xor_b32 exec_lo, exec_lo, s22
	s_cbranch_execnz .LBB6_13298
.LBB6_12550:                            ;   in Loop: Header=BB6_10551 Depth=3
	s_or_b32 exec_lo, exec_lo, s22
	s_and_saveexec_b32 s22, s16
	s_cbranch_execz .LBB6_12552
.LBB6_12551:                            ;   in Loop: Header=BB6_10551 Depth=3
	v_bfe_u32 v86, v13, 24, 3
	v_bfe_u32 v99, v13, 27, 4
	v_ffbh_u32_e32 v87, v86
	v_cmp_eq_u32_e32 vcc_lo, 0, v99
	v_min_u32_e32 v87, 32, v87
	v_subrev_nc_u32_e32 v98, 28, v87
	v_sub_nc_u32_e32 v87, 29, v87
	v_lshlrev_b32_sdwa v98, v98, v13 dst_sel:DWORD dst_unused:UNUSED_PAD src0_sel:DWORD src1_sel:BYTE_3
	v_cndmask_b32_e32 v87, v99, v87, vcc_lo
	v_and_b32_e32 v13, 0x80000000, v13
	v_and_b32_e32 v98, 7, v98
	v_lshl_add_u32 v87, v87, 23, 0x3b800000
	v_cndmask_b32_e32 v86, v86, v98, vcc_lo
	v_lshlrev_b32_e32 v86, 20, v86
	v_or3_b32 v98, v13, v87, v86
.LBB6_12552:                            ;   in Loop: Header=BB6_10551 Depth=3
	s_or_b32 exec_lo, exec_lo, s22
	v_cmp_gt_i16_sdwa s22, v9, v61 src0_sel:BYTE_3 src1_sel:DWORD
	s_mov_b32 s16, 0
	s_and_saveexec_b32 s23, s22
	s_xor_b32 s22, exec_lo, s23
	s_cbranch_execz .LBB6_13299
; %bb.12553:                            ;   in Loop: Header=BB6_10551 Depth=3
	v_cmp_eq_u16_sdwa s73, v9, v62 src0_sel:BYTE_3 src1_sel:DWORD
	s_mov_b32 s16, -1
	s_and_saveexec_b32 s23, s73
; %bb.12554:                            ;   in Loop: Header=BB6_10551 Depth=3
	s_xor_b32 s16, exec_lo, -1
; %bb.12555:                            ;   in Loop: Header=BB6_10551 Depth=3
	s_or_b32 exec_lo, exec_lo, s23
	s_and_b32 s16, s16, exec_lo
	s_or_saveexec_b32 s22, s22
	v_mov_b32_e32 v13, 0x7f800001
	s_xor_b32 exec_lo, exec_lo, s22
	s_cbranch_execnz .LBB6_13300
.LBB6_12556:                            ;   in Loop: Header=BB6_10551 Depth=3
	s_or_b32 exec_lo, exec_lo, s22
	s_and_saveexec_b32 s22, s16
	s_cbranch_execz .LBB6_12558
.LBB6_12557:                            ;   in Loop: Header=BB6_10551 Depth=3
	v_bfe_u32 v13, v9, 24, 3
	v_bfe_u32 v99, v9, 27, 4
	v_ffbh_u32_e32 v86, v13
	v_cmp_eq_u32_e32 vcc_lo, 0, v99
	v_min_u32_e32 v86, 32, v86
	v_subrev_nc_u32_e32 v87, 28, v86
	v_sub_nc_u32_e32 v86, 29, v86
	v_lshlrev_b32_sdwa v87, v87, v9 dst_sel:DWORD dst_unused:UNUSED_PAD src0_sel:DWORD src1_sel:BYTE_3
	v_cndmask_b32_e32 v86, v99, v86, vcc_lo
	v_and_b32_e32 v9, 0x80000000, v9
	v_and_b32_e32 v87, 7, v87
	v_lshl_add_u32 v86, v86, 23, 0x3b800000
	v_cndmask_b32_e32 v13, v13, v87, vcc_lo
	v_lshlrev_b32_e32 v13, 20, v13
	v_or3_b32 v13, v9, v86, v13
.LBB6_12558:                            ;   in Loop: Header=BB6_10551 Depth=3
	s_or_b32 exec_lo, exec_lo, s22
	v_max_f32_e32 v9, v13, v13
	v_max_f32_e32 v13, v98, v98
	v_min_f32_e32 v98, v13, v9
.LBB6_12559:                            ;   in Loop: Header=BB6_10551 Depth=3
	v_and_b32_e32 v9, 0x7f800000, v98
	v_cmp_ne_u32_e32 vcc_lo, 0x7f800000, v9
	v_mov_b32_e32 v9, 0x8000
	s_and_saveexec_b32 s22, vcc_lo
	s_cbranch_execz .LBB6_12567
; %bb.12560:                            ;   in Loop: Header=BB6_10551 Depth=3
	v_mov_b32_e32 v9, 0
	s_mov_b32 s23, exec_lo
	v_cmpx_ne_u32_e32 0, v98
	s_cbranch_execz .LBB6_12566
; %bb.12561:                            ;   in Loop: Header=BB6_10551 Depth=3
	v_bfe_u32 v13, v98, 23, 8
	v_and_b32_e32 v9, 0x7fffff, v98
                                        ; implicit-def: $vgpr112
	v_cmp_gt_u32_e64 s16, 0x79, v13
	v_sub_nc_u32_e32 v86, 0x78, v13
	v_cmp_eq_u32_e32 vcc_lo, 0, v13
	v_or_b32_e32 v87, 0x800000, v9
	v_cndmask_b32_e64 v86, 0, v86, s16
	v_cndmask_b32_e32 v9, v87, v9, vcc_lo
	v_cndmask_b32_e64 v86, v86, 0x77, vcc_lo
	v_lshl_add_u32 v87, 0x100000, v86, -1
	v_lshlrev_b32_e64 v99, v86, 0x80000
	v_and_b32_e32 v87, v87, v9
	v_cmp_eq_u32_e64 s16, v87, v99
	v_lshrrev_b32_e32 v87, v86, v9
	v_add_nc_u32_e32 v9, 0xffffff89, v13
	v_lshrrev_b32_e32 v13, 23, v87
	v_cndmask_b32_e64 v9, v9, 0xffffff8a, vcc_lo
	v_xor_b32_e32 v13, 1, v13
	v_add_nc_u32_e32 v9, v86, v9
	v_bfe_u32 v86, v87, 20, 1
	v_add_nc_u32_e32 v86, -1, v86
	v_cndmask_b32_e64 v86, 0, v86, s16
	s_mov_b32 s16, exec_lo
	v_add_nc_u32_e32 v86, v86, v87
	v_and_b32_e32 v86, 0xfffff, v86
	v_add_nc_u32_e32 v99, v86, v87
	v_cmpx_ne_u32_e64 v9, v13
	s_xor_b32 s16, exec_lo, s16
; %bb.12562:                            ;   in Loop: Header=BB6_10551 Depth=3
	v_cmp_lt_u32_e32 vcc_lo, 0xffffff, v99
	v_sub_nc_u32_e32 v9, v9, v13
	v_cndmask_b32_e64 v13, 0, 1, vcc_lo
	v_add_co_ci_u32_e64 v112, null, 0, v9, vcc_lo
	v_lshrrev_b32_e32 v99, v13, v99
; %bb.12563:                            ;   in Loop: Header=BB6_10551 Depth=3
	s_andn2_saveexec_b32 s16, s16
; %bb.12564:                            ;   in Loop: Header=BB6_10551 Depth=3
	v_bfe_u32 v112, v99, 23, 1
; %bb.12565:                            ;   in Loop: Header=BB6_10551 Depth=3
	s_or_b32 exec_lo, exec_lo, s16
	v_lshrrev_b32_e32 v13, 20, v99
	v_min_i32_e32 v86, 15, v112
	v_cmp_gt_i32_e32 vcc_lo, 16, v112
	v_and_b32_sdwa v9, v98, v62 dst_sel:DWORD dst_unused:UNUSED_PAD src0_sel:BYTE_3 src1_sel:DWORD
	v_lshlrev_b32_e32 v86, 3, v86
	v_cndmask_b32_e32 v13, 7, v13, vcc_lo
	v_and_b32_e32 v86, 0xf8, v86
	v_or_b32_e32 v87, v112, v13
	v_and_b32_e32 v13, 7, v13
	v_cmp_ne_u32_e32 vcc_lo, 0, v87
	v_or3_b32 v9, v9, v86, v13
	v_lshlrev_b32_e32 v9, 8, v9
	v_cndmask_b32_e32 v9, 0, v9, vcc_lo
.LBB6_12566:                            ;   in Loop: Header=BB6_10551 Depth=3
	s_or_b32 exec_lo, exec_lo, s23
.LBB6_12567:                            ;   in Loop: Header=BB6_10551 Depth=3
	s_or_b32 exec_lo, exec_lo, s22
	v_cmp_gt_i16_sdwa s23, v14, v61 src0_sel:BYTE_0 src1_sel:DWORD
	s_andn2_b32 vcc_lo, exec_lo, s19
	s_mov_b32 s16, -1
                                        ; implicit-def: $vgpr98
	s_cbranch_vccnz .LBB6_12581
; %bb.12568:                            ;   in Loop: Header=BB6_10551 Depth=3
	s_mov_b32 s22, 0
	s_and_saveexec_b32 s16, s23
	s_xor_b32 s16, exec_lo, s16
	s_cbranch_execz .LBB6_13301
; %bb.12569:                            ;   in Loop: Header=BB6_10551 Depth=3
	v_cmp_eq_u16_sdwa s73, v14, v62 src0_sel:BYTE_0 src1_sel:DWORD
	s_mov_b32 s22, -1
	s_and_saveexec_b32 s23, s73
; %bb.12570:                            ;   in Loop: Header=BB6_10551 Depth=3
	s_xor_b32 s22, exec_lo, -1
; %bb.12571:                            ;   in Loop: Header=BB6_10551 Depth=3
	s_or_b32 exec_lo, exec_lo, s23
	s_and_b32 s22, s22, exec_lo
	s_or_saveexec_b32 s16, s16
	v_mov_b32_e32 v13, 0x7f800001
	s_xor_b32 exec_lo, exec_lo, s16
	s_cbranch_execnz .LBB6_13302
.LBB6_12572:                            ;   in Loop: Header=BB6_10551 Depth=3
	s_or_b32 exec_lo, exec_lo, s16
	s_and_saveexec_b32 s16, s22
	s_cbranch_execz .LBB6_12574
.LBB6_12573:                            ;   in Loop: Header=BB6_10551 Depth=3
	v_and_b32_e32 v13, 7, v14
	v_bfe_u32 v86, v14, 3, 4
	v_ffbh_u32_e32 v87, v13
	v_cmp_eq_u32_e32 vcc_lo, 0, v86
	v_min_u32_e32 v87, 32, v87
	v_subrev_nc_u32_e32 v98, 28, v87
	v_sub_nc_u32_e32 v87, 29, v87
	v_lshlrev_b32_e32 v98, v98, v14
	v_cndmask_b32_e32 v86, v86, v87, vcc_lo
	v_lshlrev_b32_e32 v87, 24, v14
	v_and_b32_e32 v98, 7, v98
	v_lshl_add_u32 v86, v86, 23, 0x3b800000
	v_and_b32_e32 v87, 0x80000000, v87
	v_cndmask_b32_e32 v13, v13, v98, vcc_lo
	v_lshlrev_b32_e32 v13, 20, v13
	v_or3_b32 v13, v87, v86, v13
.LBB6_12574:                            ;   in Loop: Header=BB6_10551 Depth=3
	s_or_b32 exec_lo, exec_lo, s16
	v_cmp_gt_i16_sdwa s16, v10, v61 src0_sel:BYTE_0 src1_sel:DWORD
	s_mov_b32 s22, 0
	s_and_saveexec_b32 s23, s16
	s_xor_b32 s16, exec_lo, s23
	s_cbranch_execz .LBB6_13303
; %bb.12575:                            ;   in Loop: Header=BB6_10551 Depth=3
	v_cmp_eq_u16_sdwa s73, v10, v62 src0_sel:BYTE_0 src1_sel:DWORD
	s_mov_b32 s22, -1
	s_and_saveexec_b32 s23, s73
; %bb.12576:                            ;   in Loop: Header=BB6_10551 Depth=3
	s_xor_b32 s22, exec_lo, -1
; %bb.12577:                            ;   in Loop: Header=BB6_10551 Depth=3
	s_or_b32 exec_lo, exec_lo, s23
	s_and_b32 s22, s22, exec_lo
	s_or_saveexec_b32 s16, s16
	v_mov_b32_e32 v86, 0x7f800001
	s_xor_b32 exec_lo, exec_lo, s16
	s_cbranch_execnz .LBB6_13304
.LBB6_12578:                            ;   in Loop: Header=BB6_10551 Depth=3
	s_or_b32 exec_lo, exec_lo, s16
	s_and_saveexec_b32 s16, s22
	s_cbranch_execz .LBB6_12580
.LBB6_12579:                            ;   in Loop: Header=BB6_10551 Depth=3
	v_and_b32_e32 v86, 7, v10
	v_bfe_u32 v87, v10, 3, 4
	v_ffbh_u32_e32 v98, v86
	v_cmp_eq_u32_e32 vcc_lo, 0, v87
	v_min_u32_e32 v98, 32, v98
	v_subrev_nc_u32_e32 v99, 28, v98
	v_sub_nc_u32_e32 v98, 29, v98
	v_lshlrev_b32_e32 v99, v99, v10
	v_cndmask_b32_e32 v87, v87, v98, vcc_lo
	v_lshlrev_b32_e32 v98, 24, v10
	v_and_b32_e32 v99, 7, v99
	v_lshl_add_u32 v87, v87, 23, 0x3b800000
	v_and_b32_e32 v98, 0x80000000, v98
	v_cndmask_b32_e32 v86, v86, v99, vcc_lo
	v_lshlrev_b32_e32 v86, 20, v86
	v_or3_b32 v86, v98, v87, v86
.LBB6_12580:                            ;   in Loop: Header=BB6_10551 Depth=3
	s_or_b32 exec_lo, exec_lo, s16
	v_max_f32_e32 v86, v86, v86
	v_max_f32_e32 v13, v13, v13
	s_mov_b32 s16, 0
	v_max_f32_e32 v98, v13, v86
.LBB6_12581:                            ;   in Loop: Header=BB6_10551 Depth=3
	s_and_b32 vcc_lo, exec_lo, s16
	s_cbranch_vccz .LBB6_12595
; %bb.12582:                            ;   in Loop: Header=BB6_10551 Depth=3
	v_cmp_gt_i16_sdwa s16, v14, v61 src0_sel:BYTE_0 src1_sel:DWORD
	s_mov_b32 s22, 0
	s_and_saveexec_b32 s23, s16
	s_xor_b32 s16, exec_lo, s23
	s_cbranch_execz .LBB6_13305
; %bb.12583:                            ;   in Loop: Header=BB6_10551 Depth=3
	v_cmp_eq_u16_sdwa s73, v14, v62 src0_sel:BYTE_0 src1_sel:DWORD
	s_mov_b32 s22, -1
	s_and_saveexec_b32 s23, s73
; %bb.12584:                            ;   in Loop: Header=BB6_10551 Depth=3
	s_xor_b32 s22, exec_lo, -1
; %bb.12585:                            ;   in Loop: Header=BB6_10551 Depth=3
	s_or_b32 exec_lo, exec_lo, s23
	s_and_b32 s22, s22, exec_lo
	s_or_saveexec_b32 s16, s16
	v_mov_b32_e32 v13, 0x7f800001
	s_xor_b32 exec_lo, exec_lo, s16
	s_cbranch_execnz .LBB6_13306
.LBB6_12586:                            ;   in Loop: Header=BB6_10551 Depth=3
	s_or_b32 exec_lo, exec_lo, s16
	s_and_saveexec_b32 s16, s22
	s_cbranch_execz .LBB6_12588
.LBB6_12587:                            ;   in Loop: Header=BB6_10551 Depth=3
	v_and_b32_e32 v13, 7, v14
	v_bfe_u32 v86, v14, 3, 4
	v_ffbh_u32_e32 v87, v13
	v_cmp_eq_u32_e32 vcc_lo, 0, v86
	v_min_u32_e32 v87, 32, v87
	v_subrev_nc_u32_e32 v98, 28, v87
	v_sub_nc_u32_e32 v87, 29, v87
	v_lshlrev_b32_e32 v98, v98, v14
	v_cndmask_b32_e32 v86, v86, v87, vcc_lo
	v_lshlrev_b32_e32 v87, 24, v14
	v_and_b32_e32 v98, 7, v98
	v_lshl_add_u32 v86, v86, 23, 0x3b800000
	v_and_b32_e32 v87, 0x80000000, v87
	v_cndmask_b32_e32 v13, v13, v98, vcc_lo
	v_lshlrev_b32_e32 v13, 20, v13
	v_or3_b32 v13, v87, v86, v13
.LBB6_12588:                            ;   in Loop: Header=BB6_10551 Depth=3
	s_or_b32 exec_lo, exec_lo, s16
	v_cmp_gt_i16_sdwa s16, v10, v61 src0_sel:BYTE_0 src1_sel:DWORD
	s_mov_b32 s22, 0
	s_and_saveexec_b32 s23, s16
	s_xor_b32 s16, exec_lo, s23
	s_cbranch_execz .LBB6_13307
; %bb.12589:                            ;   in Loop: Header=BB6_10551 Depth=3
	v_cmp_eq_u16_sdwa s73, v10, v62 src0_sel:BYTE_0 src1_sel:DWORD
	s_mov_b32 s22, -1
	s_and_saveexec_b32 s23, s73
; %bb.12590:                            ;   in Loop: Header=BB6_10551 Depth=3
	s_xor_b32 s22, exec_lo, -1
; %bb.12591:                            ;   in Loop: Header=BB6_10551 Depth=3
	s_or_b32 exec_lo, exec_lo, s23
	s_and_b32 s22, s22, exec_lo
	s_or_saveexec_b32 s16, s16
	v_mov_b32_e32 v86, 0x7f800001
	s_xor_b32 exec_lo, exec_lo, s16
	s_cbranch_execnz .LBB6_13308
.LBB6_12592:                            ;   in Loop: Header=BB6_10551 Depth=3
	s_or_b32 exec_lo, exec_lo, s16
	s_and_saveexec_b32 s16, s22
	s_cbranch_execz .LBB6_12594
.LBB6_12593:                            ;   in Loop: Header=BB6_10551 Depth=3
	v_and_b32_e32 v86, 7, v10
	v_bfe_u32 v87, v10, 3, 4
	v_ffbh_u32_e32 v98, v86
	v_cmp_eq_u32_e32 vcc_lo, 0, v87
	v_min_u32_e32 v98, 32, v98
	v_subrev_nc_u32_e32 v99, 28, v98
	v_sub_nc_u32_e32 v98, 29, v98
	v_lshlrev_b32_e32 v99, v99, v10
	v_cndmask_b32_e32 v87, v87, v98, vcc_lo
	v_lshlrev_b32_e32 v98, 24, v10
	v_and_b32_e32 v99, 7, v99
	v_lshl_add_u32 v87, v87, 23, 0x3b800000
	v_and_b32_e32 v98, 0x80000000, v98
	v_cndmask_b32_e32 v86, v86, v99, vcc_lo
	v_lshlrev_b32_e32 v86, 20, v86
	v_or3_b32 v86, v98, v87, v86
.LBB6_12594:                            ;   in Loop: Header=BB6_10551 Depth=3
	s_or_b32 exec_lo, exec_lo, s16
	v_max_f32_e32 v86, v86, v86
	v_max_f32_e32 v13, v13, v13
	v_min_f32_e32 v98, v13, v86
.LBB6_12595:                            ;   in Loop: Header=BB6_10551 Depth=3
	v_and_b32_e32 v13, 0x7f800000, v98
	v_cmp_ne_u32_e32 vcc_lo, 0x7f800000, v13
	v_mov_b32_e32 v13, 0x80
	s_and_saveexec_b32 s22, vcc_lo
	s_cbranch_execz .LBB6_12603
; %bb.12596:                            ;   in Loop: Header=BB6_10551 Depth=3
	v_mov_b32_e32 v13, 0
	s_mov_b32 s23, exec_lo
	v_cmpx_ne_u32_e32 0, v98
	s_cbranch_execz .LBB6_12602
; %bb.12597:                            ;   in Loop: Header=BB6_10551 Depth=3
	v_bfe_u32 v86, v98, 23, 8
	v_and_b32_e32 v13, 0x7fffff, v98
                                        ; implicit-def: $vgpr113
	v_cmp_gt_u32_e64 s16, 0x79, v86
	v_sub_nc_u32_e32 v87, 0x78, v86
	v_cmp_eq_u32_e32 vcc_lo, 0, v86
	v_or_b32_e32 v99, 0x800000, v13
	v_cndmask_b32_e64 v87, 0, v87, s16
	v_cndmask_b32_e32 v13, v99, v13, vcc_lo
	v_cndmask_b32_e64 v87, v87, 0x77, vcc_lo
	v_lshl_add_u32 v99, 0x100000, v87, -1
	v_lshlrev_b32_e64 v112, v87, 0x80000
	v_and_b32_e32 v99, v99, v13
	v_cmp_eq_u32_e64 s16, v99, v112
	v_lshrrev_b32_e32 v112, v87, v13
	v_add_nc_u32_e32 v13, 0xffffff89, v86
	v_lshrrev_b32_e32 v86, 23, v112
	v_cndmask_b32_e64 v13, v13, 0xffffff8a, vcc_lo
	v_xor_b32_e32 v99, 1, v86
	v_bfe_u32 v86, v112, 20, 1
	v_add_nc_u32_e32 v13, v87, v13
	v_add_nc_u32_e32 v86, -1, v86
	v_cndmask_b32_e64 v86, 0, v86, s16
	s_mov_b32 s16, exec_lo
	v_add_nc_u32_e32 v86, v86, v112
	v_and_b32_e32 v86, 0xfffff, v86
	v_add_nc_u32_e32 v112, v86, v112
	v_cmpx_ne_u32_e64 v13, v99
	s_xor_b32 s16, exec_lo, s16
; %bb.12598:                            ;   in Loop: Header=BB6_10551 Depth=3
	v_cmp_lt_u32_e32 vcc_lo, 0xffffff, v112
	v_sub_nc_u32_e32 v13, v13, v99
	v_cndmask_b32_e64 v86, 0, 1, vcc_lo
	v_add_co_ci_u32_e64 v113, null, 0, v13, vcc_lo
	v_lshrrev_b32_e32 v112, v86, v112
; %bb.12599:                            ;   in Loop: Header=BB6_10551 Depth=3
	s_andn2_saveexec_b32 s16, s16
; %bb.12600:                            ;   in Loop: Header=BB6_10551 Depth=3
	v_bfe_u32 v113, v112, 23, 1
; %bb.12601:                            ;   in Loop: Header=BB6_10551 Depth=3
	s_or_b32 exec_lo, exec_lo, s16
	v_lshrrev_b32_e32 v86, 20, v112
	v_min_i32_e32 v87, 15, v113
	v_cmp_gt_i32_e32 vcc_lo, 16, v113
	v_and_b32_sdwa v13, v98, v62 dst_sel:DWORD dst_unused:UNUSED_PAD src0_sel:BYTE_3 src1_sel:DWORD
	v_lshlrev_b32_e32 v87, 3, v87
	v_cndmask_b32_e32 v86, 7, v86, vcc_lo
	v_and_b32_e32 v87, 0xf8, v87
	v_or_b32_e32 v98, v113, v86
	v_and_b32_e32 v86, 7, v86
	v_cmp_ne_u32_e32 vcc_lo, 0, v98
	v_or3_b32 v13, v87, v13, v86
	v_cndmask_b32_e32 v13, 0, v13, vcc_lo
.LBB6_12602:                            ;   in Loop: Header=BB6_10551 Depth=3
	s_or_b32 exec_lo, exec_lo, s23
.LBB6_12603:                            ;   in Loop: Header=BB6_10551 Depth=3
	s_or_b32 exec_lo, exec_lo, s22
	v_cmp_gt_i16_sdwa s22, v14, v61 src0_sel:BYTE_1 src1_sel:DWORD
	s_andn2_b32 vcc_lo, exec_lo, s19
	s_mov_b32 s16, -1
                                        ; implicit-def: $vgpr99
	s_cbranch_vccnz .LBB6_12617
; %bb.12604:                            ;   in Loop: Header=BB6_10551 Depth=3
	s_mov_b32 s16, 0
	s_and_saveexec_b32 s23, s22
	s_xor_b32 s22, exec_lo, s23
	s_cbranch_execz .LBB6_13309
; %bb.12605:                            ;   in Loop: Header=BB6_10551 Depth=3
	v_cmp_eq_u16_sdwa s73, v14, v62 src0_sel:BYTE_1 src1_sel:DWORD
	s_mov_b32 s16, -1
	s_and_saveexec_b32 s23, s73
; %bb.12606:                            ;   in Loop: Header=BB6_10551 Depth=3
	s_xor_b32 s16, exec_lo, -1
; %bb.12607:                            ;   in Loop: Header=BB6_10551 Depth=3
	s_or_b32 exec_lo, exec_lo, s23
	s_and_b32 s16, s16, exec_lo
	s_or_saveexec_b32 s22, s22
	v_mov_b32_e32 v98, 0x7f800001
	s_xor_b32 exec_lo, exec_lo, s22
	s_cbranch_execnz .LBB6_13310
.LBB6_12608:                            ;   in Loop: Header=BB6_10551 Depth=3
	s_or_b32 exec_lo, exec_lo, s22
	s_and_saveexec_b32 s22, s16
	s_cbranch_execz .LBB6_12610
.LBB6_12609:                            ;   in Loop: Header=BB6_10551 Depth=3
	v_and_b32_sdwa v86, v63, v14 dst_sel:DWORD dst_unused:UNUSED_PAD src0_sel:DWORD src1_sel:BYTE_1
	v_and_b32_e32 v87, 7, v86
	v_bfe_u32 v112, v86, 3, 4
	v_ffbh_u32_e32 v98, v87
	v_cmp_eq_u32_e32 vcc_lo, 0, v112
	v_min_u32_e32 v98, 32, v98
	v_subrev_nc_u32_e32 v99, 28, v98
	v_sub_nc_u32_e32 v98, 29, v98
	v_lshlrev_b32_e32 v86, v99, v86
	v_lshlrev_b32_e32 v99, 16, v14
	v_cndmask_b32_e32 v98, v112, v98, vcc_lo
	v_and_b32_e32 v86, 7, v86
	v_lshl_add_u32 v98, v98, 23, 0x3b800000
	v_cndmask_b32_e32 v86, v87, v86, vcc_lo
	v_and_b32_e32 v87, 0x80000000, v99
	v_lshlrev_b32_e32 v86, 20, v86
	v_or3_b32 v98, v87, v98, v86
.LBB6_12610:                            ;   in Loop: Header=BB6_10551 Depth=3
	s_or_b32 exec_lo, exec_lo, s22
	v_cmp_gt_i16_sdwa s22, v10, v61 src0_sel:BYTE_1 src1_sel:DWORD
	s_mov_b32 s16, 0
	s_and_saveexec_b32 s23, s22
	s_xor_b32 s22, exec_lo, s23
	s_cbranch_execz .LBB6_13311
; %bb.12611:                            ;   in Loop: Header=BB6_10551 Depth=3
	v_cmp_eq_u16_sdwa s73, v10, v62 src0_sel:BYTE_1 src1_sel:DWORD
	s_mov_b32 s16, -1
	s_and_saveexec_b32 s23, s73
; %bb.12612:                            ;   in Loop: Header=BB6_10551 Depth=3
	s_xor_b32 s16, exec_lo, -1
; %bb.12613:                            ;   in Loop: Header=BB6_10551 Depth=3
	s_or_b32 exec_lo, exec_lo, s23
	s_and_b32 s16, s16, exec_lo
	s_or_saveexec_b32 s22, s22
	v_mov_b32_e32 v86, 0x7f800001
	s_xor_b32 exec_lo, exec_lo, s22
	s_cbranch_execnz .LBB6_13312
.LBB6_12614:                            ;   in Loop: Header=BB6_10551 Depth=3
	s_or_b32 exec_lo, exec_lo, s22
	s_and_saveexec_b32 s22, s16
	s_cbranch_execz .LBB6_12616
.LBB6_12615:                            ;   in Loop: Header=BB6_10551 Depth=3
	v_and_b32_sdwa v86, v63, v10 dst_sel:DWORD dst_unused:UNUSED_PAD src0_sel:DWORD src1_sel:BYTE_1
	v_and_b32_e32 v87, 7, v86
	v_bfe_u32 v113, v86, 3, 4
	v_ffbh_u32_e32 v99, v87
	v_cmp_eq_u32_e32 vcc_lo, 0, v113
	v_min_u32_e32 v99, 32, v99
	v_subrev_nc_u32_e32 v112, 28, v99
	v_sub_nc_u32_e32 v99, 29, v99
	v_lshlrev_b32_e32 v86, v112, v86
	v_lshlrev_b32_e32 v112, 16, v10
	v_cndmask_b32_e32 v99, v113, v99, vcc_lo
	v_and_b32_e32 v86, 7, v86
	v_lshl_add_u32 v99, v99, 23, 0x3b800000
	v_cndmask_b32_e32 v86, v87, v86, vcc_lo
	v_and_b32_e32 v87, 0x80000000, v112
	v_lshlrev_b32_e32 v86, 20, v86
	v_or3_b32 v86, v87, v99, v86
.LBB6_12616:                            ;   in Loop: Header=BB6_10551 Depth=3
	s_or_b32 exec_lo, exec_lo, s22
	v_max_f32_e32 v86, v86, v86
	v_max_f32_e32 v87, v98, v98
	s_mov_b32 s16, 0
	v_max_f32_e32 v99, v87, v86
.LBB6_12617:                            ;   in Loop: Header=BB6_10551 Depth=3
	s_and_b32 vcc_lo, exec_lo, s16
	s_cbranch_vccz .LBB6_12631
; %bb.12618:                            ;   in Loop: Header=BB6_10551 Depth=3
	v_cmp_gt_i16_sdwa s22, v14, v61 src0_sel:BYTE_1 src1_sel:DWORD
	s_mov_b32 s16, 0
	s_and_saveexec_b32 s23, s22
	s_xor_b32 s22, exec_lo, s23
	s_cbranch_execz .LBB6_13313
; %bb.12619:                            ;   in Loop: Header=BB6_10551 Depth=3
	v_cmp_eq_u16_sdwa s73, v14, v62 src0_sel:BYTE_1 src1_sel:DWORD
	s_mov_b32 s16, -1
	s_and_saveexec_b32 s23, s73
; %bb.12620:                            ;   in Loop: Header=BB6_10551 Depth=3
	s_xor_b32 s16, exec_lo, -1
; %bb.12621:                            ;   in Loop: Header=BB6_10551 Depth=3
	s_or_b32 exec_lo, exec_lo, s23
	s_and_b32 s16, s16, exec_lo
	s_or_saveexec_b32 s22, s22
	v_mov_b32_e32 v98, 0x7f800001
	s_xor_b32 exec_lo, exec_lo, s22
	s_cbranch_execnz .LBB6_13314
.LBB6_12622:                            ;   in Loop: Header=BB6_10551 Depth=3
	s_or_b32 exec_lo, exec_lo, s22
	s_and_saveexec_b32 s22, s16
	s_cbranch_execz .LBB6_12624
.LBB6_12623:                            ;   in Loop: Header=BB6_10551 Depth=3
	v_and_b32_sdwa v86, v63, v14 dst_sel:DWORD dst_unused:UNUSED_PAD src0_sel:DWORD src1_sel:BYTE_1
	v_and_b32_e32 v87, 7, v86
	v_bfe_u32 v112, v86, 3, 4
	v_ffbh_u32_e32 v98, v87
	v_cmp_eq_u32_e32 vcc_lo, 0, v112
	v_min_u32_e32 v98, 32, v98
	v_subrev_nc_u32_e32 v99, 28, v98
	v_sub_nc_u32_e32 v98, 29, v98
	v_lshlrev_b32_e32 v86, v99, v86
	v_lshlrev_b32_e32 v99, 16, v14
	v_cndmask_b32_e32 v98, v112, v98, vcc_lo
	v_and_b32_e32 v86, 7, v86
	v_lshl_add_u32 v98, v98, 23, 0x3b800000
	v_cndmask_b32_e32 v86, v87, v86, vcc_lo
	v_and_b32_e32 v87, 0x80000000, v99
	v_lshlrev_b32_e32 v86, 20, v86
	v_or3_b32 v98, v87, v98, v86
.LBB6_12624:                            ;   in Loop: Header=BB6_10551 Depth=3
	s_or_b32 exec_lo, exec_lo, s22
	v_cmp_gt_i16_sdwa s22, v10, v61 src0_sel:BYTE_1 src1_sel:DWORD
	s_mov_b32 s16, 0
	s_and_saveexec_b32 s23, s22
	s_xor_b32 s22, exec_lo, s23
	s_cbranch_execz .LBB6_13315
; %bb.12625:                            ;   in Loop: Header=BB6_10551 Depth=3
	v_cmp_eq_u16_sdwa s73, v10, v62 src0_sel:BYTE_1 src1_sel:DWORD
	s_mov_b32 s16, -1
	s_and_saveexec_b32 s23, s73
; %bb.12626:                            ;   in Loop: Header=BB6_10551 Depth=3
	s_xor_b32 s16, exec_lo, -1
; %bb.12627:                            ;   in Loop: Header=BB6_10551 Depth=3
	s_or_b32 exec_lo, exec_lo, s23
	s_and_b32 s16, s16, exec_lo
	s_or_saveexec_b32 s22, s22
	v_mov_b32_e32 v86, 0x7f800001
	s_xor_b32 exec_lo, exec_lo, s22
	s_cbranch_execnz .LBB6_13316
.LBB6_12628:                            ;   in Loop: Header=BB6_10551 Depth=3
	s_or_b32 exec_lo, exec_lo, s22
	s_and_saveexec_b32 s22, s16
	s_cbranch_execz .LBB6_12630
.LBB6_12629:                            ;   in Loop: Header=BB6_10551 Depth=3
	v_and_b32_sdwa v86, v63, v10 dst_sel:DWORD dst_unused:UNUSED_PAD src0_sel:DWORD src1_sel:BYTE_1
	v_and_b32_e32 v87, 7, v86
	v_bfe_u32 v113, v86, 3, 4
	v_ffbh_u32_e32 v99, v87
	v_cmp_eq_u32_e32 vcc_lo, 0, v113
	v_min_u32_e32 v99, 32, v99
	v_subrev_nc_u32_e32 v112, 28, v99
	v_sub_nc_u32_e32 v99, 29, v99
	v_lshlrev_b32_e32 v86, v112, v86
	v_lshlrev_b32_e32 v112, 16, v10
	v_cndmask_b32_e32 v99, v113, v99, vcc_lo
	v_and_b32_e32 v86, 7, v86
	v_lshl_add_u32 v99, v99, 23, 0x3b800000
	v_cndmask_b32_e32 v86, v87, v86, vcc_lo
	v_and_b32_e32 v87, 0x80000000, v112
	v_lshlrev_b32_e32 v86, 20, v86
	v_or3_b32 v86, v87, v99, v86
.LBB6_12630:                            ;   in Loop: Header=BB6_10551 Depth=3
	s_or_b32 exec_lo, exec_lo, s22
	v_max_f32_e32 v86, v86, v86
	v_max_f32_e32 v87, v98, v98
	v_min_f32_e32 v99, v87, v86
.LBB6_12631:                            ;   in Loop: Header=BB6_10551 Depth=3
	v_and_b32_e32 v86, 0x7f800000, v99
	v_mov_b32_e32 v98, 0x8000
	s_mov_b32 s22, exec_lo
	v_cmpx_ne_u32_e32 0x7f800000, v86
	s_cbranch_execz .LBB6_12639
; %bb.12632:                            ;   in Loop: Header=BB6_10551 Depth=3
	v_mov_b32_e32 v98, 0
	s_mov_b32 s23, exec_lo
	v_cmpx_ne_u32_e32 0, v99
	s_cbranch_execz .LBB6_12638
; %bb.12633:                            ;   in Loop: Header=BB6_10551 Depth=3
	v_bfe_u32 v87, v99, 23, 8
	v_and_b32_e32 v86, 0x7fffff, v99
                                        ; implicit-def: $vgpr46
	v_cmp_gt_u32_e64 s16, 0x79, v87
	v_sub_nc_u32_e32 v98, 0x78, v87
	v_cmp_eq_u32_e32 vcc_lo, 0, v87
	v_or_b32_e32 v112, 0x800000, v86
	v_add_nc_u32_e32 v87, 0xffffff89, v87
	v_cndmask_b32_e64 v98, 0, v98, s16
	v_cndmask_b32_e32 v86, v112, v86, vcc_lo
	v_cndmask_b32_e64 v87, v87, 0xffffff8a, vcc_lo
	v_cndmask_b32_e64 v98, v98, 0x77, vcc_lo
	v_lshl_add_u32 v112, 0x100000, v98, -1
	v_lshlrev_b32_e64 v113, v98, 0x80000
	v_and_b32_e32 v112, v112, v86
	v_lshrrev_b32_e32 v86, v98, v86
	v_add_nc_u32_e32 v98, v98, v87
	v_cmp_eq_u32_e64 s16, v112, v113
	v_lshrrev_b32_e32 v87, 23, v86
	v_xor_b32_e32 v112, 1, v87
	v_bfe_u32 v87, v86, 20, 1
	v_add_nc_u32_e32 v87, -1, v87
	v_cndmask_b32_e64 v87, 0, v87, s16
	s_mov_b32 s16, exec_lo
	v_add_nc_u32_e32 v87, v87, v86
	v_and_b32_e32 v87, 0xfffff, v87
	v_add_nc_u32_e32 v113, v87, v86
	v_cmpx_ne_u32_e64 v98, v112
	s_xor_b32 s16, exec_lo, s16
; %bb.12634:                            ;   in Loop: Header=BB6_10551 Depth=3
	v_cmp_lt_u32_e32 vcc_lo, 0xffffff, v113
	v_sub_nc_u32_e32 v86, v98, v112
	v_cndmask_b32_e64 v87, 0, 1, vcc_lo
	v_add_co_ci_u32_e64 v46, null, 0, v86, vcc_lo
	v_lshrrev_b32_e32 v113, v87, v113
; %bb.12635:                            ;   in Loop: Header=BB6_10551 Depth=3
	s_andn2_saveexec_b32 s16, s16
; %bb.12636:                            ;   in Loop: Header=BB6_10551 Depth=3
	v_bfe_u32 v46, v113, 23, 1
; %bb.12637:                            ;   in Loop: Header=BB6_10551 Depth=3
	s_or_b32 exec_lo, exec_lo, s16
	v_lshrrev_b32_e32 v87, 20, v113
	v_min_i32_e32 v98, 15, v46
	v_cmp_gt_i32_e32 vcc_lo, 16, v46
	v_and_b32_sdwa v86, v99, v62 dst_sel:DWORD dst_unused:UNUSED_PAD src0_sel:BYTE_3 src1_sel:DWORD
	v_lshlrev_b32_e32 v98, 3, v98
	v_cndmask_b32_e32 v87, 7, v87, vcc_lo
	v_and_b32_e32 v98, 0xf8, v98
	v_or_b32_e32 v99, v46, v87
	v_and_b32_e32 v87, 7, v87
	v_cmp_ne_u32_e32 vcc_lo, 0, v99
	v_or3_b32 v86, v86, v98, v87
	v_lshlrev_b32_e32 v86, 8, v86
	v_cndmask_b32_e32 v98, 0, v86, vcc_lo
.LBB6_12638:                            ;   in Loop: Header=BB6_10551 Depth=3
	s_or_b32 exec_lo, exec_lo, s23
.LBB6_12639:                            ;   in Loop: Header=BB6_10551 Depth=3
	s_or_b32 exec_lo, exec_lo, s22
	v_and_b32_sdwa v99, v14, v72 dst_sel:DWORD dst_unused:UNUSED_PAD src0_sel:WORD_1 src1_sel:DWORD
	s_andn2_b32 vcc_lo, exec_lo, s19
	s_mov_b32 s22, -1
                                        ; implicit-def: $vgpr112
	v_cmp_lt_i16_e64 s16, 0x7f, v99
	s_cbranch_vccnz .LBB6_12653
; %bb.12640:                            ;   in Loop: Header=BB6_10551 Depth=3
	s_mov_b32 s22, 0
	s_and_saveexec_b32 s23, s16
	s_xor_b32 s16, exec_lo, s23
	s_cbranch_execz .LBB6_13317
; %bb.12641:                            ;   in Loop: Header=BB6_10551 Depth=3
	s_mov_b32 s22, -1
	s_mov_b32 s23, exec_lo
	v_cmpx_eq_u16_e32 0x80, v99
; %bb.12642:                            ;   in Loop: Header=BB6_10551 Depth=3
	s_xor_b32 s22, exec_lo, -1
; %bb.12643:                            ;   in Loop: Header=BB6_10551 Depth=3
	s_or_b32 exec_lo, exec_lo, s23
	s_and_b32 s22, s22, exec_lo
	s_or_saveexec_b32 s16, s16
	v_mov_b32_e32 v112, 0x7f800001
	s_xor_b32 exec_lo, exec_lo, s16
	s_cbranch_execnz .LBB6_13318
.LBB6_12644:                            ;   in Loop: Header=BB6_10551 Depth=3
	s_or_b32 exec_lo, exec_lo, s16
	s_and_saveexec_b32 s16, s22
	s_cbranch_execz .LBB6_12646
.LBB6_12645:                            ;   in Loop: Header=BB6_10551 Depth=3
	v_bfe_u32 v86, v14, 16, 3
	v_bfe_u32 v87, v14, 19, 4
	v_ffbh_u32_e32 v112, v86
	v_cmp_eq_u32_e32 vcc_lo, 0, v87
	v_min_u32_e32 v112, 32, v112
	v_subrev_nc_u32_e32 v113, 28, v112
	v_sub_nc_u32_e32 v112, 29, v112
	v_lshlrev_b32_sdwa v113, v113, v14 dst_sel:DWORD dst_unused:UNUSED_PAD src0_sel:DWORD src1_sel:WORD_1
	v_cndmask_b32_e32 v87, v87, v112, vcc_lo
	v_lshlrev_b32_sdwa v112, v73, v14 dst_sel:DWORD dst_unused:UNUSED_PAD src0_sel:DWORD src1_sel:WORD_1
	v_and_b32_e32 v113, 7, v113
	v_lshl_add_u32 v87, v87, 23, 0x3b800000
	v_and_b32_e32 v112, 0x80000000, v112
	v_cndmask_b32_e32 v86, v86, v113, vcc_lo
	v_lshlrev_b32_e32 v86, 20, v86
	v_or3_b32 v112, v112, v87, v86
.LBB6_12646:                            ;   in Loop: Header=BB6_10551 Depth=3
	s_or_b32 exec_lo, exec_lo, s16
	v_and_b32_sdwa v87, v10, v72 dst_sel:DWORD dst_unused:UNUSED_PAD src0_sel:WORD_1 src1_sel:DWORD
	s_mov_b32 s22, 0
	s_mov_b32 s16, exec_lo
	v_cmpx_lt_i16_e32 0x7f, v87
	s_xor_b32 s16, exec_lo, s16
	s_cbranch_execz .LBB6_13319
; %bb.12647:                            ;   in Loop: Header=BB6_10551 Depth=3
	s_mov_b32 s22, -1
	s_mov_b32 s23, exec_lo
	v_cmpx_eq_u16_e32 0x80, v87
; %bb.12648:                            ;   in Loop: Header=BB6_10551 Depth=3
	s_xor_b32 s22, exec_lo, -1
; %bb.12649:                            ;   in Loop: Header=BB6_10551 Depth=3
	s_or_b32 exec_lo, exec_lo, s23
	s_and_b32 s22, s22, exec_lo
                                        ; implicit-def: $vgpr87
	s_or_saveexec_b32 s16, s16
	v_mov_b32_e32 v86, 0x7f800001
	s_xor_b32 exec_lo, exec_lo, s16
	s_cbranch_execnz .LBB6_13320
.LBB6_12650:                            ;   in Loop: Header=BB6_10551 Depth=3
	s_or_b32 exec_lo, exec_lo, s16
	s_and_saveexec_b32 s16, s22
	s_cbranch_execz .LBB6_12652
.LBB6_12651:                            ;   in Loop: Header=BB6_10551 Depth=3
	v_bfe_u32 v86, v10, 16, 3
	v_bfe_u32 v87, v10, 19, 4
	v_ffbh_u32_e32 v113, v86
	v_cmp_eq_u32_e32 vcc_lo, 0, v87
	v_min_u32_e32 v113, 32, v113
	v_subrev_nc_u32_e32 v46, 28, v113
	v_sub_nc_u32_e32 v113, 29, v113
	v_lshlrev_b32_sdwa v46, v46, v10 dst_sel:DWORD dst_unused:UNUSED_PAD src0_sel:DWORD src1_sel:WORD_1
	v_cndmask_b32_e32 v87, v87, v113, vcc_lo
	v_lshlrev_b32_sdwa v113, v73, v10 dst_sel:DWORD dst_unused:UNUSED_PAD src0_sel:DWORD src1_sel:WORD_1
	v_and_b32_e32 v46, 7, v46
	v_lshl_add_u32 v87, v87, 23, 0x3b800000
	v_and_b32_e32 v113, 0x80000000, v113
	v_cndmask_b32_e32 v86, v86, v46, vcc_lo
	v_lshlrev_b32_e32 v86, 20, v86
	v_or3_b32 v86, v113, v87, v86
.LBB6_12652:                            ;   in Loop: Header=BB6_10551 Depth=3
	s_or_b32 exec_lo, exec_lo, s16
	v_max_f32_e32 v86, v86, v86
	v_max_f32_e32 v87, v112, v112
	s_mov_b32 s22, 0
	v_max_f32_e32 v112, v87, v86
.LBB6_12653:                            ;   in Loop: Header=BB6_10551 Depth=3
	s_and_b32 vcc_lo, exec_lo, s22
	s_cbranch_vccz .LBB6_12667
; %bb.12654:                            ;   in Loop: Header=BB6_10551 Depth=3
	s_mov_b32 s22, 0
	s_mov_b32 s16, exec_lo
	v_cmpx_lt_i16_e32 0x7f, v99
	s_xor_b32 s16, exec_lo, s16
	s_cbranch_execz .LBB6_13321
; %bb.12655:                            ;   in Loop: Header=BB6_10551 Depth=3
	s_mov_b32 s22, -1
	s_mov_b32 s23, exec_lo
	v_cmpx_eq_u16_e32 0x80, v99
; %bb.12656:                            ;   in Loop: Header=BB6_10551 Depth=3
	s_xor_b32 s22, exec_lo, -1
; %bb.12657:                            ;   in Loop: Header=BB6_10551 Depth=3
	s_or_b32 exec_lo, exec_lo, s23
	s_and_b32 s22, s22, exec_lo
                                        ; implicit-def: $vgpr99
	s_or_saveexec_b32 s16, s16
	v_mov_b32_e32 v112, 0x7f800001
	s_xor_b32 exec_lo, exec_lo, s16
	s_cbranch_execnz .LBB6_13322
.LBB6_12658:                            ;   in Loop: Header=BB6_10551 Depth=3
	s_or_b32 exec_lo, exec_lo, s16
	s_and_saveexec_b32 s16, s22
	s_cbranch_execz .LBB6_12660
.LBB6_12659:                            ;   in Loop: Header=BB6_10551 Depth=3
	v_bfe_u32 v86, v14, 16, 3
	v_bfe_u32 v87, v14, 19, 4
	v_ffbh_u32_e32 v99, v86
	v_cmp_eq_u32_e32 vcc_lo, 0, v87
	v_min_u32_e32 v99, 32, v99
	v_subrev_nc_u32_e32 v112, 28, v99
	v_sub_nc_u32_e32 v99, 29, v99
	v_lshlrev_b32_sdwa v112, v112, v14 dst_sel:DWORD dst_unused:UNUSED_PAD src0_sel:DWORD src1_sel:WORD_1
	v_cndmask_b32_e32 v87, v87, v99, vcc_lo
	v_lshlrev_b32_sdwa v99, v73, v14 dst_sel:DWORD dst_unused:UNUSED_PAD src0_sel:DWORD src1_sel:WORD_1
	v_and_b32_e32 v112, 7, v112
	v_lshl_add_u32 v87, v87, 23, 0x3b800000
	v_and_b32_e32 v99, 0x80000000, v99
	v_cndmask_b32_e32 v86, v86, v112, vcc_lo
	v_lshlrev_b32_e32 v86, 20, v86
	v_or3_b32 v112, v99, v87, v86
.LBB6_12660:                            ;   in Loop: Header=BB6_10551 Depth=3
	s_or_b32 exec_lo, exec_lo, s16
	v_and_b32_sdwa v87, v10, v72 dst_sel:DWORD dst_unused:UNUSED_PAD src0_sel:WORD_1 src1_sel:DWORD
	s_mov_b32 s22, 0
	s_mov_b32 s16, exec_lo
	v_cmpx_lt_i16_e32 0x7f, v87
	s_xor_b32 s16, exec_lo, s16
	s_cbranch_execz .LBB6_13323
; %bb.12661:                            ;   in Loop: Header=BB6_10551 Depth=3
	s_mov_b32 s22, -1
	s_mov_b32 s23, exec_lo
	v_cmpx_eq_u16_e32 0x80, v87
; %bb.12662:                            ;   in Loop: Header=BB6_10551 Depth=3
	s_xor_b32 s22, exec_lo, -1
; %bb.12663:                            ;   in Loop: Header=BB6_10551 Depth=3
	s_or_b32 exec_lo, exec_lo, s23
	s_and_b32 s22, s22, exec_lo
                                        ; implicit-def: $vgpr87
	s_or_saveexec_b32 s16, s16
	v_mov_b32_e32 v86, 0x7f800001
	s_xor_b32 exec_lo, exec_lo, s16
	s_cbranch_execnz .LBB6_13324
.LBB6_12664:                            ;   in Loop: Header=BB6_10551 Depth=3
	s_or_b32 exec_lo, exec_lo, s16
	s_and_saveexec_b32 s16, s22
	s_cbranch_execz .LBB6_12666
.LBB6_12665:                            ;   in Loop: Header=BB6_10551 Depth=3
	v_bfe_u32 v86, v10, 16, 3
	v_bfe_u32 v87, v10, 19, 4
	v_ffbh_u32_e32 v99, v86
	v_cmp_eq_u32_e32 vcc_lo, 0, v87
	v_min_u32_e32 v99, 32, v99
	v_subrev_nc_u32_e32 v113, 28, v99
	v_sub_nc_u32_e32 v99, 29, v99
	v_lshlrev_b32_sdwa v113, v113, v10 dst_sel:DWORD dst_unused:UNUSED_PAD src0_sel:DWORD src1_sel:WORD_1
	v_cndmask_b32_e32 v87, v87, v99, vcc_lo
	v_lshlrev_b32_sdwa v99, v73, v10 dst_sel:DWORD dst_unused:UNUSED_PAD src0_sel:DWORD src1_sel:WORD_1
	v_and_b32_e32 v113, 7, v113
	v_lshl_add_u32 v87, v87, 23, 0x3b800000
	v_and_b32_e32 v99, 0x80000000, v99
	v_cndmask_b32_e32 v86, v86, v113, vcc_lo
	v_lshlrev_b32_e32 v86, 20, v86
	v_or3_b32 v86, v99, v87, v86
.LBB6_12666:                            ;   in Loop: Header=BB6_10551 Depth=3
	s_or_b32 exec_lo, exec_lo, s16
	v_max_f32_e32 v86, v86, v86
	v_max_f32_e32 v87, v112, v112
	v_min_f32_e32 v112, v87, v86
.LBB6_12667:                            ;   in Loop: Header=BB6_10551 Depth=3
	v_and_b32_e32 v86, 0x7f800000, v112
	v_mov_b32_e32 v99, 0x80
	s_mov_b32 s22, exec_lo
	v_cmpx_ne_u32_e32 0x7f800000, v86
	s_cbranch_execz .LBB6_12675
; %bb.12668:                            ;   in Loop: Header=BB6_10551 Depth=3
	v_mov_b32_e32 v99, 0
	s_mov_b32 s23, exec_lo
	v_cmpx_ne_u32_e32 0, v112
	s_cbranch_execz .LBB6_12674
; %bb.12669:                            ;   in Loop: Header=BB6_10551 Depth=3
	v_bfe_u32 v87, v112, 23, 8
	v_and_b32_e32 v86, 0x7fffff, v112
                                        ; implicit-def: $vgpr60
	v_cmp_gt_u32_e64 s16, 0x79, v87
	v_sub_nc_u32_e32 v99, 0x78, v87
	v_cmp_eq_u32_e32 vcc_lo, 0, v87
	v_or_b32_e32 v113, 0x800000, v86
	v_add_nc_u32_e32 v87, 0xffffff89, v87
	v_cndmask_b32_e64 v99, 0, v99, s16
	v_cndmask_b32_e32 v86, v113, v86, vcc_lo
	v_cndmask_b32_e64 v87, v87, 0xffffff8a, vcc_lo
	v_cndmask_b32_e64 v99, v99, 0x77, vcc_lo
	v_lshl_add_u32 v113, 0x100000, v99, -1
	v_lshlrev_b32_e64 v46, v99, 0x80000
	v_and_b32_e32 v113, v113, v86
	v_lshrrev_b32_e32 v86, v99, v86
	v_add_nc_u32_e32 v99, v99, v87
	v_cmp_eq_u32_e64 s16, v113, v46
	v_lshrrev_b32_e32 v87, 23, v86
	v_xor_b32_e32 v113, 1, v87
	v_bfe_u32 v87, v86, 20, 1
	v_add_nc_u32_e32 v87, -1, v87
	v_cndmask_b32_e64 v87, 0, v87, s16
	s_mov_b32 s16, exec_lo
	v_add_nc_u32_e32 v87, v87, v86
	v_and_b32_e32 v87, 0xfffff, v87
	v_add_nc_u32_e32 v46, v87, v86
	v_cmpx_ne_u32_e64 v99, v113
	s_xor_b32 s16, exec_lo, s16
; %bb.12670:                            ;   in Loop: Header=BB6_10551 Depth=3
	v_cmp_lt_u32_e32 vcc_lo, 0xffffff, v46
	v_sub_nc_u32_e32 v86, v99, v113
	v_cndmask_b32_e64 v87, 0, 1, vcc_lo
	v_add_co_ci_u32_e64 v60, null, 0, v86, vcc_lo
	v_lshrrev_b32_e32 v46, v87, v46
; %bb.12671:                            ;   in Loop: Header=BB6_10551 Depth=3
	s_andn2_saveexec_b32 s16, s16
; %bb.12672:                            ;   in Loop: Header=BB6_10551 Depth=3
	v_bfe_u32 v60, v46, 23, 1
; %bb.12673:                            ;   in Loop: Header=BB6_10551 Depth=3
	s_or_b32 exec_lo, exec_lo, s16
	v_lshrrev_b32_e32 v87, 20, v46
	v_min_i32_e32 v99, 15, v60
	v_cmp_gt_i32_e32 vcc_lo, 16, v60
	v_and_b32_sdwa v86, v112, v62 dst_sel:DWORD dst_unused:UNUSED_PAD src0_sel:BYTE_3 src1_sel:DWORD
	v_lshlrev_b32_e32 v99, 3, v99
	v_cndmask_b32_e32 v87, 7, v87, vcc_lo
	v_and_b32_e32 v99, 0xf8, v99
	v_or_b32_e32 v112, v60, v87
	v_and_b32_e32 v87, 7, v87
	v_cmp_ne_u32_e32 vcc_lo, 0, v112
	v_or3_b32 v86, v99, v86, v87
	v_cndmask_b32_e32 v99, 0, v86, vcc_lo
.LBB6_12674:                            ;   in Loop: Header=BB6_10551 Depth=3
	s_or_b32 exec_lo, exec_lo, s23
.LBB6_12675:                            ;   in Loop: Header=BB6_10551 Depth=3
	s_or_b32 exec_lo, exec_lo, s22
	v_cmp_gt_i16_sdwa s22, v14, v61 src0_sel:BYTE_3 src1_sel:DWORD
	s_andn2_b32 vcc_lo, exec_lo, s19
	s_mov_b32 s16, -1
                                        ; implicit-def: $vgpr112
	s_cbranch_vccnz .LBB6_12689
; %bb.12676:                            ;   in Loop: Header=BB6_10551 Depth=3
	s_mov_b32 s16, 0
	s_and_saveexec_b32 s23, s22
	s_xor_b32 s22, exec_lo, s23
	s_cbranch_execz .LBB6_13325
; %bb.12677:                            ;   in Loop: Header=BB6_10551 Depth=3
	v_cmp_eq_u16_sdwa s73, v14, v62 src0_sel:BYTE_3 src1_sel:DWORD
	s_mov_b32 s16, -1
	s_and_saveexec_b32 s23, s73
; %bb.12678:                            ;   in Loop: Header=BB6_10551 Depth=3
	s_xor_b32 s16, exec_lo, -1
; %bb.12679:                            ;   in Loop: Header=BB6_10551 Depth=3
	s_or_b32 exec_lo, exec_lo, s23
	s_and_b32 s16, s16, exec_lo
	s_or_saveexec_b32 s22, s22
	v_mov_b32_e32 v112, 0x7f800001
	s_xor_b32 exec_lo, exec_lo, s22
	s_cbranch_execnz .LBB6_13326
.LBB6_12680:                            ;   in Loop: Header=BB6_10551 Depth=3
	s_or_b32 exec_lo, exec_lo, s22
	s_and_saveexec_b32 s22, s16
	s_cbranch_execz .LBB6_12682
.LBB6_12681:                            ;   in Loop: Header=BB6_10551 Depth=3
	v_bfe_u32 v86, v14, 24, 3
	v_bfe_u32 v113, v14, 27, 4
	v_ffbh_u32_e32 v87, v86
	v_cmp_eq_u32_e32 vcc_lo, 0, v113
	v_min_u32_e32 v87, 32, v87
	v_subrev_nc_u32_e32 v112, 28, v87
	v_sub_nc_u32_e32 v87, 29, v87
	v_lshlrev_b32_sdwa v112, v112, v14 dst_sel:DWORD dst_unused:UNUSED_PAD src0_sel:DWORD src1_sel:BYTE_3
	v_cndmask_b32_e32 v87, v113, v87, vcc_lo
	v_and_b32_e32 v112, 7, v112
	v_lshl_add_u32 v87, v87, 23, 0x3b800000
	v_cndmask_b32_e32 v86, v86, v112, vcc_lo
	v_and_b32_e32 v112, 0x80000000, v14
	v_lshlrev_b32_e32 v86, 20, v86
	v_or3_b32 v112, v112, v87, v86
.LBB6_12682:                            ;   in Loop: Header=BB6_10551 Depth=3
	s_or_b32 exec_lo, exec_lo, s22
	v_cmp_gt_i16_sdwa s22, v10, v61 src0_sel:BYTE_3 src1_sel:DWORD
	s_mov_b32 s16, 0
	s_and_saveexec_b32 s23, s22
	s_xor_b32 s22, exec_lo, s23
	s_cbranch_execz .LBB6_13327
; %bb.12683:                            ;   in Loop: Header=BB6_10551 Depth=3
	v_cmp_eq_u16_sdwa s73, v10, v62 src0_sel:BYTE_3 src1_sel:DWORD
	s_mov_b32 s16, -1
	s_and_saveexec_b32 s23, s73
; %bb.12684:                            ;   in Loop: Header=BB6_10551 Depth=3
	s_xor_b32 s16, exec_lo, -1
; %bb.12685:                            ;   in Loop: Header=BB6_10551 Depth=3
	s_or_b32 exec_lo, exec_lo, s23
	s_and_b32 s16, s16, exec_lo
	s_or_saveexec_b32 s22, s22
	v_mov_b32_e32 v86, 0x7f800001
	s_xor_b32 exec_lo, exec_lo, s22
	s_cbranch_execnz .LBB6_13328
.LBB6_12686:                            ;   in Loop: Header=BB6_10551 Depth=3
	s_or_b32 exec_lo, exec_lo, s22
	s_and_saveexec_b32 s22, s16
	s_cbranch_execz .LBB6_12688
.LBB6_12687:                            ;   in Loop: Header=BB6_10551 Depth=3
	v_bfe_u32 v86, v10, 24, 3
	v_bfe_u32 v46, v10, 27, 4
	v_ffbh_u32_e32 v87, v86
	v_cmp_eq_u32_e32 vcc_lo, 0, v46
	v_min_u32_e32 v87, 32, v87
	v_subrev_nc_u32_e32 v113, 28, v87
	v_sub_nc_u32_e32 v87, 29, v87
	v_lshlrev_b32_sdwa v113, v113, v10 dst_sel:DWORD dst_unused:UNUSED_PAD src0_sel:DWORD src1_sel:BYTE_3
	v_cndmask_b32_e32 v87, v46, v87, vcc_lo
	v_and_b32_e32 v113, 7, v113
	v_lshl_add_u32 v87, v87, 23, 0x3b800000
	v_cndmask_b32_e32 v86, v86, v113, vcc_lo
	v_and_b32_e32 v113, 0x80000000, v10
	v_lshlrev_b32_e32 v86, 20, v86
	v_or3_b32 v86, v113, v87, v86
.LBB6_12688:                            ;   in Loop: Header=BB6_10551 Depth=3
	s_or_b32 exec_lo, exec_lo, s22
	v_max_f32_e32 v86, v86, v86
	v_max_f32_e32 v87, v112, v112
	s_mov_b32 s16, 0
	v_max_f32_e32 v112, v87, v86
.LBB6_12689:                            ;   in Loop: Header=BB6_10551 Depth=3
	s_and_b32 vcc_lo, exec_lo, s16
	s_cbranch_vccz .LBB6_12703
; %bb.12690:                            ;   in Loop: Header=BB6_10551 Depth=3
	v_cmp_gt_i16_sdwa s22, v14, v61 src0_sel:BYTE_3 src1_sel:DWORD
	s_mov_b32 s16, 0
	s_and_saveexec_b32 s23, s22
	s_xor_b32 s22, exec_lo, s23
	s_cbranch_execz .LBB6_13329
; %bb.12691:                            ;   in Loop: Header=BB6_10551 Depth=3
	v_cmp_eq_u16_sdwa s73, v14, v62 src0_sel:BYTE_3 src1_sel:DWORD
	s_mov_b32 s16, -1
	s_and_saveexec_b32 s23, s73
; %bb.12692:                            ;   in Loop: Header=BB6_10551 Depth=3
	s_xor_b32 s16, exec_lo, -1
; %bb.12693:                            ;   in Loop: Header=BB6_10551 Depth=3
	s_or_b32 exec_lo, exec_lo, s23
	s_and_b32 s16, s16, exec_lo
	s_or_saveexec_b32 s22, s22
	v_mov_b32_e32 v112, 0x7f800001
	s_xor_b32 exec_lo, exec_lo, s22
	s_cbranch_execnz .LBB6_13330
.LBB6_12694:                            ;   in Loop: Header=BB6_10551 Depth=3
	s_or_b32 exec_lo, exec_lo, s22
	s_and_saveexec_b32 s22, s16
	s_cbranch_execz .LBB6_12696
.LBB6_12695:                            ;   in Loop: Header=BB6_10551 Depth=3
	v_bfe_u32 v86, v14, 24, 3
	v_bfe_u32 v113, v14, 27, 4
	v_ffbh_u32_e32 v87, v86
	v_cmp_eq_u32_e32 vcc_lo, 0, v113
	v_min_u32_e32 v87, 32, v87
	v_subrev_nc_u32_e32 v112, 28, v87
	v_sub_nc_u32_e32 v87, 29, v87
	v_lshlrev_b32_sdwa v112, v112, v14 dst_sel:DWORD dst_unused:UNUSED_PAD src0_sel:DWORD src1_sel:BYTE_3
	v_cndmask_b32_e32 v87, v113, v87, vcc_lo
	v_and_b32_e32 v14, 0x80000000, v14
	v_and_b32_e32 v112, 7, v112
	v_lshl_add_u32 v87, v87, 23, 0x3b800000
	v_cndmask_b32_e32 v86, v86, v112, vcc_lo
	v_lshlrev_b32_e32 v86, 20, v86
	v_or3_b32 v112, v14, v87, v86
.LBB6_12696:                            ;   in Loop: Header=BB6_10551 Depth=3
	s_or_b32 exec_lo, exec_lo, s22
	v_cmp_gt_i16_sdwa s22, v10, v61 src0_sel:BYTE_3 src1_sel:DWORD
	s_mov_b32 s16, 0
	s_and_saveexec_b32 s23, s22
	s_xor_b32 s22, exec_lo, s23
	s_cbranch_execz .LBB6_13331
; %bb.12697:                            ;   in Loop: Header=BB6_10551 Depth=3
	v_cmp_eq_u16_sdwa s73, v10, v62 src0_sel:BYTE_3 src1_sel:DWORD
	s_mov_b32 s16, -1
	s_and_saveexec_b32 s23, s73
; %bb.12698:                            ;   in Loop: Header=BB6_10551 Depth=3
	s_xor_b32 s16, exec_lo, -1
; %bb.12699:                            ;   in Loop: Header=BB6_10551 Depth=3
	s_or_b32 exec_lo, exec_lo, s23
	s_and_b32 s16, s16, exec_lo
	s_or_saveexec_b32 s22, s22
	v_mov_b32_e32 v14, 0x7f800001
	s_xor_b32 exec_lo, exec_lo, s22
	s_cbranch_execnz .LBB6_13332
.LBB6_12700:                            ;   in Loop: Header=BB6_10551 Depth=3
	s_or_b32 exec_lo, exec_lo, s22
	s_and_saveexec_b32 s22, s16
	s_cbranch_execz .LBB6_12702
.LBB6_12701:                            ;   in Loop: Header=BB6_10551 Depth=3
	v_bfe_u32 v14, v10, 24, 3
	v_bfe_u32 v113, v10, 27, 4
	v_ffbh_u32_e32 v86, v14
	v_cmp_eq_u32_e32 vcc_lo, 0, v113
	v_min_u32_e32 v86, 32, v86
	v_subrev_nc_u32_e32 v87, 28, v86
	v_sub_nc_u32_e32 v86, 29, v86
	v_lshlrev_b32_sdwa v87, v87, v10 dst_sel:DWORD dst_unused:UNUSED_PAD src0_sel:DWORD src1_sel:BYTE_3
	v_cndmask_b32_e32 v86, v113, v86, vcc_lo
	v_and_b32_e32 v10, 0x80000000, v10
	v_and_b32_e32 v87, 7, v87
	v_lshl_add_u32 v86, v86, 23, 0x3b800000
	v_cndmask_b32_e32 v14, v14, v87, vcc_lo
	v_lshlrev_b32_e32 v14, 20, v14
	v_or3_b32 v14, v10, v86, v14
.LBB6_12702:                            ;   in Loop: Header=BB6_10551 Depth=3
	s_or_b32 exec_lo, exec_lo, s22
	v_max_f32_e32 v10, v14, v14
	v_max_f32_e32 v14, v112, v112
	v_min_f32_e32 v112, v14, v10
.LBB6_12703:                            ;   in Loop: Header=BB6_10551 Depth=3
	v_and_b32_e32 v10, 0x7f800000, v112
	v_cmp_ne_u32_e32 vcc_lo, 0x7f800000, v10
	v_mov_b32_e32 v10, 0x8000
	s_and_saveexec_b32 s22, vcc_lo
	s_cbranch_execz .LBB6_12711
; %bb.12704:                            ;   in Loop: Header=BB6_10551 Depth=3
	v_mov_b32_e32 v10, 0
	s_mov_b32 s23, exec_lo
	v_cmpx_ne_u32_e32 0, v112
	s_cbranch_execz .LBB6_12710
; %bb.12705:                            ;   in Loop: Header=BB6_10551 Depth=3
	v_bfe_u32 v14, v112, 23, 8
	v_and_b32_e32 v10, 0x7fffff, v112
                                        ; implicit-def: $vgpr46
	v_cmp_gt_u32_e64 s16, 0x79, v14
	v_sub_nc_u32_e32 v86, 0x78, v14
	v_cmp_eq_u32_e32 vcc_lo, 0, v14
	v_or_b32_e32 v87, 0x800000, v10
	v_cndmask_b32_e64 v86, 0, v86, s16
	v_cndmask_b32_e32 v10, v87, v10, vcc_lo
	v_cndmask_b32_e64 v86, v86, 0x77, vcc_lo
	v_lshl_add_u32 v87, 0x100000, v86, -1
	v_lshlrev_b32_e64 v113, v86, 0x80000
	v_and_b32_e32 v87, v87, v10
	v_cmp_eq_u32_e64 s16, v87, v113
	v_lshrrev_b32_e32 v87, v86, v10
	v_add_nc_u32_e32 v10, 0xffffff89, v14
	v_lshrrev_b32_e32 v14, 23, v87
	v_cndmask_b32_e64 v10, v10, 0xffffff8a, vcc_lo
	v_xor_b32_e32 v14, 1, v14
	v_add_nc_u32_e32 v10, v86, v10
	v_bfe_u32 v86, v87, 20, 1
	v_add_nc_u32_e32 v86, -1, v86
	v_cndmask_b32_e64 v86, 0, v86, s16
	s_mov_b32 s16, exec_lo
	v_add_nc_u32_e32 v86, v86, v87
	v_and_b32_e32 v86, 0xfffff, v86
	v_add_nc_u32_e32 v113, v86, v87
	v_cmpx_ne_u32_e64 v10, v14
	s_xor_b32 s16, exec_lo, s16
; %bb.12706:                            ;   in Loop: Header=BB6_10551 Depth=3
	v_cmp_lt_u32_e32 vcc_lo, 0xffffff, v113
	v_sub_nc_u32_e32 v10, v10, v14
	v_cndmask_b32_e64 v14, 0, 1, vcc_lo
	v_add_co_ci_u32_e64 v46, null, 0, v10, vcc_lo
	v_lshrrev_b32_e32 v113, v14, v113
; %bb.12707:                            ;   in Loop: Header=BB6_10551 Depth=3
	s_andn2_saveexec_b32 s16, s16
; %bb.12708:                            ;   in Loop: Header=BB6_10551 Depth=3
	v_bfe_u32 v46, v113, 23, 1
; %bb.12709:                            ;   in Loop: Header=BB6_10551 Depth=3
	s_or_b32 exec_lo, exec_lo, s16
	v_lshrrev_b32_e32 v14, 20, v113
	v_min_i32_e32 v86, 15, v46
	v_cmp_gt_i32_e32 vcc_lo, 16, v46
	v_and_b32_sdwa v10, v112, v62 dst_sel:DWORD dst_unused:UNUSED_PAD src0_sel:BYTE_3 src1_sel:DWORD
	v_lshlrev_b32_e32 v86, 3, v86
	v_cndmask_b32_e32 v14, 7, v14, vcc_lo
	v_and_b32_e32 v86, 0xf8, v86
	v_or_b32_e32 v87, v46, v14
	v_and_b32_e32 v14, 7, v14
	v_cmp_ne_u32_e32 vcc_lo, 0, v87
	v_or3_b32 v10, v10, v86, v14
	v_lshlrev_b32_e32 v10, 8, v10
	v_cndmask_b32_e32 v10, 0, v10, vcc_lo
.LBB6_12710:                            ;   in Loop: Header=BB6_10551 Depth=3
	s_or_b32 exec_lo, exec_lo, s23
.LBB6_12711:                            ;   in Loop: Header=BB6_10551 Depth=3
	s_or_b32 exec_lo, exec_lo, s22
	v_cmp_gt_i16_sdwa s23, v15, v61 src0_sel:BYTE_0 src1_sel:DWORD
	s_andn2_b32 vcc_lo, exec_lo, s19
	s_mov_b32 s16, -1
                                        ; implicit-def: $vgpr112
	s_cbranch_vccnz .LBB6_12725
; %bb.12712:                            ;   in Loop: Header=BB6_10551 Depth=3
	s_mov_b32 s22, 0
	s_and_saveexec_b32 s16, s23
	s_xor_b32 s16, exec_lo, s16
	s_cbranch_execz .LBB6_13333
; %bb.12713:                            ;   in Loop: Header=BB6_10551 Depth=3
	v_cmp_eq_u16_sdwa s73, v15, v62 src0_sel:BYTE_0 src1_sel:DWORD
	s_mov_b32 s22, -1
	s_and_saveexec_b32 s23, s73
; %bb.12714:                            ;   in Loop: Header=BB6_10551 Depth=3
	s_xor_b32 s22, exec_lo, -1
; %bb.12715:                            ;   in Loop: Header=BB6_10551 Depth=3
	s_or_b32 exec_lo, exec_lo, s23
	s_and_b32 s22, s22, exec_lo
	s_or_saveexec_b32 s16, s16
	v_mov_b32_e32 v14, 0x7f800001
	s_xor_b32 exec_lo, exec_lo, s16
	s_cbranch_execnz .LBB6_13334
.LBB6_12716:                            ;   in Loop: Header=BB6_10551 Depth=3
	s_or_b32 exec_lo, exec_lo, s16
	s_and_saveexec_b32 s16, s22
	s_cbranch_execz .LBB6_12718
.LBB6_12717:                            ;   in Loop: Header=BB6_10551 Depth=3
	v_and_b32_e32 v14, 7, v15
	v_bfe_u32 v86, v15, 3, 4
	v_ffbh_u32_e32 v87, v14
	v_cmp_eq_u32_e32 vcc_lo, 0, v86
	v_min_u32_e32 v87, 32, v87
	v_subrev_nc_u32_e32 v112, 28, v87
	v_sub_nc_u32_e32 v87, 29, v87
	v_lshlrev_b32_e32 v112, v112, v15
	v_cndmask_b32_e32 v86, v86, v87, vcc_lo
	v_lshlrev_b32_e32 v87, 24, v15
	v_and_b32_e32 v112, 7, v112
	v_lshl_add_u32 v86, v86, 23, 0x3b800000
	v_and_b32_e32 v87, 0x80000000, v87
	v_cndmask_b32_e32 v14, v14, v112, vcc_lo
	v_lshlrev_b32_e32 v14, 20, v14
	v_or3_b32 v14, v87, v86, v14
.LBB6_12718:                            ;   in Loop: Header=BB6_10551 Depth=3
	s_or_b32 exec_lo, exec_lo, s16
	v_cmp_gt_i16_sdwa s16, v11, v61 src0_sel:BYTE_0 src1_sel:DWORD
	s_mov_b32 s22, 0
	s_and_saveexec_b32 s23, s16
	s_xor_b32 s16, exec_lo, s23
	s_cbranch_execz .LBB6_13335
; %bb.12719:                            ;   in Loop: Header=BB6_10551 Depth=3
	v_cmp_eq_u16_sdwa s73, v11, v62 src0_sel:BYTE_0 src1_sel:DWORD
	s_mov_b32 s22, -1
	s_and_saveexec_b32 s23, s73
; %bb.12720:                            ;   in Loop: Header=BB6_10551 Depth=3
	s_xor_b32 s22, exec_lo, -1
; %bb.12721:                            ;   in Loop: Header=BB6_10551 Depth=3
	s_or_b32 exec_lo, exec_lo, s23
	s_and_b32 s22, s22, exec_lo
	s_or_saveexec_b32 s16, s16
	v_mov_b32_e32 v86, 0x7f800001
	s_xor_b32 exec_lo, exec_lo, s16
	s_cbranch_execnz .LBB6_13336
.LBB6_12722:                            ;   in Loop: Header=BB6_10551 Depth=3
	s_or_b32 exec_lo, exec_lo, s16
	s_and_saveexec_b32 s16, s22
	s_cbranch_execz .LBB6_12724
.LBB6_12723:                            ;   in Loop: Header=BB6_10551 Depth=3
	v_and_b32_e32 v86, 7, v11
	v_bfe_u32 v87, v11, 3, 4
	v_ffbh_u32_e32 v112, v86
	v_cmp_eq_u32_e32 vcc_lo, 0, v87
	v_min_u32_e32 v112, 32, v112
	v_subrev_nc_u32_e32 v113, 28, v112
	v_sub_nc_u32_e32 v112, 29, v112
	v_lshlrev_b32_e32 v113, v113, v11
	v_cndmask_b32_e32 v87, v87, v112, vcc_lo
	v_lshlrev_b32_e32 v112, 24, v11
	v_and_b32_e32 v113, 7, v113
	v_lshl_add_u32 v87, v87, 23, 0x3b800000
	v_and_b32_e32 v112, 0x80000000, v112
	v_cndmask_b32_e32 v86, v86, v113, vcc_lo
	v_lshlrev_b32_e32 v86, 20, v86
	v_or3_b32 v86, v112, v87, v86
.LBB6_12724:                            ;   in Loop: Header=BB6_10551 Depth=3
	s_or_b32 exec_lo, exec_lo, s16
	v_max_f32_e32 v86, v86, v86
	v_max_f32_e32 v14, v14, v14
	s_mov_b32 s16, 0
	v_max_f32_e32 v112, v14, v86
.LBB6_12725:                            ;   in Loop: Header=BB6_10551 Depth=3
	s_and_b32 vcc_lo, exec_lo, s16
	s_cbranch_vccz .LBB6_12739
; %bb.12726:                            ;   in Loop: Header=BB6_10551 Depth=3
	v_cmp_gt_i16_sdwa s16, v15, v61 src0_sel:BYTE_0 src1_sel:DWORD
	s_mov_b32 s22, 0
	s_and_saveexec_b32 s23, s16
	s_xor_b32 s16, exec_lo, s23
	s_cbranch_execz .LBB6_13337
; %bb.12727:                            ;   in Loop: Header=BB6_10551 Depth=3
	v_cmp_eq_u16_sdwa s73, v15, v62 src0_sel:BYTE_0 src1_sel:DWORD
	s_mov_b32 s22, -1
	s_and_saveexec_b32 s23, s73
; %bb.12728:                            ;   in Loop: Header=BB6_10551 Depth=3
	s_xor_b32 s22, exec_lo, -1
; %bb.12729:                            ;   in Loop: Header=BB6_10551 Depth=3
	s_or_b32 exec_lo, exec_lo, s23
	s_and_b32 s22, s22, exec_lo
	s_or_saveexec_b32 s16, s16
	v_mov_b32_e32 v14, 0x7f800001
	s_xor_b32 exec_lo, exec_lo, s16
	s_cbranch_execnz .LBB6_13338
.LBB6_12730:                            ;   in Loop: Header=BB6_10551 Depth=3
	s_or_b32 exec_lo, exec_lo, s16
	s_and_saveexec_b32 s16, s22
	s_cbranch_execz .LBB6_12732
.LBB6_12731:                            ;   in Loop: Header=BB6_10551 Depth=3
	v_and_b32_e32 v14, 7, v15
	v_bfe_u32 v86, v15, 3, 4
	v_ffbh_u32_e32 v87, v14
	v_cmp_eq_u32_e32 vcc_lo, 0, v86
	v_min_u32_e32 v87, 32, v87
	v_subrev_nc_u32_e32 v112, 28, v87
	v_sub_nc_u32_e32 v87, 29, v87
	v_lshlrev_b32_e32 v112, v112, v15
	v_cndmask_b32_e32 v86, v86, v87, vcc_lo
	v_lshlrev_b32_e32 v87, 24, v15
	v_and_b32_e32 v112, 7, v112
	v_lshl_add_u32 v86, v86, 23, 0x3b800000
	v_and_b32_e32 v87, 0x80000000, v87
	v_cndmask_b32_e32 v14, v14, v112, vcc_lo
	v_lshlrev_b32_e32 v14, 20, v14
	v_or3_b32 v14, v87, v86, v14
.LBB6_12732:                            ;   in Loop: Header=BB6_10551 Depth=3
	s_or_b32 exec_lo, exec_lo, s16
	v_cmp_gt_i16_sdwa s16, v11, v61 src0_sel:BYTE_0 src1_sel:DWORD
	s_mov_b32 s22, 0
	s_and_saveexec_b32 s23, s16
	s_xor_b32 s16, exec_lo, s23
	s_cbranch_execz .LBB6_13339
; %bb.12733:                            ;   in Loop: Header=BB6_10551 Depth=3
	v_cmp_eq_u16_sdwa s73, v11, v62 src0_sel:BYTE_0 src1_sel:DWORD
	s_mov_b32 s22, -1
	s_and_saveexec_b32 s23, s73
; %bb.12734:                            ;   in Loop: Header=BB6_10551 Depth=3
	s_xor_b32 s22, exec_lo, -1
; %bb.12735:                            ;   in Loop: Header=BB6_10551 Depth=3
	s_or_b32 exec_lo, exec_lo, s23
	s_and_b32 s22, s22, exec_lo
	s_or_saveexec_b32 s16, s16
	v_mov_b32_e32 v86, 0x7f800001
	s_xor_b32 exec_lo, exec_lo, s16
	s_cbranch_execnz .LBB6_13340
.LBB6_12736:                            ;   in Loop: Header=BB6_10551 Depth=3
	s_or_b32 exec_lo, exec_lo, s16
	s_and_saveexec_b32 s16, s22
	s_cbranch_execz .LBB6_12738
.LBB6_12737:                            ;   in Loop: Header=BB6_10551 Depth=3
	v_and_b32_e32 v86, 7, v11
	v_bfe_u32 v87, v11, 3, 4
	v_ffbh_u32_e32 v112, v86
	v_cmp_eq_u32_e32 vcc_lo, 0, v87
	v_min_u32_e32 v112, 32, v112
	v_subrev_nc_u32_e32 v113, 28, v112
	v_sub_nc_u32_e32 v112, 29, v112
	v_lshlrev_b32_e32 v113, v113, v11
	v_cndmask_b32_e32 v87, v87, v112, vcc_lo
	v_lshlrev_b32_e32 v112, 24, v11
	v_and_b32_e32 v113, 7, v113
	v_lshl_add_u32 v87, v87, 23, 0x3b800000
	v_and_b32_e32 v112, 0x80000000, v112
	v_cndmask_b32_e32 v86, v86, v113, vcc_lo
	v_lshlrev_b32_e32 v86, 20, v86
	v_or3_b32 v86, v112, v87, v86
.LBB6_12738:                            ;   in Loop: Header=BB6_10551 Depth=3
	s_or_b32 exec_lo, exec_lo, s16
	v_max_f32_e32 v86, v86, v86
	v_max_f32_e32 v14, v14, v14
	v_min_f32_e32 v112, v14, v86
.LBB6_12739:                            ;   in Loop: Header=BB6_10551 Depth=3
	v_and_b32_e32 v14, 0x7f800000, v112
	v_cmp_ne_u32_e32 vcc_lo, 0x7f800000, v14
	v_mov_b32_e32 v14, 0x80
	s_and_saveexec_b32 s22, vcc_lo
	s_cbranch_execz .LBB6_12747
; %bb.12740:                            ;   in Loop: Header=BB6_10551 Depth=3
	v_mov_b32_e32 v14, 0
	s_mov_b32 s23, exec_lo
	v_cmpx_ne_u32_e32 0, v112
	s_cbranch_execz .LBB6_12746
; %bb.12741:                            ;   in Loop: Header=BB6_10551 Depth=3
	v_bfe_u32 v86, v112, 23, 8
	v_and_b32_e32 v14, 0x7fffff, v112
                                        ; implicit-def: $vgpr60
	v_cmp_gt_u32_e64 s16, 0x79, v86
	v_sub_nc_u32_e32 v87, 0x78, v86
	v_cmp_eq_u32_e32 vcc_lo, 0, v86
	v_or_b32_e32 v113, 0x800000, v14
	v_cndmask_b32_e64 v87, 0, v87, s16
	v_cndmask_b32_e32 v14, v113, v14, vcc_lo
	v_cndmask_b32_e64 v87, v87, 0x77, vcc_lo
	v_lshl_add_u32 v113, 0x100000, v87, -1
	v_lshlrev_b32_e64 v46, v87, 0x80000
	v_and_b32_e32 v113, v113, v14
	v_cmp_eq_u32_e64 s16, v113, v46
	v_lshrrev_b32_e32 v46, v87, v14
	v_add_nc_u32_e32 v14, 0xffffff89, v86
	v_lshrrev_b32_e32 v86, 23, v46
	v_cndmask_b32_e64 v14, v14, 0xffffff8a, vcc_lo
	v_xor_b32_e32 v113, 1, v86
	v_bfe_u32 v86, v46, 20, 1
	v_add_nc_u32_e32 v14, v87, v14
	v_add_nc_u32_e32 v86, -1, v86
	v_cndmask_b32_e64 v86, 0, v86, s16
	s_mov_b32 s16, exec_lo
	v_add_nc_u32_e32 v86, v86, v46
	v_and_b32_e32 v86, 0xfffff, v86
	v_add_nc_u32_e32 v46, v86, v46
	v_cmpx_ne_u32_e64 v14, v113
	s_xor_b32 s16, exec_lo, s16
; %bb.12742:                            ;   in Loop: Header=BB6_10551 Depth=3
	v_cmp_lt_u32_e32 vcc_lo, 0xffffff, v46
	v_sub_nc_u32_e32 v14, v14, v113
	v_cndmask_b32_e64 v86, 0, 1, vcc_lo
	v_add_co_ci_u32_e64 v60, null, 0, v14, vcc_lo
	v_lshrrev_b32_e32 v46, v86, v46
; %bb.12743:                            ;   in Loop: Header=BB6_10551 Depth=3
	s_andn2_saveexec_b32 s16, s16
; %bb.12744:                            ;   in Loop: Header=BB6_10551 Depth=3
	v_bfe_u32 v60, v46, 23, 1
; %bb.12745:                            ;   in Loop: Header=BB6_10551 Depth=3
	s_or_b32 exec_lo, exec_lo, s16
	v_lshrrev_b32_e32 v86, 20, v46
	v_min_i32_e32 v87, 15, v60
	v_cmp_gt_i32_e32 vcc_lo, 16, v60
	v_and_b32_sdwa v14, v112, v62 dst_sel:DWORD dst_unused:UNUSED_PAD src0_sel:BYTE_3 src1_sel:DWORD
	v_lshlrev_b32_e32 v87, 3, v87
	v_cndmask_b32_e32 v86, 7, v86, vcc_lo
	v_and_b32_e32 v87, 0xf8, v87
	v_or_b32_e32 v112, v60, v86
	v_and_b32_e32 v86, 7, v86
	v_cmp_ne_u32_e32 vcc_lo, 0, v112
	v_or3_b32 v14, v87, v14, v86
	v_cndmask_b32_e32 v14, 0, v14, vcc_lo
.LBB6_12746:                            ;   in Loop: Header=BB6_10551 Depth=3
	s_or_b32 exec_lo, exec_lo, s23
.LBB6_12747:                            ;   in Loop: Header=BB6_10551 Depth=3
	s_or_b32 exec_lo, exec_lo, s22
	v_cmp_gt_i16_sdwa s22, v15, v61 src0_sel:BYTE_1 src1_sel:DWORD
	s_andn2_b32 vcc_lo, exec_lo, s19
	s_mov_b32 s16, -1
                                        ; implicit-def: $vgpr113
	s_cbranch_vccnz .LBB6_12761
; %bb.12748:                            ;   in Loop: Header=BB6_10551 Depth=3
	s_mov_b32 s16, 0
	s_and_saveexec_b32 s23, s22
	s_xor_b32 s22, exec_lo, s23
	s_cbranch_execz .LBB6_13341
; %bb.12749:                            ;   in Loop: Header=BB6_10551 Depth=3
	v_cmp_eq_u16_sdwa s73, v15, v62 src0_sel:BYTE_1 src1_sel:DWORD
	s_mov_b32 s16, -1
	s_and_saveexec_b32 s23, s73
; %bb.12750:                            ;   in Loop: Header=BB6_10551 Depth=3
	s_xor_b32 s16, exec_lo, -1
; %bb.12751:                            ;   in Loop: Header=BB6_10551 Depth=3
	s_or_b32 exec_lo, exec_lo, s23
	s_and_b32 s16, s16, exec_lo
	s_or_saveexec_b32 s22, s22
	v_mov_b32_e32 v112, 0x7f800001
	s_xor_b32 exec_lo, exec_lo, s22
	s_cbranch_execnz .LBB6_13342
.LBB6_12752:                            ;   in Loop: Header=BB6_10551 Depth=3
	s_or_b32 exec_lo, exec_lo, s22
	s_and_saveexec_b32 s22, s16
	s_cbranch_execz .LBB6_12754
.LBB6_12753:                            ;   in Loop: Header=BB6_10551 Depth=3
	v_and_b32_sdwa v86, v63, v15 dst_sel:DWORD dst_unused:UNUSED_PAD src0_sel:DWORD src1_sel:BYTE_1
	v_and_b32_e32 v87, 7, v86
	v_bfe_u32 v46, v86, 3, 4
	v_ffbh_u32_e32 v112, v87
	v_cmp_eq_u32_e32 vcc_lo, 0, v46
	v_min_u32_e32 v112, 32, v112
	v_subrev_nc_u32_e32 v113, 28, v112
	v_sub_nc_u32_e32 v112, 29, v112
	v_lshlrev_b32_e32 v86, v113, v86
	v_lshlrev_b32_e32 v113, 16, v15
	v_cndmask_b32_e32 v112, v46, v112, vcc_lo
	v_and_b32_e32 v86, 7, v86
	v_lshl_add_u32 v112, v112, 23, 0x3b800000
	v_cndmask_b32_e32 v86, v87, v86, vcc_lo
	v_and_b32_e32 v87, 0x80000000, v113
	v_lshlrev_b32_e32 v86, 20, v86
	v_or3_b32 v112, v87, v112, v86
.LBB6_12754:                            ;   in Loop: Header=BB6_10551 Depth=3
	s_or_b32 exec_lo, exec_lo, s22
	v_cmp_gt_i16_sdwa s22, v11, v61 src0_sel:BYTE_1 src1_sel:DWORD
	s_mov_b32 s16, 0
	s_and_saveexec_b32 s23, s22
	s_xor_b32 s22, exec_lo, s23
	s_cbranch_execz .LBB6_13343
; %bb.12755:                            ;   in Loop: Header=BB6_10551 Depth=3
	v_cmp_eq_u16_sdwa s73, v11, v62 src0_sel:BYTE_1 src1_sel:DWORD
	s_mov_b32 s16, -1
	s_and_saveexec_b32 s23, s73
; %bb.12756:                            ;   in Loop: Header=BB6_10551 Depth=3
	s_xor_b32 s16, exec_lo, -1
; %bb.12757:                            ;   in Loop: Header=BB6_10551 Depth=3
	s_or_b32 exec_lo, exec_lo, s23
	s_and_b32 s16, s16, exec_lo
	s_or_saveexec_b32 s22, s22
	v_mov_b32_e32 v86, 0x7f800001
	s_xor_b32 exec_lo, exec_lo, s22
	s_cbranch_execnz .LBB6_13344
.LBB6_12758:                            ;   in Loop: Header=BB6_10551 Depth=3
	s_or_b32 exec_lo, exec_lo, s22
	s_and_saveexec_b32 s22, s16
	s_cbranch_execz .LBB6_12760
.LBB6_12759:                            ;   in Loop: Header=BB6_10551 Depth=3
	v_and_b32_sdwa v86, v63, v11 dst_sel:DWORD dst_unused:UNUSED_PAD src0_sel:DWORD src1_sel:BYTE_1
	v_and_b32_e32 v87, 7, v86
	v_bfe_u32 v60, v86, 3, 4
	v_ffbh_u32_e32 v113, v87
	v_cmp_eq_u32_e32 vcc_lo, 0, v60
	v_min_u32_e32 v113, 32, v113
	v_subrev_nc_u32_e32 v46, 28, v113
	v_sub_nc_u32_e32 v113, 29, v113
	v_lshlrev_b32_e32 v86, v46, v86
	v_lshlrev_b32_e32 v46, 16, v11
	v_cndmask_b32_e32 v113, v60, v113, vcc_lo
	v_and_b32_e32 v86, 7, v86
	v_lshl_add_u32 v113, v113, 23, 0x3b800000
	v_cndmask_b32_e32 v86, v87, v86, vcc_lo
	v_and_b32_e32 v87, 0x80000000, v46
	v_lshlrev_b32_e32 v86, 20, v86
	v_or3_b32 v86, v87, v113, v86
.LBB6_12760:                            ;   in Loop: Header=BB6_10551 Depth=3
	s_or_b32 exec_lo, exec_lo, s22
	v_max_f32_e32 v86, v86, v86
	v_max_f32_e32 v87, v112, v112
	s_mov_b32 s16, 0
	v_max_f32_e32 v113, v87, v86
.LBB6_12761:                            ;   in Loop: Header=BB6_10551 Depth=3
	s_and_b32 vcc_lo, exec_lo, s16
	s_cbranch_vccz .LBB6_12775
; %bb.12762:                            ;   in Loop: Header=BB6_10551 Depth=3
	v_cmp_gt_i16_sdwa s22, v15, v61 src0_sel:BYTE_1 src1_sel:DWORD
	s_mov_b32 s16, 0
	s_and_saveexec_b32 s23, s22
	s_xor_b32 s22, exec_lo, s23
	s_cbranch_execz .LBB6_13345
; %bb.12763:                            ;   in Loop: Header=BB6_10551 Depth=3
	v_cmp_eq_u16_sdwa s73, v15, v62 src0_sel:BYTE_1 src1_sel:DWORD
	s_mov_b32 s16, -1
	s_and_saveexec_b32 s23, s73
; %bb.12764:                            ;   in Loop: Header=BB6_10551 Depth=3
	s_xor_b32 s16, exec_lo, -1
; %bb.12765:                            ;   in Loop: Header=BB6_10551 Depth=3
	s_or_b32 exec_lo, exec_lo, s23
	s_and_b32 s16, s16, exec_lo
	s_or_saveexec_b32 s22, s22
	v_mov_b32_e32 v112, 0x7f800001
	s_xor_b32 exec_lo, exec_lo, s22
	s_cbranch_execnz .LBB6_13346
.LBB6_12766:                            ;   in Loop: Header=BB6_10551 Depth=3
	s_or_b32 exec_lo, exec_lo, s22
	s_and_saveexec_b32 s22, s16
	s_cbranch_execz .LBB6_12768
.LBB6_12767:                            ;   in Loop: Header=BB6_10551 Depth=3
	v_and_b32_sdwa v86, v63, v15 dst_sel:DWORD dst_unused:UNUSED_PAD src0_sel:DWORD src1_sel:BYTE_1
	v_and_b32_e32 v87, 7, v86
	v_bfe_u32 v46, v86, 3, 4
	v_ffbh_u32_e32 v112, v87
	v_cmp_eq_u32_e32 vcc_lo, 0, v46
	v_min_u32_e32 v112, 32, v112
	v_subrev_nc_u32_e32 v113, 28, v112
	v_sub_nc_u32_e32 v112, 29, v112
	v_lshlrev_b32_e32 v86, v113, v86
	v_lshlrev_b32_e32 v113, 16, v15
	v_cndmask_b32_e32 v112, v46, v112, vcc_lo
	v_and_b32_e32 v86, 7, v86
	v_lshl_add_u32 v112, v112, 23, 0x3b800000
	v_cndmask_b32_e32 v86, v87, v86, vcc_lo
	v_and_b32_e32 v87, 0x80000000, v113
	v_lshlrev_b32_e32 v86, 20, v86
	v_or3_b32 v112, v87, v112, v86
.LBB6_12768:                            ;   in Loop: Header=BB6_10551 Depth=3
	s_or_b32 exec_lo, exec_lo, s22
	v_cmp_gt_i16_sdwa s22, v11, v61 src0_sel:BYTE_1 src1_sel:DWORD
	s_mov_b32 s16, 0
	s_and_saveexec_b32 s23, s22
	s_xor_b32 s22, exec_lo, s23
	s_cbranch_execz .LBB6_13347
; %bb.12769:                            ;   in Loop: Header=BB6_10551 Depth=3
	v_cmp_eq_u16_sdwa s73, v11, v62 src0_sel:BYTE_1 src1_sel:DWORD
	s_mov_b32 s16, -1
	s_and_saveexec_b32 s23, s73
; %bb.12770:                            ;   in Loop: Header=BB6_10551 Depth=3
	s_xor_b32 s16, exec_lo, -1
; %bb.12771:                            ;   in Loop: Header=BB6_10551 Depth=3
	s_or_b32 exec_lo, exec_lo, s23
	s_and_b32 s16, s16, exec_lo
	s_or_saveexec_b32 s22, s22
	v_mov_b32_e32 v86, 0x7f800001
	s_xor_b32 exec_lo, exec_lo, s22
	s_cbranch_execnz .LBB6_13348
.LBB6_12772:                            ;   in Loop: Header=BB6_10551 Depth=3
	s_or_b32 exec_lo, exec_lo, s22
	s_and_saveexec_b32 s22, s16
	s_cbranch_execz .LBB6_12774
.LBB6_12773:                            ;   in Loop: Header=BB6_10551 Depth=3
	v_and_b32_sdwa v86, v63, v11 dst_sel:DWORD dst_unused:UNUSED_PAD src0_sel:DWORD src1_sel:BYTE_1
	v_and_b32_e32 v87, 7, v86
	v_bfe_u32 v60, v86, 3, 4
	v_ffbh_u32_e32 v113, v87
	v_cmp_eq_u32_e32 vcc_lo, 0, v60
	v_min_u32_e32 v113, 32, v113
	v_subrev_nc_u32_e32 v46, 28, v113
	v_sub_nc_u32_e32 v113, 29, v113
	v_lshlrev_b32_e32 v86, v46, v86
	v_lshlrev_b32_e32 v46, 16, v11
	v_cndmask_b32_e32 v113, v60, v113, vcc_lo
	v_and_b32_e32 v86, 7, v86
	v_lshl_add_u32 v113, v113, 23, 0x3b800000
	v_cndmask_b32_e32 v86, v87, v86, vcc_lo
	v_and_b32_e32 v87, 0x80000000, v46
	v_lshlrev_b32_e32 v86, 20, v86
	v_or3_b32 v86, v87, v113, v86
.LBB6_12774:                            ;   in Loop: Header=BB6_10551 Depth=3
	s_or_b32 exec_lo, exec_lo, s22
	v_max_f32_e32 v86, v86, v86
	v_max_f32_e32 v87, v112, v112
	v_min_f32_e32 v113, v87, v86
.LBB6_12775:                            ;   in Loop: Header=BB6_10551 Depth=3
	v_and_b32_e32 v86, 0x7f800000, v113
	v_mov_b32_e32 v112, 0x8000
	s_mov_b32 s22, exec_lo
	v_cmpx_ne_u32_e32 0x7f800000, v86
	s_cbranch_execz .LBB6_12783
; %bb.12776:                            ;   in Loop: Header=BB6_10551 Depth=3
	v_mov_b32_e32 v112, 0
	s_mov_b32 s23, exec_lo
	v_cmpx_ne_u32_e32 0, v113
	s_cbranch_execz .LBB6_12782
; %bb.12777:                            ;   in Loop: Header=BB6_10551 Depth=3
	v_bfe_u32 v87, v113, 23, 8
	v_and_b32_e32 v86, 0x7fffff, v113
                                        ; implicit-def: $vgpr74
	v_cmp_gt_u32_e64 s16, 0x79, v87
	v_sub_nc_u32_e32 v112, 0x78, v87
	v_cmp_eq_u32_e32 vcc_lo, 0, v87
	v_or_b32_e32 v46, 0x800000, v86
	v_add_nc_u32_e32 v87, 0xffffff89, v87
	v_cndmask_b32_e64 v112, 0, v112, s16
	v_cndmask_b32_e32 v86, v46, v86, vcc_lo
	v_cndmask_b32_e64 v87, v87, 0xffffff8a, vcc_lo
	v_cndmask_b32_e64 v112, v112, 0x77, vcc_lo
	v_lshl_add_u32 v46, 0x100000, v112, -1
	v_lshlrev_b32_e64 v60, v112, 0x80000
	v_and_b32_e32 v46, v46, v86
	v_lshrrev_b32_e32 v86, v112, v86
	v_add_nc_u32_e32 v112, v112, v87
	v_cmp_eq_u32_e64 s16, v46, v60
	v_lshrrev_b32_e32 v87, 23, v86
	v_xor_b32_e32 v46, 1, v87
	v_bfe_u32 v87, v86, 20, 1
	v_add_nc_u32_e32 v87, -1, v87
	v_cndmask_b32_e64 v87, 0, v87, s16
	s_mov_b32 s16, exec_lo
	v_add_nc_u32_e32 v87, v87, v86
	v_and_b32_e32 v87, 0xfffff, v87
	v_add_nc_u32_e32 v60, v87, v86
	v_cmpx_ne_u32_e64 v112, v46
	s_xor_b32 s16, exec_lo, s16
; %bb.12778:                            ;   in Loop: Header=BB6_10551 Depth=3
	v_cmp_lt_u32_e32 vcc_lo, 0xffffff, v60
	v_sub_nc_u32_e32 v86, v112, v46
	v_cndmask_b32_e64 v87, 0, 1, vcc_lo
	v_add_co_ci_u32_e64 v74, null, 0, v86, vcc_lo
	v_lshrrev_b32_e32 v60, v87, v60
; %bb.12779:                            ;   in Loop: Header=BB6_10551 Depth=3
	s_andn2_saveexec_b32 s16, s16
; %bb.12780:                            ;   in Loop: Header=BB6_10551 Depth=3
	v_bfe_u32 v74, v60, 23, 1
; %bb.12781:                            ;   in Loop: Header=BB6_10551 Depth=3
	s_or_b32 exec_lo, exec_lo, s16
	v_lshrrev_b32_e32 v87, 20, v60
	v_min_i32_e32 v112, 15, v74
	v_cmp_gt_i32_e32 vcc_lo, 16, v74
	v_and_b32_sdwa v86, v113, v62 dst_sel:DWORD dst_unused:UNUSED_PAD src0_sel:BYTE_3 src1_sel:DWORD
	v_lshlrev_b32_e32 v112, 3, v112
	v_cndmask_b32_e32 v87, 7, v87, vcc_lo
	v_and_b32_e32 v112, 0xf8, v112
	v_or_b32_e32 v113, v74, v87
	v_and_b32_e32 v87, 7, v87
	v_cmp_ne_u32_e32 vcc_lo, 0, v113
	v_or3_b32 v86, v86, v112, v87
	v_lshlrev_b32_e32 v86, 8, v86
	v_cndmask_b32_e32 v112, 0, v86, vcc_lo
.LBB6_12782:                            ;   in Loop: Header=BB6_10551 Depth=3
	s_or_b32 exec_lo, exec_lo, s23
.LBB6_12783:                            ;   in Loop: Header=BB6_10551 Depth=3
	s_or_b32 exec_lo, exec_lo, s22
	v_and_b32_sdwa v113, v15, v72 dst_sel:DWORD dst_unused:UNUSED_PAD src0_sel:WORD_1 src1_sel:DWORD
	s_andn2_b32 vcc_lo, exec_lo, s19
	s_mov_b32 s22, -1
                                        ; implicit-def: $vgpr46
	v_cmp_lt_i16_e64 s16, 0x7f, v113
	s_cbranch_vccnz .LBB6_12797
; %bb.12784:                            ;   in Loop: Header=BB6_10551 Depth=3
	s_mov_b32 s22, 0
	s_and_saveexec_b32 s23, s16
	s_xor_b32 s16, exec_lo, s23
	s_cbranch_execz .LBB6_13349
; %bb.12785:                            ;   in Loop: Header=BB6_10551 Depth=3
	s_mov_b32 s22, -1
	s_mov_b32 s23, exec_lo
	v_cmpx_eq_u16_e32 0x80, v113
; %bb.12786:                            ;   in Loop: Header=BB6_10551 Depth=3
	s_xor_b32 s22, exec_lo, -1
; %bb.12787:                            ;   in Loop: Header=BB6_10551 Depth=3
	s_or_b32 exec_lo, exec_lo, s23
	s_and_b32 s22, s22, exec_lo
	s_or_saveexec_b32 s16, s16
	v_mov_b32_e32 v46, 0x7f800001
	s_xor_b32 exec_lo, exec_lo, s16
	s_cbranch_execnz .LBB6_13350
.LBB6_12788:                            ;   in Loop: Header=BB6_10551 Depth=3
	s_or_b32 exec_lo, exec_lo, s16
	s_and_saveexec_b32 s16, s22
	s_cbranch_execz .LBB6_12790
.LBB6_12789:                            ;   in Loop: Header=BB6_10551 Depth=3
	v_bfe_u32 v86, v15, 16, 3
	v_bfe_u32 v87, v15, 19, 4
	v_ffbh_u32_e32 v46, v86
	v_cmp_eq_u32_e32 vcc_lo, 0, v87
	v_min_u32_e32 v46, 32, v46
	v_subrev_nc_u32_e32 v60, 28, v46
	v_sub_nc_u32_e32 v46, 29, v46
	v_lshlrev_b32_sdwa v60, v60, v15 dst_sel:DWORD dst_unused:UNUSED_PAD src0_sel:DWORD src1_sel:WORD_1
	v_cndmask_b32_e32 v87, v87, v46, vcc_lo
	v_lshlrev_b32_sdwa v46, v73, v15 dst_sel:DWORD dst_unused:UNUSED_PAD src0_sel:DWORD src1_sel:WORD_1
	v_and_b32_e32 v60, 7, v60
	v_lshl_add_u32 v87, v87, 23, 0x3b800000
	v_and_b32_e32 v46, 0x80000000, v46
	v_cndmask_b32_e32 v86, v86, v60, vcc_lo
	v_lshlrev_b32_e32 v86, 20, v86
	v_or3_b32 v46, v46, v87, v86
.LBB6_12790:                            ;   in Loop: Header=BB6_10551 Depth=3
	s_or_b32 exec_lo, exec_lo, s16
	v_and_b32_sdwa v87, v11, v72 dst_sel:DWORD dst_unused:UNUSED_PAD src0_sel:WORD_1 src1_sel:DWORD
	s_mov_b32 s22, 0
	s_mov_b32 s16, exec_lo
	v_cmpx_lt_i16_e32 0x7f, v87
	s_xor_b32 s16, exec_lo, s16
	s_cbranch_execz .LBB6_13351
; %bb.12791:                            ;   in Loop: Header=BB6_10551 Depth=3
	s_mov_b32 s22, -1
	s_mov_b32 s23, exec_lo
	v_cmpx_eq_u16_e32 0x80, v87
; %bb.12792:                            ;   in Loop: Header=BB6_10551 Depth=3
	s_xor_b32 s22, exec_lo, -1
; %bb.12793:                            ;   in Loop: Header=BB6_10551 Depth=3
	s_or_b32 exec_lo, exec_lo, s23
	s_and_b32 s22, s22, exec_lo
                                        ; implicit-def: $vgpr87
	s_or_saveexec_b32 s16, s16
	v_mov_b32_e32 v86, 0x7f800001
	s_xor_b32 exec_lo, exec_lo, s16
	s_cbranch_execnz .LBB6_13352
.LBB6_12794:                            ;   in Loop: Header=BB6_10551 Depth=3
	s_or_b32 exec_lo, exec_lo, s16
	s_and_saveexec_b32 s16, s22
	s_cbranch_execz .LBB6_12796
.LBB6_12795:                            ;   in Loop: Header=BB6_10551 Depth=3
	v_bfe_u32 v86, v11, 16, 3
	v_bfe_u32 v87, v11, 19, 4
	v_ffbh_u32_e32 v60, v86
	v_cmp_eq_u32_e32 vcc_lo, 0, v87
	v_min_u32_e32 v60, 32, v60
	v_subrev_nc_u32_e32 v74, 28, v60
	v_sub_nc_u32_e32 v60, 29, v60
	v_lshlrev_b32_sdwa v74, v74, v11 dst_sel:DWORD dst_unused:UNUSED_PAD src0_sel:DWORD src1_sel:WORD_1
	v_cndmask_b32_e32 v87, v87, v60, vcc_lo
	v_lshlrev_b32_sdwa v60, v73, v11 dst_sel:DWORD dst_unused:UNUSED_PAD src0_sel:DWORD src1_sel:WORD_1
	v_and_b32_e32 v74, 7, v74
	v_lshl_add_u32 v87, v87, 23, 0x3b800000
	v_and_b32_e32 v60, 0x80000000, v60
	v_cndmask_b32_e32 v86, v86, v74, vcc_lo
	v_lshlrev_b32_e32 v86, 20, v86
	v_or3_b32 v86, v60, v87, v86
.LBB6_12796:                            ;   in Loop: Header=BB6_10551 Depth=3
	s_or_b32 exec_lo, exec_lo, s16
	v_max_f32_e32 v86, v86, v86
	v_max_f32_e32 v87, v46, v46
	s_mov_b32 s22, 0
	v_max_f32_e32 v46, v87, v86
.LBB6_12797:                            ;   in Loop: Header=BB6_10551 Depth=3
	s_and_b32 vcc_lo, exec_lo, s22
	s_cbranch_vccz .LBB6_12811
; %bb.12798:                            ;   in Loop: Header=BB6_10551 Depth=3
	s_mov_b32 s22, 0
	s_mov_b32 s16, exec_lo
	v_cmpx_lt_i16_e32 0x7f, v113
	s_xor_b32 s16, exec_lo, s16
	s_cbranch_execz .LBB6_13353
; %bb.12799:                            ;   in Loop: Header=BB6_10551 Depth=3
	s_mov_b32 s22, -1
	s_mov_b32 s23, exec_lo
	v_cmpx_eq_u16_e32 0x80, v113
; %bb.12800:                            ;   in Loop: Header=BB6_10551 Depth=3
	s_xor_b32 s22, exec_lo, -1
; %bb.12801:                            ;   in Loop: Header=BB6_10551 Depth=3
	s_or_b32 exec_lo, exec_lo, s23
	s_and_b32 s22, s22, exec_lo
                                        ; implicit-def: $vgpr113
	s_or_saveexec_b32 s16, s16
	v_mov_b32_e32 v46, 0x7f800001
	s_xor_b32 exec_lo, exec_lo, s16
	s_cbranch_execnz .LBB6_13354
.LBB6_12802:                            ;   in Loop: Header=BB6_10551 Depth=3
	s_or_b32 exec_lo, exec_lo, s16
	s_and_saveexec_b32 s16, s22
	s_cbranch_execz .LBB6_12804
.LBB6_12803:                            ;   in Loop: Header=BB6_10551 Depth=3
	v_bfe_u32 v86, v15, 16, 3
	v_bfe_u32 v87, v15, 19, 4
	v_ffbh_u32_e32 v113, v86
	v_cmp_eq_u32_e32 vcc_lo, 0, v87
	v_min_u32_e32 v113, 32, v113
	v_subrev_nc_u32_e32 v46, 28, v113
	v_sub_nc_u32_e32 v113, 29, v113
	v_lshlrev_b32_sdwa v46, v46, v15 dst_sel:DWORD dst_unused:UNUSED_PAD src0_sel:DWORD src1_sel:WORD_1
	v_cndmask_b32_e32 v87, v87, v113, vcc_lo
	v_lshlrev_b32_sdwa v113, v73, v15 dst_sel:DWORD dst_unused:UNUSED_PAD src0_sel:DWORD src1_sel:WORD_1
	v_and_b32_e32 v46, 7, v46
	v_lshl_add_u32 v87, v87, 23, 0x3b800000
	v_and_b32_e32 v113, 0x80000000, v113
	v_cndmask_b32_e32 v86, v86, v46, vcc_lo
	v_lshlrev_b32_e32 v86, 20, v86
	v_or3_b32 v46, v113, v87, v86
.LBB6_12804:                            ;   in Loop: Header=BB6_10551 Depth=3
	s_or_b32 exec_lo, exec_lo, s16
	v_and_b32_sdwa v87, v11, v72 dst_sel:DWORD dst_unused:UNUSED_PAD src0_sel:WORD_1 src1_sel:DWORD
	s_mov_b32 s22, 0
	s_mov_b32 s16, exec_lo
	v_cmpx_lt_i16_e32 0x7f, v87
	s_xor_b32 s16, exec_lo, s16
	s_cbranch_execz .LBB6_13355
; %bb.12805:                            ;   in Loop: Header=BB6_10551 Depth=3
	s_mov_b32 s22, -1
	s_mov_b32 s23, exec_lo
	v_cmpx_eq_u16_e32 0x80, v87
; %bb.12806:                            ;   in Loop: Header=BB6_10551 Depth=3
	s_xor_b32 s22, exec_lo, -1
; %bb.12807:                            ;   in Loop: Header=BB6_10551 Depth=3
	s_or_b32 exec_lo, exec_lo, s23
	s_and_b32 s22, s22, exec_lo
                                        ; implicit-def: $vgpr87
	s_or_saveexec_b32 s16, s16
	v_mov_b32_e32 v86, 0x7f800001
	s_xor_b32 exec_lo, exec_lo, s16
	s_cbranch_execnz .LBB6_13356
.LBB6_12808:                            ;   in Loop: Header=BB6_10551 Depth=3
	s_or_b32 exec_lo, exec_lo, s16
	s_and_saveexec_b32 s16, s22
	s_cbranch_execz .LBB6_12810
.LBB6_12809:                            ;   in Loop: Header=BB6_10551 Depth=3
	v_bfe_u32 v86, v11, 16, 3
	v_bfe_u32 v87, v11, 19, 4
	v_ffbh_u32_e32 v113, v86
	v_cmp_eq_u32_e32 vcc_lo, 0, v87
	v_min_u32_e32 v113, 32, v113
	v_subrev_nc_u32_e32 v60, 28, v113
	v_sub_nc_u32_e32 v113, 29, v113
	v_lshlrev_b32_sdwa v60, v60, v11 dst_sel:DWORD dst_unused:UNUSED_PAD src0_sel:DWORD src1_sel:WORD_1
	v_cndmask_b32_e32 v87, v87, v113, vcc_lo
	v_lshlrev_b32_sdwa v113, v73, v11 dst_sel:DWORD dst_unused:UNUSED_PAD src0_sel:DWORD src1_sel:WORD_1
	v_and_b32_e32 v60, 7, v60
	v_lshl_add_u32 v87, v87, 23, 0x3b800000
	v_and_b32_e32 v113, 0x80000000, v113
	v_cndmask_b32_e32 v86, v86, v60, vcc_lo
	v_lshlrev_b32_e32 v86, 20, v86
	v_or3_b32 v86, v113, v87, v86
.LBB6_12810:                            ;   in Loop: Header=BB6_10551 Depth=3
	s_or_b32 exec_lo, exec_lo, s16
	v_max_f32_e32 v86, v86, v86
	v_max_f32_e32 v87, v46, v46
	v_min_f32_e32 v46, v87, v86
.LBB6_12811:                            ;   in Loop: Header=BB6_10551 Depth=3
	v_and_b32_e32 v86, 0x7f800000, v46
	v_mov_b32_e32 v113, 0x80
	s_mov_b32 s22, exec_lo
	v_cmpx_ne_u32_e32 0x7f800000, v86
	s_cbranch_execz .LBB6_12819
; %bb.12812:                            ;   in Loop: Header=BB6_10551 Depth=3
	v_mov_b32_e32 v113, 0
	s_mov_b32 s23, exec_lo
	v_cmpx_ne_u32_e32 0, v46
	s_cbranch_execz .LBB6_12818
; %bb.12813:                            ;   in Loop: Header=BB6_10551 Depth=3
	v_bfe_u32 v87, v46, 23, 8
	v_and_b32_e32 v86, 0x7fffff, v46
                                        ; implicit-def: $vgpr88
	v_cmp_gt_u32_e64 s16, 0x79, v87
	v_sub_nc_u32_e32 v113, 0x78, v87
	v_cmp_eq_u32_e32 vcc_lo, 0, v87
	v_or_b32_e32 v60, 0x800000, v86
	v_add_nc_u32_e32 v87, 0xffffff89, v87
	v_cndmask_b32_e64 v113, 0, v113, s16
	v_cndmask_b32_e32 v86, v60, v86, vcc_lo
	v_cndmask_b32_e64 v87, v87, 0xffffff8a, vcc_lo
	v_cndmask_b32_e64 v113, v113, 0x77, vcc_lo
	v_lshl_add_u32 v60, 0x100000, v113, -1
	v_lshlrev_b32_e64 v74, v113, 0x80000
	v_and_b32_e32 v60, v60, v86
	v_lshrrev_b32_e32 v86, v113, v86
	v_add_nc_u32_e32 v113, v113, v87
	v_cmp_eq_u32_e64 s16, v60, v74
	v_lshrrev_b32_e32 v87, 23, v86
	v_xor_b32_e32 v60, 1, v87
	v_bfe_u32 v87, v86, 20, 1
	v_add_nc_u32_e32 v87, -1, v87
	v_cndmask_b32_e64 v87, 0, v87, s16
	s_mov_b32 s16, exec_lo
	v_add_nc_u32_e32 v87, v87, v86
	v_and_b32_e32 v87, 0xfffff, v87
	v_add_nc_u32_e32 v74, v87, v86
	v_cmpx_ne_u32_e64 v113, v60
	s_xor_b32 s16, exec_lo, s16
; %bb.12814:                            ;   in Loop: Header=BB6_10551 Depth=3
	v_cmp_lt_u32_e32 vcc_lo, 0xffffff, v74
	v_sub_nc_u32_e32 v86, v113, v60
	v_cndmask_b32_e64 v87, 0, 1, vcc_lo
	v_add_co_ci_u32_e64 v88, null, 0, v86, vcc_lo
	v_lshrrev_b32_e32 v74, v87, v74
; %bb.12815:                            ;   in Loop: Header=BB6_10551 Depth=3
	s_andn2_saveexec_b32 s16, s16
; %bb.12816:                            ;   in Loop: Header=BB6_10551 Depth=3
	v_bfe_u32 v88, v74, 23, 1
; %bb.12817:                            ;   in Loop: Header=BB6_10551 Depth=3
	s_or_b32 exec_lo, exec_lo, s16
	v_lshrrev_b32_e32 v87, 20, v74
	v_min_i32_e32 v113, 15, v88
	v_cmp_gt_i32_e32 vcc_lo, 16, v88
	v_and_b32_sdwa v86, v46, v62 dst_sel:DWORD dst_unused:UNUSED_PAD src0_sel:BYTE_3 src1_sel:DWORD
	v_lshlrev_b32_e32 v113, 3, v113
	v_cndmask_b32_e32 v87, 7, v87, vcc_lo
	v_and_b32_e32 v113, 0xf8, v113
	v_or_b32_e32 v46, v88, v87
	v_and_b32_e32 v87, 7, v87
	v_cmp_ne_u32_e32 vcc_lo, 0, v46
	v_or3_b32 v86, v113, v86, v87
	v_cndmask_b32_e32 v113, 0, v86, vcc_lo
.LBB6_12818:                            ;   in Loop: Header=BB6_10551 Depth=3
	s_or_b32 exec_lo, exec_lo, s23
.LBB6_12819:                            ;   in Loop: Header=BB6_10551 Depth=3
	s_or_b32 exec_lo, exec_lo, s22
	v_cmp_gt_i16_sdwa s22, v15, v61 src0_sel:BYTE_3 src1_sel:DWORD
	s_andn2_b32 vcc_lo, exec_lo, s19
	s_mov_b32 s16, -1
                                        ; implicit-def: $vgpr46
	s_cbranch_vccnz .LBB6_12833
; %bb.12820:                            ;   in Loop: Header=BB6_10551 Depth=3
	s_mov_b32 s16, 0
	s_and_saveexec_b32 s23, s22
	s_xor_b32 s22, exec_lo, s23
	s_cbranch_execz .LBB6_13357
; %bb.12821:                            ;   in Loop: Header=BB6_10551 Depth=3
	v_cmp_eq_u16_sdwa s73, v15, v62 src0_sel:BYTE_3 src1_sel:DWORD
	s_mov_b32 s16, -1
	s_and_saveexec_b32 s23, s73
; %bb.12822:                            ;   in Loop: Header=BB6_10551 Depth=3
	s_xor_b32 s16, exec_lo, -1
; %bb.12823:                            ;   in Loop: Header=BB6_10551 Depth=3
	s_or_b32 exec_lo, exec_lo, s23
	s_and_b32 s16, s16, exec_lo
	s_or_saveexec_b32 s22, s22
	v_mov_b32_e32 v46, 0x7f800001
	s_xor_b32 exec_lo, exec_lo, s22
	s_cbranch_execnz .LBB6_13358
.LBB6_12824:                            ;   in Loop: Header=BB6_10551 Depth=3
	s_or_b32 exec_lo, exec_lo, s22
	s_and_saveexec_b32 s22, s16
	s_cbranch_execz .LBB6_12826
.LBB6_12825:                            ;   in Loop: Header=BB6_10551 Depth=3
	v_bfe_u32 v86, v15, 24, 3
	v_bfe_u32 v60, v15, 27, 4
	v_ffbh_u32_e32 v87, v86
	v_cmp_eq_u32_e32 vcc_lo, 0, v60
	v_min_u32_e32 v87, 32, v87
	v_subrev_nc_u32_e32 v46, 28, v87
	v_sub_nc_u32_e32 v87, 29, v87
	v_lshlrev_b32_sdwa v46, v46, v15 dst_sel:DWORD dst_unused:UNUSED_PAD src0_sel:DWORD src1_sel:BYTE_3
	v_cndmask_b32_e32 v87, v60, v87, vcc_lo
	v_and_b32_e32 v46, 7, v46
	v_lshl_add_u32 v87, v87, 23, 0x3b800000
	v_cndmask_b32_e32 v86, v86, v46, vcc_lo
	v_and_b32_e32 v46, 0x80000000, v15
	v_lshlrev_b32_e32 v86, 20, v86
	v_or3_b32 v46, v46, v87, v86
.LBB6_12826:                            ;   in Loop: Header=BB6_10551 Depth=3
	s_or_b32 exec_lo, exec_lo, s22
	v_cmp_gt_i16_sdwa s22, v11, v61 src0_sel:BYTE_3 src1_sel:DWORD
	s_mov_b32 s16, 0
	s_and_saveexec_b32 s23, s22
	s_xor_b32 s22, exec_lo, s23
	s_cbranch_execz .LBB6_13359
; %bb.12827:                            ;   in Loop: Header=BB6_10551 Depth=3
	v_cmp_eq_u16_sdwa s73, v11, v62 src0_sel:BYTE_3 src1_sel:DWORD
	s_mov_b32 s16, -1
	s_and_saveexec_b32 s23, s73
; %bb.12828:                            ;   in Loop: Header=BB6_10551 Depth=3
	s_xor_b32 s16, exec_lo, -1
; %bb.12829:                            ;   in Loop: Header=BB6_10551 Depth=3
	s_or_b32 exec_lo, exec_lo, s23
	s_and_b32 s16, s16, exec_lo
	s_or_saveexec_b32 s22, s22
	v_mov_b32_e32 v86, 0x7f800001
	s_xor_b32 exec_lo, exec_lo, s22
	s_cbranch_execnz .LBB6_13360
.LBB6_12830:                            ;   in Loop: Header=BB6_10551 Depth=3
	s_or_b32 exec_lo, exec_lo, s22
	s_and_saveexec_b32 s22, s16
	s_cbranch_execz .LBB6_12832
.LBB6_12831:                            ;   in Loop: Header=BB6_10551 Depth=3
	v_bfe_u32 v86, v11, 24, 3
	v_bfe_u32 v74, v11, 27, 4
	v_ffbh_u32_e32 v87, v86
	v_cmp_eq_u32_e32 vcc_lo, 0, v74
	v_min_u32_e32 v87, 32, v87
	v_subrev_nc_u32_e32 v60, 28, v87
	v_sub_nc_u32_e32 v87, 29, v87
	v_lshlrev_b32_sdwa v60, v60, v11 dst_sel:DWORD dst_unused:UNUSED_PAD src0_sel:DWORD src1_sel:BYTE_3
	v_cndmask_b32_e32 v87, v74, v87, vcc_lo
	v_and_b32_e32 v60, 7, v60
	v_lshl_add_u32 v87, v87, 23, 0x3b800000
	v_cndmask_b32_e32 v86, v86, v60, vcc_lo
	v_and_b32_e32 v60, 0x80000000, v11
	v_lshlrev_b32_e32 v86, 20, v86
	v_or3_b32 v86, v60, v87, v86
.LBB6_12832:                            ;   in Loop: Header=BB6_10551 Depth=3
	s_or_b32 exec_lo, exec_lo, s22
	v_max_f32_e32 v86, v86, v86
	v_max_f32_e32 v87, v46, v46
	s_mov_b32 s16, 0
	v_max_f32_e32 v46, v87, v86
.LBB6_12833:                            ;   in Loop: Header=BB6_10551 Depth=3
	s_and_b32 vcc_lo, exec_lo, s16
	s_cbranch_vccz .LBB6_12847
; %bb.12834:                            ;   in Loop: Header=BB6_10551 Depth=3
	v_cmp_gt_i16_sdwa s22, v15, v61 src0_sel:BYTE_3 src1_sel:DWORD
	s_mov_b32 s16, 0
	s_and_saveexec_b32 s23, s22
	s_xor_b32 s22, exec_lo, s23
	s_cbranch_execz .LBB6_13361
; %bb.12835:                            ;   in Loop: Header=BB6_10551 Depth=3
	v_cmp_eq_u16_sdwa s73, v15, v62 src0_sel:BYTE_3 src1_sel:DWORD
	s_mov_b32 s16, -1
	s_and_saveexec_b32 s23, s73
; %bb.12836:                            ;   in Loop: Header=BB6_10551 Depth=3
	s_xor_b32 s16, exec_lo, -1
; %bb.12837:                            ;   in Loop: Header=BB6_10551 Depth=3
	s_or_b32 exec_lo, exec_lo, s23
	s_and_b32 s16, s16, exec_lo
	s_or_saveexec_b32 s22, s22
	v_mov_b32_e32 v46, 0x7f800001
	s_xor_b32 exec_lo, exec_lo, s22
	s_cbranch_execnz .LBB6_13362
.LBB6_12838:                            ;   in Loop: Header=BB6_10551 Depth=3
	s_or_b32 exec_lo, exec_lo, s22
	s_and_saveexec_b32 s22, s16
	s_cbranch_execz .LBB6_12840
.LBB6_12839:                            ;   in Loop: Header=BB6_10551 Depth=3
	v_bfe_u32 v86, v15, 24, 3
	v_bfe_u32 v60, v15, 27, 4
	v_ffbh_u32_e32 v87, v86
	v_cmp_eq_u32_e32 vcc_lo, 0, v60
	v_min_u32_e32 v87, 32, v87
	v_subrev_nc_u32_e32 v46, 28, v87
	v_sub_nc_u32_e32 v87, 29, v87
	v_lshlrev_b32_sdwa v46, v46, v15 dst_sel:DWORD dst_unused:UNUSED_PAD src0_sel:DWORD src1_sel:BYTE_3
	v_cndmask_b32_e32 v87, v60, v87, vcc_lo
	v_and_b32_e32 v15, 0x80000000, v15
	v_and_b32_e32 v46, 7, v46
	v_lshl_add_u32 v87, v87, 23, 0x3b800000
	v_cndmask_b32_e32 v86, v86, v46, vcc_lo
	v_lshlrev_b32_e32 v86, 20, v86
	v_or3_b32 v46, v15, v87, v86
.LBB6_12840:                            ;   in Loop: Header=BB6_10551 Depth=3
	s_or_b32 exec_lo, exec_lo, s22
	v_cmp_gt_i16_sdwa s22, v11, v61 src0_sel:BYTE_3 src1_sel:DWORD
	s_mov_b32 s16, 0
	s_and_saveexec_b32 s23, s22
	s_xor_b32 s22, exec_lo, s23
	s_cbranch_execz .LBB6_13363
; %bb.12841:                            ;   in Loop: Header=BB6_10551 Depth=3
	v_cmp_eq_u16_sdwa s73, v11, v62 src0_sel:BYTE_3 src1_sel:DWORD
	s_mov_b32 s16, -1
	s_and_saveexec_b32 s23, s73
; %bb.12842:                            ;   in Loop: Header=BB6_10551 Depth=3
	s_xor_b32 s16, exec_lo, -1
; %bb.12843:                            ;   in Loop: Header=BB6_10551 Depth=3
	s_or_b32 exec_lo, exec_lo, s23
	s_and_b32 s16, s16, exec_lo
	s_or_saveexec_b32 s22, s22
	v_mov_b32_e32 v15, 0x7f800001
	s_xor_b32 exec_lo, exec_lo, s22
	s_cbranch_execnz .LBB6_13364
.LBB6_12844:                            ;   in Loop: Header=BB6_10551 Depth=3
	s_or_b32 exec_lo, exec_lo, s22
	s_and_saveexec_b32 s22, s16
	s_cbranch_execz .LBB6_12846
.LBB6_12845:                            ;   in Loop: Header=BB6_10551 Depth=3
	v_bfe_u32 v15, v11, 24, 3
	v_bfe_u32 v60, v11, 27, 4
	v_ffbh_u32_e32 v86, v15
	v_cmp_eq_u32_e32 vcc_lo, 0, v60
	v_min_u32_e32 v86, 32, v86
	v_subrev_nc_u32_e32 v87, 28, v86
	v_sub_nc_u32_e32 v86, 29, v86
	v_lshlrev_b32_sdwa v87, v87, v11 dst_sel:DWORD dst_unused:UNUSED_PAD src0_sel:DWORD src1_sel:BYTE_3
	v_cndmask_b32_e32 v86, v60, v86, vcc_lo
	v_and_b32_e32 v11, 0x80000000, v11
	v_and_b32_e32 v87, 7, v87
	v_lshl_add_u32 v86, v86, 23, 0x3b800000
	v_cndmask_b32_e32 v15, v15, v87, vcc_lo
	v_lshlrev_b32_e32 v15, 20, v15
	v_or3_b32 v15, v11, v86, v15
.LBB6_12846:                            ;   in Loop: Header=BB6_10551 Depth=3
	s_or_b32 exec_lo, exec_lo, s22
	v_max_f32_e32 v11, v15, v15
	v_max_f32_e32 v15, v46, v46
	v_min_f32_e32 v46, v15, v11
.LBB6_12847:                            ;   in Loop: Header=BB6_10551 Depth=3
	v_and_b32_e32 v11, 0x7f800000, v46
	v_cmp_ne_u32_e32 vcc_lo, 0x7f800000, v11
	v_mov_b32_e32 v11, 0x8000
	s_and_saveexec_b32 s22, vcc_lo
	s_cbranch_execz .LBB6_10550
; %bb.12848:                            ;   in Loop: Header=BB6_10551 Depth=3
	v_mov_b32_e32 v11, 0
	s_mov_b32 s23, exec_lo
	v_cmpx_ne_u32_e32 0, v46
	s_cbranch_execz .LBB6_10549
; %bb.12849:                            ;   in Loop: Header=BB6_10551 Depth=3
	v_bfe_u32 v15, v46, 23, 8
	v_and_b32_e32 v11, 0x7fffff, v46
                                        ; implicit-def: $vgpr74
	v_cmp_gt_u32_e64 s16, 0x79, v15
	v_sub_nc_u32_e32 v86, 0x78, v15
	v_cmp_eq_u32_e32 vcc_lo, 0, v15
	v_or_b32_e32 v87, 0x800000, v11
	v_cndmask_b32_e64 v86, 0, v86, s16
	v_cndmask_b32_e32 v11, v87, v11, vcc_lo
	v_cndmask_b32_e64 v86, v86, 0x77, vcc_lo
	v_lshl_add_u32 v87, 0x100000, v86, -1
	v_lshlrev_b32_e64 v60, v86, 0x80000
	v_and_b32_e32 v87, v87, v11
	v_cmp_eq_u32_e64 s16, v87, v60
	v_lshrrev_b32_e32 v87, v86, v11
	v_add_nc_u32_e32 v11, 0xffffff89, v15
	v_lshrrev_b32_e32 v15, 23, v87
	v_cndmask_b32_e64 v11, v11, 0xffffff8a, vcc_lo
	v_xor_b32_e32 v15, 1, v15
	v_add_nc_u32_e32 v11, v86, v11
	v_bfe_u32 v86, v87, 20, 1
	v_add_nc_u32_e32 v86, -1, v86
	v_cndmask_b32_e64 v86, 0, v86, s16
	s_mov_b32 s16, exec_lo
	v_add_nc_u32_e32 v86, v86, v87
	v_and_b32_e32 v86, 0xfffff, v86
	v_add_nc_u32_e32 v60, v86, v87
	v_cmpx_ne_u32_e64 v11, v15
	s_xor_b32 s16, exec_lo, s16
; %bb.12850:                            ;   in Loop: Header=BB6_10551 Depth=3
	v_cmp_lt_u32_e32 vcc_lo, 0xffffff, v60
	v_sub_nc_u32_e32 v11, v11, v15
	v_cndmask_b32_e64 v15, 0, 1, vcc_lo
	v_add_co_ci_u32_e64 v74, null, 0, v11, vcc_lo
	v_lshrrev_b32_e32 v60, v15, v60
; %bb.12851:                            ;   in Loop: Header=BB6_10551 Depth=3
	s_andn2_saveexec_b32 s16, s16
	s_cbranch_execz .LBB6_10548
; %bb.12852:                            ;   in Loop: Header=BB6_10551 Depth=3
	v_bfe_u32 v74, v60, 23, 1
	s_branch .LBB6_10548
.LBB6_12853:                            ;   in Loop: Header=BB6_10551 Depth=3
	s_or_saveexec_b32 s22, s22
	v_mov_b32_e32 v1, 0x7f800001
	s_xor_b32 exec_lo, exec_lo, s22
	s_cbranch_execz .LBB6_10556
.LBB6_12854:                            ;   in Loop: Header=BB6_10551 Depth=3
	v_cmp_ne_u16_sdwa s23, v48, v2 src0_sel:BYTE_0 src1_sel:DWORD
	v_mov_b32_e32 v1, 0
	s_andn2_b32 s16, s16, exec_lo
	s_and_b32 s23, s23, exec_lo
	s_or_b32 s16, s16, s23
	s_or_b32 exec_lo, exec_lo, s22
	s_and_saveexec_b32 s22, s16
	s_cbranch_execnz .LBB6_10557
	s_branch .LBB6_10558
.LBB6_12855:                            ;   in Loop: Header=BB6_10551 Depth=3
	s_or_saveexec_b32 s22, s22
	v_mov_b32_e32 v4, 0x7f800001
	s_xor_b32 exec_lo, exec_lo, s22
	s_cbranch_execz .LBB6_10562
.LBB6_12856:                            ;   in Loop: Header=BB6_10551 Depth=3
	v_cmp_ne_u16_sdwa s23, v36, v2 src0_sel:BYTE_0 src1_sel:DWORD
	v_mov_b32_e32 v4, 0
	s_andn2_b32 s16, s16, exec_lo
	s_and_b32 s23, s23, exec_lo
	s_or_b32 s16, s16, s23
	s_or_b32 exec_lo, exec_lo, s22
	s_and_saveexec_b32 s22, s16
	s_cbranch_execnz .LBB6_10563
	s_branch .LBB6_10564
.LBB6_12857:                            ;   in Loop: Header=BB6_10551 Depth=3
	s_or_saveexec_b32 s22, s22
	v_mov_b32_e32 v1, 0x7f800001
	s_xor_b32 exec_lo, exec_lo, s22
	s_cbranch_execz .LBB6_10570
.LBB6_12858:                            ;   in Loop: Header=BB6_10551 Depth=3
	v_cmp_ne_u16_sdwa s23, v48, v2 src0_sel:BYTE_0 src1_sel:DWORD
	v_mov_b32_e32 v1, 0
	s_andn2_b32 s16, s16, exec_lo
	s_and_b32 s23, s23, exec_lo
	s_or_b32 s16, s16, s23
	s_or_b32 exec_lo, exec_lo, s22
	s_and_saveexec_b32 s22, s16
	s_cbranch_execnz .LBB6_10571
	s_branch .LBB6_10572
.LBB6_12859:                            ;   in Loop: Header=BB6_10551 Depth=3
	s_or_saveexec_b32 s22, s22
	v_mov_b32_e32 v4, 0x7f800001
	s_xor_b32 exec_lo, exec_lo, s22
	s_cbranch_execz .LBB6_10576
.LBB6_12860:                            ;   in Loop: Header=BB6_10551 Depth=3
	v_cmp_ne_u16_sdwa s23, v36, v2 src0_sel:BYTE_0 src1_sel:DWORD
	v_mov_b32_e32 v4, 0
	s_andn2_b32 s16, s16, exec_lo
	s_and_b32 s23, s23, exec_lo
	s_or_b32 s16, s16, s23
	s_or_b32 exec_lo, exec_lo, s22
	s_and_saveexec_b32 s22, s16
	s_cbranch_execnz .LBB6_10577
	s_branch .LBB6_10578
.LBB6_12861:                            ;   in Loop: Header=BB6_10551 Depth=3
	s_or_saveexec_b32 s22, s22
	v_mov_b32_e32 v1, 0x7f800001
	s_xor_b32 exec_lo, exec_lo, s22
	s_cbranch_execz .LBB6_10592
.LBB6_12862:                            ;   in Loop: Header=BB6_10551 Depth=3
	v_cmp_ne_u16_sdwa s23, v48, v2 src0_sel:BYTE_1 src1_sel:DWORD
	v_mov_b32_e32 v1, 0
	s_andn2_b32 s16, s16, exec_lo
	s_and_b32 s23, s23, exec_lo
	s_or_b32 s16, s16, s23
	s_or_b32 exec_lo, exec_lo, s22
	s_and_saveexec_b32 s22, s16
	s_cbranch_execnz .LBB6_10593
	s_branch .LBB6_10594
.LBB6_12863:                            ;   in Loop: Header=BB6_10551 Depth=3
	s_or_saveexec_b32 s22, s22
	v_mov_b32_e32 v4, 0x7f800001
	s_xor_b32 exec_lo, exec_lo, s22
	s_cbranch_execz .LBB6_10598
.LBB6_12864:                            ;   in Loop: Header=BB6_10551 Depth=3
	v_cmp_ne_u16_sdwa s23, v36, v2 src0_sel:BYTE_1 src1_sel:DWORD
	v_mov_b32_e32 v4, 0
	s_andn2_b32 s16, s16, exec_lo
	s_and_b32 s23, s23, exec_lo
	s_or_b32 s16, s16, s23
	s_or_b32 exec_lo, exec_lo, s22
	s_and_saveexec_b32 s22, s16
	s_cbranch_execnz .LBB6_10599
	s_branch .LBB6_10600
.LBB6_12865:                            ;   in Loop: Header=BB6_10551 Depth=3
	s_or_saveexec_b32 s22, s22
	v_mov_b32_e32 v1, 0x7f800001
	s_xor_b32 exec_lo, exec_lo, s22
	s_cbranch_execz .LBB6_10606
.LBB6_12866:                            ;   in Loop: Header=BB6_10551 Depth=3
	v_cmp_ne_u16_sdwa s23, v48, v2 src0_sel:BYTE_1 src1_sel:DWORD
	v_mov_b32_e32 v1, 0
	s_andn2_b32 s16, s16, exec_lo
	s_and_b32 s23, s23, exec_lo
	s_or_b32 s16, s16, s23
	s_or_b32 exec_lo, exec_lo, s22
	s_and_saveexec_b32 s22, s16
	s_cbranch_execnz .LBB6_10607
	s_branch .LBB6_10608
.LBB6_12867:                            ;   in Loop: Header=BB6_10551 Depth=3
	s_or_saveexec_b32 s22, s22
	v_mov_b32_e32 v4, 0x7f800001
	s_xor_b32 exec_lo, exec_lo, s22
	s_cbranch_execz .LBB6_10612
.LBB6_12868:                            ;   in Loop: Header=BB6_10551 Depth=3
	v_cmp_ne_u16_sdwa s23, v36, v2 src0_sel:BYTE_1 src1_sel:DWORD
	v_mov_b32_e32 v4, 0
	s_andn2_b32 s16, s16, exec_lo
	s_and_b32 s23, s23, exec_lo
	s_or_b32 s16, s16, s23
	s_or_b32 exec_lo, exec_lo, s22
	s_and_saveexec_b32 s22, s16
	s_cbranch_execnz .LBB6_10613
	s_branch .LBB6_10614
.LBB6_12869:                            ;   in Loop: Header=BB6_10551 Depth=3
	s_or_saveexec_b32 s16, s16
	v_mov_b32_e32 v4, 0x7f800001
	s_xor_b32 exec_lo, exec_lo, s16
	s_cbranch_execz .LBB6_10628
.LBB6_12870:                            ;   in Loop: Header=BB6_10551 Depth=3
	v_cmp_ne_u16_e32 vcc_lo, 0, v1
	v_mov_b32_e32 v4, 0
	s_andn2_b32 s22, s22, exec_lo
	s_and_b32 s23, vcc_lo, exec_lo
	s_or_b32 s22, s22, s23
	s_or_b32 exec_lo, exec_lo, s16
	s_and_saveexec_b32 s16, s22
	s_cbranch_execnz .LBB6_10629
	s_branch .LBB6_10630
.LBB6_12871:                            ;   in Loop: Header=BB6_10551 Depth=3
	s_or_saveexec_b32 s22, s22
	v_mov_b32_e32 v5, 0x7f800001
	s_xor_b32 exec_lo, exec_lo, s22
	s_cbranch_execz .LBB6_10634
.LBB6_12872:                            ;   in Loop: Header=BB6_10551 Depth=3
	v_cmp_ne_u16_e32 vcc_lo, 0, v28
	v_mov_b32_e32 v5, 0
	s_andn2_b32 s16, s16, exec_lo
	s_and_b32 s23, vcc_lo, exec_lo
	s_or_b32 s16, s16, s23
	s_or_b32 exec_lo, exec_lo, s22
	s_and_saveexec_b32 s22, s16
	s_cbranch_execnz .LBB6_10635
	s_branch .LBB6_10636
.LBB6_12873:                            ;   in Loop: Header=BB6_10551 Depth=3
	s_or_saveexec_b32 s22, s22
	v_mov_b32_e32 v4, 0x7f800001
	s_xor_b32 exec_lo, exec_lo, s22
	s_cbranch_execz .LBB6_10642
.LBB6_12874:                            ;   in Loop: Header=BB6_10551 Depth=3
	v_cmp_ne_u16_e32 vcc_lo, 0, v1
	v_mov_b32_e32 v4, 0
	s_andn2_b32 s16, s16, exec_lo
	s_and_b32 s23, vcc_lo, exec_lo
	s_or_b32 s16, s16, s23
	s_or_b32 exec_lo, exec_lo, s22
	s_and_saveexec_b32 s22, s16
	s_cbranch_execnz .LBB6_10643
	s_branch .LBB6_10644
.LBB6_12875:                            ;   in Loop: Header=BB6_10551 Depth=3
	s_or_saveexec_b32 s22, s22
	v_mov_b32_e32 v1, 0x7f800001
	s_xor_b32 exec_lo, exec_lo, s22
	s_cbranch_execz .LBB6_10648
.LBB6_12876:                            ;   in Loop: Header=BB6_10551 Depth=3
	v_cmp_ne_u16_e32 vcc_lo, 0, v5
	v_mov_b32_e32 v1, 0
	s_andn2_b32 s16, s16, exec_lo
	s_and_b32 s23, vcc_lo, exec_lo
	s_or_b32 s16, s16, s23
	s_or_b32 exec_lo, exec_lo, s22
	s_and_saveexec_b32 s22, s16
	s_cbranch_execnz .LBB6_10649
	s_branch .LBB6_10650
.LBB6_12877:                            ;   in Loop: Header=BB6_10551 Depth=3
	s_or_saveexec_b32 s22, s22
	v_mov_b32_e32 v1, 0x7f800001
	s_xor_b32 exec_lo, exec_lo, s22
	s_cbranch_execz .LBB6_10664
.LBB6_12878:                            ;   in Loop: Header=BB6_10551 Depth=3
	v_cmp_ne_u16_sdwa s23, v48, v2 src0_sel:BYTE_3 src1_sel:DWORD
	v_mov_b32_e32 v1, 0
	s_andn2_b32 s16, s16, exec_lo
	s_and_b32 s23, s23, exec_lo
	s_or_b32 s16, s16, s23
	s_or_b32 exec_lo, exec_lo, s22
	s_and_saveexec_b32 s22, s16
	s_cbranch_execnz .LBB6_10665
	s_branch .LBB6_10666
.LBB6_12879:                            ;   in Loop: Header=BB6_10551 Depth=3
	s_or_saveexec_b32 s22, s22
	v_mov_b32_e32 v4, 0x7f800001
	s_xor_b32 exec_lo, exec_lo, s22
	s_cbranch_execz .LBB6_10670
.LBB6_12880:                            ;   in Loop: Header=BB6_10551 Depth=3
	v_cmp_ne_u16_sdwa s23, v36, v2 src0_sel:BYTE_3 src1_sel:DWORD
	v_mov_b32_e32 v4, 0
	s_andn2_b32 s16, s16, exec_lo
	s_and_b32 s23, s23, exec_lo
	s_or_b32 s16, s16, s23
	s_or_b32 exec_lo, exec_lo, s22
	s_and_saveexec_b32 s22, s16
	s_cbranch_execnz .LBB6_10671
	s_branch .LBB6_10672
.LBB6_12881:                            ;   in Loop: Header=BB6_10551 Depth=3
	s_or_saveexec_b32 s22, s22
	v_mov_b32_e32 v1, 0x7f800001
	s_xor_b32 exec_lo, exec_lo, s22
	s_cbranch_execz .LBB6_10678
.LBB6_12882:                            ;   in Loop: Header=BB6_10551 Depth=3
	v_cmp_ne_u16_sdwa s23, v48, v2 src0_sel:BYTE_3 src1_sel:DWORD
	v_mov_b32_e32 v1, 0
	s_andn2_b32 s16, s16, exec_lo
	s_and_b32 s23, s23, exec_lo
	s_or_b32 s16, s16, s23
	s_or_b32 exec_lo, exec_lo, s22
	s_and_saveexec_b32 s22, s16
	s_cbranch_execnz .LBB6_10679
	s_branch .LBB6_10680
.LBB6_12883:                            ;   in Loop: Header=BB6_10551 Depth=3
	s_or_saveexec_b32 s22, s22
	v_mov_b32_e32 v4, 0x7f800001
	s_xor_b32 exec_lo, exec_lo, s22
	s_cbranch_execz .LBB6_10684
.LBB6_12884:                            ;   in Loop: Header=BB6_10551 Depth=3
	v_cmp_ne_u16_sdwa s23, v36, v2 src0_sel:BYTE_3 src1_sel:DWORD
	v_mov_b32_e32 v4, 0
	s_andn2_b32 s16, s16, exec_lo
	s_and_b32 s23, s23, exec_lo
	s_or_b32 s16, s16, s23
	s_or_b32 exec_lo, exec_lo, s22
	s_and_saveexec_b32 s22, s16
	s_cbranch_execnz .LBB6_10685
	s_branch .LBB6_10686
.LBB6_12885:                            ;   in Loop: Header=BB6_10551 Depth=3
	s_or_saveexec_b32 s22, s22
	v_mov_b32_e32 v1, 0x7f800001
	s_xor_b32 exec_lo, exec_lo, s22
	s_cbranch_execz .LBB6_10700
.LBB6_12886:                            ;   in Loop: Header=BB6_10551 Depth=3
	v_cmp_ne_u16_sdwa s23, v49, v2 src0_sel:BYTE_0 src1_sel:DWORD
	v_mov_b32_e32 v1, 0
	s_andn2_b32 s16, s16, exec_lo
	s_and_b32 s23, s23, exec_lo
	s_or_b32 s16, s16, s23
	s_or_b32 exec_lo, exec_lo, s22
	s_and_saveexec_b32 s22, s16
	s_cbranch_execnz .LBB6_10701
	s_branch .LBB6_10702
.LBB6_12887:                            ;   in Loop: Header=BB6_10551 Depth=3
	s_or_saveexec_b32 s22, s22
	v_mov_b32_e32 v4, 0x7f800001
	s_xor_b32 exec_lo, exec_lo, s22
	s_cbranch_execz .LBB6_10706
.LBB6_12888:                            ;   in Loop: Header=BB6_10551 Depth=3
	v_cmp_ne_u16_sdwa s23, v37, v2 src0_sel:BYTE_0 src1_sel:DWORD
	v_mov_b32_e32 v4, 0
	s_andn2_b32 s16, s16, exec_lo
	s_and_b32 s23, s23, exec_lo
	s_or_b32 s16, s16, s23
	s_or_b32 exec_lo, exec_lo, s22
	s_and_saveexec_b32 s22, s16
	s_cbranch_execnz .LBB6_10707
	s_branch .LBB6_10708
.LBB6_12889:                            ;   in Loop: Header=BB6_10551 Depth=3
	s_or_saveexec_b32 s22, s22
	v_mov_b32_e32 v1, 0x7f800001
	s_xor_b32 exec_lo, exec_lo, s22
	s_cbranch_execz .LBB6_10714
.LBB6_12890:                            ;   in Loop: Header=BB6_10551 Depth=3
	v_cmp_ne_u16_sdwa s23, v49, v2 src0_sel:BYTE_0 src1_sel:DWORD
	v_mov_b32_e32 v1, 0
	s_andn2_b32 s16, s16, exec_lo
	s_and_b32 s23, s23, exec_lo
	s_or_b32 s16, s16, s23
	s_or_b32 exec_lo, exec_lo, s22
	s_and_saveexec_b32 s22, s16
	s_cbranch_execnz .LBB6_10715
	s_branch .LBB6_10716
.LBB6_12891:                            ;   in Loop: Header=BB6_10551 Depth=3
	s_or_saveexec_b32 s22, s22
	v_mov_b32_e32 v4, 0x7f800001
	s_xor_b32 exec_lo, exec_lo, s22
	s_cbranch_execz .LBB6_10720
.LBB6_12892:                            ;   in Loop: Header=BB6_10551 Depth=3
	v_cmp_ne_u16_sdwa s23, v37, v2 src0_sel:BYTE_0 src1_sel:DWORD
	v_mov_b32_e32 v4, 0
	s_andn2_b32 s16, s16, exec_lo
	s_and_b32 s23, s23, exec_lo
	s_or_b32 s16, s16, s23
	s_or_b32 exec_lo, exec_lo, s22
	s_and_saveexec_b32 s22, s16
	s_cbranch_execnz .LBB6_10721
	s_branch .LBB6_10722
.LBB6_12893:                            ;   in Loop: Header=BB6_10551 Depth=3
	s_or_saveexec_b32 s22, s22
	v_mov_b32_e32 v1, 0x7f800001
	s_xor_b32 exec_lo, exec_lo, s22
	s_cbranch_execz .LBB6_10736
.LBB6_12894:                            ;   in Loop: Header=BB6_10551 Depth=3
	v_cmp_ne_u16_sdwa s23, v49, v2 src0_sel:BYTE_1 src1_sel:DWORD
	v_mov_b32_e32 v1, 0
	s_andn2_b32 s16, s16, exec_lo
	s_and_b32 s23, s23, exec_lo
	s_or_b32 s16, s16, s23
	s_or_b32 exec_lo, exec_lo, s22
	s_and_saveexec_b32 s22, s16
	s_cbranch_execnz .LBB6_10737
	s_branch .LBB6_10738
.LBB6_12895:                            ;   in Loop: Header=BB6_10551 Depth=3
	s_or_saveexec_b32 s22, s22
	v_mov_b32_e32 v4, 0x7f800001
	s_xor_b32 exec_lo, exec_lo, s22
	s_cbranch_execz .LBB6_10742
.LBB6_12896:                            ;   in Loop: Header=BB6_10551 Depth=3
	v_cmp_ne_u16_sdwa s23, v37, v2 src0_sel:BYTE_1 src1_sel:DWORD
	v_mov_b32_e32 v4, 0
	s_andn2_b32 s16, s16, exec_lo
	s_and_b32 s23, s23, exec_lo
	s_or_b32 s16, s16, s23
	s_or_b32 exec_lo, exec_lo, s22
	s_and_saveexec_b32 s22, s16
	s_cbranch_execnz .LBB6_10743
	s_branch .LBB6_10744
.LBB6_12897:                            ;   in Loop: Header=BB6_10551 Depth=3
	s_or_saveexec_b32 s22, s22
	v_mov_b32_e32 v1, 0x7f800001
	s_xor_b32 exec_lo, exec_lo, s22
	s_cbranch_execz .LBB6_10750
.LBB6_12898:                            ;   in Loop: Header=BB6_10551 Depth=3
	v_cmp_ne_u16_sdwa s23, v49, v2 src0_sel:BYTE_1 src1_sel:DWORD
	v_mov_b32_e32 v1, 0
	s_andn2_b32 s16, s16, exec_lo
	s_and_b32 s23, s23, exec_lo
	s_or_b32 s16, s16, s23
	s_or_b32 exec_lo, exec_lo, s22
	s_and_saveexec_b32 s22, s16
	s_cbranch_execnz .LBB6_10751
	s_branch .LBB6_10752
.LBB6_12899:                            ;   in Loop: Header=BB6_10551 Depth=3
	s_or_saveexec_b32 s22, s22
	v_mov_b32_e32 v4, 0x7f800001
	s_xor_b32 exec_lo, exec_lo, s22
	s_cbranch_execz .LBB6_10756
.LBB6_12900:                            ;   in Loop: Header=BB6_10551 Depth=3
	v_cmp_ne_u16_sdwa s23, v37, v2 src0_sel:BYTE_1 src1_sel:DWORD
	v_mov_b32_e32 v4, 0
	s_andn2_b32 s16, s16, exec_lo
	s_and_b32 s23, s23, exec_lo
	s_or_b32 s16, s16, s23
	s_or_b32 exec_lo, exec_lo, s22
	s_and_saveexec_b32 s22, s16
	s_cbranch_execnz .LBB6_10757
	s_branch .LBB6_10758
.LBB6_12901:                            ;   in Loop: Header=BB6_10551 Depth=3
	s_or_saveexec_b32 s16, s16
	v_mov_b32_e32 v4, 0x7f800001
	s_xor_b32 exec_lo, exec_lo, s16
	s_cbranch_execz .LBB6_10772
.LBB6_12902:                            ;   in Loop: Header=BB6_10551 Depth=3
	v_cmp_ne_u16_e32 vcc_lo, 0, v1
	v_mov_b32_e32 v4, 0
	s_andn2_b32 s22, s22, exec_lo
	s_and_b32 s23, vcc_lo, exec_lo
	s_or_b32 s22, s22, s23
	s_or_b32 exec_lo, exec_lo, s16
	s_and_saveexec_b32 s16, s22
	s_cbranch_execnz .LBB6_10773
	s_branch .LBB6_10774
.LBB6_12903:                            ;   in Loop: Header=BB6_10551 Depth=3
	s_or_saveexec_b32 s16, s16
	v_mov_b32_e32 v5, 0x7f800001
	s_xor_b32 exec_lo, exec_lo, s16
	s_cbranch_execz .LBB6_10778
.LBB6_12904:                            ;   in Loop: Header=BB6_10551 Depth=3
	v_cmp_ne_u16_e32 vcc_lo, 0, v28
	v_mov_b32_e32 v5, 0
	s_andn2_b32 s22, s22, exec_lo
	s_and_b32 s23, vcc_lo, exec_lo
	s_or_b32 s22, s22, s23
	s_or_b32 exec_lo, exec_lo, s16
	s_and_saveexec_b32 s16, s22
	s_cbranch_execnz .LBB6_10779
	s_branch .LBB6_10780
.LBB6_12905:                            ;   in Loop: Header=BB6_10551 Depth=3
	s_or_saveexec_b32 s22, s22
	v_mov_b32_e32 v4, 0x7f800001
	s_xor_b32 exec_lo, exec_lo, s22
	s_cbranch_execz .LBB6_10786
.LBB6_12906:                            ;   in Loop: Header=BB6_10551 Depth=3
	v_cmp_ne_u16_e32 vcc_lo, 0, v1
	v_mov_b32_e32 v4, 0
	s_andn2_b32 s16, s16, exec_lo
	s_and_b32 s23, vcc_lo, exec_lo
	s_or_b32 s16, s16, s23
	s_or_b32 exec_lo, exec_lo, s22
	s_and_saveexec_b32 s22, s16
	s_cbranch_execnz .LBB6_10787
	s_branch .LBB6_10788
.LBB6_12907:                            ;   in Loop: Header=BB6_10551 Depth=3
	s_or_saveexec_b32 s22, s22
	v_mov_b32_e32 v1, 0x7f800001
	s_xor_b32 exec_lo, exec_lo, s22
	s_cbranch_execz .LBB6_10792
.LBB6_12908:                            ;   in Loop: Header=BB6_10551 Depth=3
	v_cmp_ne_u16_e32 vcc_lo, 0, v5
	v_mov_b32_e32 v1, 0
	s_andn2_b32 s16, s16, exec_lo
	s_and_b32 s23, vcc_lo, exec_lo
	s_or_b32 s16, s16, s23
	s_or_b32 exec_lo, exec_lo, s22
	s_and_saveexec_b32 s22, s16
	s_cbranch_execnz .LBB6_10793
	s_branch .LBB6_10794
.LBB6_12909:                            ;   in Loop: Header=BB6_10551 Depth=3
	s_or_saveexec_b32 s22, s22
	v_mov_b32_e32 v1, 0x7f800001
	s_xor_b32 exec_lo, exec_lo, s22
	s_cbranch_execz .LBB6_10808
.LBB6_12910:                            ;   in Loop: Header=BB6_10551 Depth=3
	v_cmp_ne_u16_sdwa s23, v49, v2 src0_sel:BYTE_3 src1_sel:DWORD
	v_mov_b32_e32 v1, 0
	s_andn2_b32 s16, s16, exec_lo
	s_and_b32 s23, s23, exec_lo
	s_or_b32 s16, s16, s23
	s_or_b32 exec_lo, exec_lo, s22
	s_and_saveexec_b32 s22, s16
	s_cbranch_execnz .LBB6_10809
	s_branch .LBB6_10810
.LBB6_12911:                            ;   in Loop: Header=BB6_10551 Depth=3
	s_or_saveexec_b32 s22, s22
	v_mov_b32_e32 v4, 0x7f800001
	s_xor_b32 exec_lo, exec_lo, s22
	s_cbranch_execz .LBB6_10814
.LBB6_12912:                            ;   in Loop: Header=BB6_10551 Depth=3
	v_cmp_ne_u16_sdwa s23, v37, v2 src0_sel:BYTE_3 src1_sel:DWORD
	v_mov_b32_e32 v4, 0
	s_andn2_b32 s16, s16, exec_lo
	s_and_b32 s23, s23, exec_lo
	s_or_b32 s16, s16, s23
	s_or_b32 exec_lo, exec_lo, s22
	s_and_saveexec_b32 s22, s16
	s_cbranch_execnz .LBB6_10815
	s_branch .LBB6_10816
.LBB6_12913:                            ;   in Loop: Header=BB6_10551 Depth=3
	s_or_saveexec_b32 s22, s22
	v_mov_b32_e32 v1, 0x7f800001
	s_xor_b32 exec_lo, exec_lo, s22
	s_cbranch_execz .LBB6_10822
.LBB6_12914:                            ;   in Loop: Header=BB6_10551 Depth=3
	v_cmp_ne_u16_sdwa s23, v49, v2 src0_sel:BYTE_3 src1_sel:DWORD
	v_mov_b32_e32 v1, 0
	s_andn2_b32 s16, s16, exec_lo
	s_and_b32 s23, s23, exec_lo
	s_or_b32 s16, s16, s23
	s_or_b32 exec_lo, exec_lo, s22
	s_and_saveexec_b32 s22, s16
	s_cbranch_execnz .LBB6_10823
	s_branch .LBB6_10824
.LBB6_12915:                            ;   in Loop: Header=BB6_10551 Depth=3
	s_or_saveexec_b32 s22, s22
	v_mov_b32_e32 v4, 0x7f800001
	s_xor_b32 exec_lo, exec_lo, s22
	s_cbranch_execz .LBB6_10828
.LBB6_12916:                            ;   in Loop: Header=BB6_10551 Depth=3
	v_cmp_ne_u16_sdwa s23, v37, v2 src0_sel:BYTE_3 src1_sel:DWORD
	v_mov_b32_e32 v4, 0
	s_andn2_b32 s16, s16, exec_lo
	s_and_b32 s23, s23, exec_lo
	s_or_b32 s16, s16, s23
	s_or_b32 exec_lo, exec_lo, s22
	s_and_saveexec_b32 s22, s16
	s_cbranch_execnz .LBB6_10829
	s_branch .LBB6_10830
.LBB6_12917:                            ;   in Loop: Header=BB6_10551 Depth=3
	s_or_saveexec_b32 s22, s22
	v_mov_b32_e32 v1, 0x7f800001
	s_xor_b32 exec_lo, exec_lo, s22
	s_cbranch_execz .LBB6_10844
.LBB6_12918:                            ;   in Loop: Header=BB6_10551 Depth=3
	v_cmp_ne_u16_sdwa s23, v50, v2 src0_sel:BYTE_0 src1_sel:DWORD
	v_mov_b32_e32 v1, 0
	s_andn2_b32 s16, s16, exec_lo
	s_and_b32 s23, s23, exec_lo
	s_or_b32 s16, s16, s23
	s_or_b32 exec_lo, exec_lo, s22
	s_and_saveexec_b32 s22, s16
	s_cbranch_execnz .LBB6_10845
	s_branch .LBB6_10846
.LBB6_12919:                            ;   in Loop: Header=BB6_10551 Depth=3
	s_or_saveexec_b32 s22, s22
	v_mov_b32_e32 v4, 0x7f800001
	s_xor_b32 exec_lo, exec_lo, s22
	s_cbranch_execz .LBB6_10850
.LBB6_12920:                            ;   in Loop: Header=BB6_10551 Depth=3
	v_cmp_ne_u16_sdwa s23, v38, v2 src0_sel:BYTE_0 src1_sel:DWORD
	v_mov_b32_e32 v4, 0
	s_andn2_b32 s16, s16, exec_lo
	s_and_b32 s23, s23, exec_lo
	s_or_b32 s16, s16, s23
	s_or_b32 exec_lo, exec_lo, s22
	s_and_saveexec_b32 s22, s16
	s_cbranch_execnz .LBB6_10851
	s_branch .LBB6_10852
.LBB6_12921:                            ;   in Loop: Header=BB6_10551 Depth=3
	s_or_saveexec_b32 s22, s22
	v_mov_b32_e32 v1, 0x7f800001
	s_xor_b32 exec_lo, exec_lo, s22
	s_cbranch_execz .LBB6_10858
.LBB6_12922:                            ;   in Loop: Header=BB6_10551 Depth=3
	v_cmp_ne_u16_sdwa s23, v50, v2 src0_sel:BYTE_0 src1_sel:DWORD
	v_mov_b32_e32 v1, 0
	s_andn2_b32 s16, s16, exec_lo
	s_and_b32 s23, s23, exec_lo
	s_or_b32 s16, s16, s23
	s_or_b32 exec_lo, exec_lo, s22
	s_and_saveexec_b32 s22, s16
	s_cbranch_execnz .LBB6_10859
	s_branch .LBB6_10860
.LBB6_12923:                            ;   in Loop: Header=BB6_10551 Depth=3
	s_or_saveexec_b32 s22, s22
	v_mov_b32_e32 v4, 0x7f800001
	s_xor_b32 exec_lo, exec_lo, s22
	s_cbranch_execz .LBB6_10864
.LBB6_12924:                            ;   in Loop: Header=BB6_10551 Depth=3
	v_cmp_ne_u16_sdwa s23, v38, v2 src0_sel:BYTE_0 src1_sel:DWORD
	v_mov_b32_e32 v4, 0
	s_andn2_b32 s16, s16, exec_lo
	s_and_b32 s23, s23, exec_lo
	s_or_b32 s16, s16, s23
	s_or_b32 exec_lo, exec_lo, s22
	s_and_saveexec_b32 s22, s16
	s_cbranch_execnz .LBB6_10865
	s_branch .LBB6_10866
.LBB6_12925:                            ;   in Loop: Header=BB6_10551 Depth=3
	s_or_saveexec_b32 s22, s22
	v_mov_b32_e32 v1, 0x7f800001
	s_xor_b32 exec_lo, exec_lo, s22
	s_cbranch_execz .LBB6_10880
.LBB6_12926:                            ;   in Loop: Header=BB6_10551 Depth=3
	v_cmp_ne_u16_sdwa s23, v50, v2 src0_sel:BYTE_1 src1_sel:DWORD
	v_mov_b32_e32 v1, 0
	s_andn2_b32 s16, s16, exec_lo
	s_and_b32 s23, s23, exec_lo
	s_or_b32 s16, s16, s23
	s_or_b32 exec_lo, exec_lo, s22
	s_and_saveexec_b32 s22, s16
	s_cbranch_execnz .LBB6_10881
	s_branch .LBB6_10882
.LBB6_12927:                            ;   in Loop: Header=BB6_10551 Depth=3
	s_or_saveexec_b32 s16, s16
	v_mov_b32_e32 v4, 0x7f800001
	s_xor_b32 exec_lo, exec_lo, s16
	s_cbranch_execz .LBB6_10886
.LBB6_12928:                            ;   in Loop: Header=BB6_10551 Depth=3
	v_cmp_ne_u16_sdwa s23, v38, v2 src0_sel:BYTE_1 src1_sel:DWORD
	v_mov_b32_e32 v4, 0
	s_andn2_b32 s22, s22, exec_lo
	s_and_b32 s23, s23, exec_lo
	s_or_b32 s22, s22, s23
	s_or_b32 exec_lo, exec_lo, s16
	s_and_saveexec_b32 s16, s22
	s_cbranch_execnz .LBB6_10887
	s_branch .LBB6_10888
.LBB6_12929:                            ;   in Loop: Header=BB6_10551 Depth=3
	s_or_saveexec_b32 s22, s22
	v_mov_b32_e32 v1, 0x7f800001
	s_xor_b32 exec_lo, exec_lo, s22
	s_cbranch_execz .LBB6_10894
.LBB6_12930:                            ;   in Loop: Header=BB6_10551 Depth=3
	v_cmp_ne_u16_sdwa s23, v50, v2 src0_sel:BYTE_1 src1_sel:DWORD
	v_mov_b32_e32 v1, 0
	s_andn2_b32 s16, s16, exec_lo
	s_and_b32 s23, s23, exec_lo
	s_or_b32 s16, s16, s23
	s_or_b32 exec_lo, exec_lo, s22
	s_and_saveexec_b32 s22, s16
	s_cbranch_execnz .LBB6_10895
	s_branch .LBB6_10896
.LBB6_12931:                            ;   in Loop: Header=BB6_10551 Depth=3
	s_or_saveexec_b32 s16, s16
	v_mov_b32_e32 v4, 0x7f800001
	s_xor_b32 exec_lo, exec_lo, s16
	s_cbranch_execz .LBB6_10900
.LBB6_12932:                            ;   in Loop: Header=BB6_10551 Depth=3
	v_cmp_ne_u16_sdwa s23, v38, v2 src0_sel:BYTE_1 src1_sel:DWORD
	v_mov_b32_e32 v4, 0
	s_andn2_b32 s22, s22, exec_lo
	s_and_b32 s23, s23, exec_lo
	s_or_b32 s22, s22, s23
	s_or_b32 exec_lo, exec_lo, s16
	s_and_saveexec_b32 s16, s22
	s_cbranch_execnz .LBB6_10901
	s_branch .LBB6_10902
.LBB6_12933:                            ;   in Loop: Header=BB6_10551 Depth=3
	s_or_saveexec_b32 s16, s16
	v_mov_b32_e32 v4, 0x7f800001
	s_xor_b32 exec_lo, exec_lo, s16
	s_cbranch_execz .LBB6_10916
.LBB6_12934:                            ;   in Loop: Header=BB6_10551 Depth=3
	v_cmp_ne_u16_e32 vcc_lo, 0, v1
	v_mov_b32_e32 v4, 0
	s_andn2_b32 s22, s22, exec_lo
	s_and_b32 s23, vcc_lo, exec_lo
	s_or_b32 s22, s22, s23
	s_or_b32 exec_lo, exec_lo, s16
	s_and_saveexec_b32 s16, s22
	s_cbranch_execnz .LBB6_10917
	s_branch .LBB6_10918
.LBB6_12935:                            ;   in Loop: Header=BB6_10551 Depth=3
	s_or_saveexec_b32 s16, s16
	v_mov_b32_e32 v5, 0x7f800001
	s_xor_b32 exec_lo, exec_lo, s16
	s_cbranch_execz .LBB6_10922
.LBB6_12936:                            ;   in Loop: Header=BB6_10551 Depth=3
	v_cmp_ne_u16_e32 vcc_lo, 0, v28
	v_mov_b32_e32 v5, 0
	s_andn2_b32 s22, s22, exec_lo
	s_and_b32 s23, vcc_lo, exec_lo
	s_or_b32 s22, s22, s23
	s_or_b32 exec_lo, exec_lo, s16
	s_and_saveexec_b32 s16, s22
	s_cbranch_execnz .LBB6_10923
	s_branch .LBB6_10924
.LBB6_12937:                            ;   in Loop: Header=BB6_10551 Depth=3
	s_or_saveexec_b32 s16, s16
	v_mov_b32_e32 v4, 0x7f800001
	s_xor_b32 exec_lo, exec_lo, s16
	s_cbranch_execz .LBB6_10930
.LBB6_12938:                            ;   in Loop: Header=BB6_10551 Depth=3
	v_cmp_ne_u16_e32 vcc_lo, 0, v1
	v_mov_b32_e32 v4, 0
	s_andn2_b32 s22, s22, exec_lo
	s_and_b32 s23, vcc_lo, exec_lo
	s_or_b32 s22, s22, s23
	s_or_b32 exec_lo, exec_lo, s16
	s_and_saveexec_b32 s16, s22
	s_cbranch_execnz .LBB6_10931
	s_branch .LBB6_10932
.LBB6_12939:                            ;   in Loop: Header=BB6_10551 Depth=3
	s_or_saveexec_b32 s16, s16
	v_mov_b32_e32 v1, 0x7f800001
	s_xor_b32 exec_lo, exec_lo, s16
	s_cbranch_execz .LBB6_10936
.LBB6_12940:                            ;   in Loop: Header=BB6_10551 Depth=3
	v_cmp_ne_u16_e32 vcc_lo, 0, v5
	v_mov_b32_e32 v1, 0
	s_andn2_b32 s22, s22, exec_lo
	s_and_b32 s23, vcc_lo, exec_lo
	s_or_b32 s22, s22, s23
	s_or_b32 exec_lo, exec_lo, s16
	s_and_saveexec_b32 s16, s22
	s_cbranch_execnz .LBB6_10937
	s_branch .LBB6_10938
.LBB6_12941:                            ;   in Loop: Header=BB6_10551 Depth=3
	s_or_saveexec_b32 s16, s16
	v_mov_b32_e32 v1, 0x7f800001
	s_xor_b32 exec_lo, exec_lo, s16
	s_cbranch_execz .LBB6_10952
.LBB6_12942:                            ;   in Loop: Header=BB6_10551 Depth=3
	v_cmp_ne_u16_sdwa s23, v50, v2 src0_sel:BYTE_3 src1_sel:DWORD
	v_mov_b32_e32 v1, 0
	s_andn2_b32 s22, s22, exec_lo
	s_and_b32 s23, s23, exec_lo
	s_or_b32 s22, s22, s23
	s_or_b32 exec_lo, exec_lo, s16
	s_and_saveexec_b32 s16, s22
	s_cbranch_execnz .LBB6_10953
	s_branch .LBB6_10954
.LBB6_12943:                            ;   in Loop: Header=BB6_10551 Depth=3
	s_or_saveexec_b32 s16, s16
	v_mov_b32_e32 v4, 0x7f800001
	s_xor_b32 exec_lo, exec_lo, s16
	s_cbranch_execz .LBB6_10958
.LBB6_12944:                            ;   in Loop: Header=BB6_10551 Depth=3
	v_cmp_ne_u16_sdwa s23, v38, v2 src0_sel:BYTE_3 src1_sel:DWORD
	v_mov_b32_e32 v4, 0
	s_andn2_b32 s22, s22, exec_lo
	s_and_b32 s23, s23, exec_lo
	s_or_b32 s22, s22, s23
	s_or_b32 exec_lo, exec_lo, s16
	s_and_saveexec_b32 s16, s22
	s_cbranch_execnz .LBB6_10959
	s_branch .LBB6_10960
.LBB6_12945:                            ;   in Loop: Header=BB6_10551 Depth=3
	s_or_saveexec_b32 s16, s16
	v_mov_b32_e32 v1, 0x7f800001
	s_xor_b32 exec_lo, exec_lo, s16
	s_cbranch_execz .LBB6_10966
.LBB6_12946:                            ;   in Loop: Header=BB6_10551 Depth=3
	v_cmp_ne_u16_sdwa s23, v50, v2 src0_sel:BYTE_3 src1_sel:DWORD
	v_mov_b32_e32 v1, 0
	s_andn2_b32 s22, s22, exec_lo
	s_and_b32 s23, s23, exec_lo
	s_or_b32 s22, s22, s23
	s_or_b32 exec_lo, exec_lo, s16
	s_and_saveexec_b32 s16, s22
	s_cbranch_execnz .LBB6_10967
	s_branch .LBB6_10968
.LBB6_12947:                            ;   in Loop: Header=BB6_10551 Depth=3
	s_or_saveexec_b32 s16, s16
	v_mov_b32_e32 v4, 0x7f800001
	s_xor_b32 exec_lo, exec_lo, s16
	s_cbranch_execz .LBB6_10972
.LBB6_12948:                            ;   in Loop: Header=BB6_10551 Depth=3
	v_cmp_ne_u16_sdwa s23, v38, v2 src0_sel:BYTE_3 src1_sel:DWORD
	v_mov_b32_e32 v4, 0
	s_andn2_b32 s22, s22, exec_lo
	s_and_b32 s23, s23, exec_lo
	s_or_b32 s22, s22, s23
	s_or_b32 exec_lo, exec_lo, s16
	s_and_saveexec_b32 s16, s22
	s_cbranch_execnz .LBB6_10973
	s_branch .LBB6_10974
.LBB6_12949:                            ;   in Loop: Header=BB6_10551 Depth=3
	s_or_saveexec_b32 s16, s16
	v_mov_b32_e32 v1, 0x7f800001
	s_xor_b32 exec_lo, exec_lo, s16
	s_cbranch_execz .LBB6_10988
.LBB6_12950:                            ;   in Loop: Header=BB6_10551 Depth=3
	v_cmp_ne_u16_sdwa s23, v51, v2 src0_sel:BYTE_0 src1_sel:DWORD
	v_mov_b32_e32 v1, 0
	s_andn2_b32 s22, s22, exec_lo
	s_and_b32 s23, s23, exec_lo
	s_or_b32 s22, s22, s23
	s_or_b32 exec_lo, exec_lo, s16
	s_and_saveexec_b32 s16, s22
	s_cbranch_execnz .LBB6_10989
	s_branch .LBB6_10990
.LBB6_12951:                            ;   in Loop: Header=BB6_10551 Depth=3
	s_or_saveexec_b32 s16, s16
	v_mov_b32_e32 v4, 0x7f800001
	s_xor_b32 exec_lo, exec_lo, s16
	s_cbranch_execz .LBB6_10994
.LBB6_12952:                            ;   in Loop: Header=BB6_10551 Depth=3
	v_cmp_ne_u16_sdwa s23, v39, v2 src0_sel:BYTE_0 src1_sel:DWORD
	v_mov_b32_e32 v4, 0
	s_andn2_b32 s22, s22, exec_lo
	s_and_b32 s23, s23, exec_lo
	s_or_b32 s22, s22, s23
	s_or_b32 exec_lo, exec_lo, s16
	s_and_saveexec_b32 s16, s22
	s_cbranch_execnz .LBB6_10995
	s_branch .LBB6_10996
.LBB6_12953:                            ;   in Loop: Header=BB6_10551 Depth=3
	s_or_saveexec_b32 s16, s16
	v_mov_b32_e32 v1, 0x7f800001
	s_xor_b32 exec_lo, exec_lo, s16
	s_cbranch_execz .LBB6_11002
.LBB6_12954:                            ;   in Loop: Header=BB6_10551 Depth=3
	v_cmp_ne_u16_sdwa s23, v51, v2 src0_sel:BYTE_0 src1_sel:DWORD
	v_mov_b32_e32 v1, 0
	s_andn2_b32 s22, s22, exec_lo
	s_and_b32 s23, s23, exec_lo
	s_or_b32 s22, s22, s23
	s_or_b32 exec_lo, exec_lo, s16
	s_and_saveexec_b32 s16, s22
	s_cbranch_execnz .LBB6_11003
	s_branch .LBB6_11004
.LBB6_12955:                            ;   in Loop: Header=BB6_10551 Depth=3
	s_or_saveexec_b32 s16, s16
	v_mov_b32_e32 v4, 0x7f800001
	s_xor_b32 exec_lo, exec_lo, s16
	s_cbranch_execz .LBB6_11008
.LBB6_12956:                            ;   in Loop: Header=BB6_10551 Depth=3
	v_cmp_ne_u16_sdwa s23, v39, v2 src0_sel:BYTE_0 src1_sel:DWORD
	v_mov_b32_e32 v4, 0
	s_andn2_b32 s22, s22, exec_lo
	s_and_b32 s23, s23, exec_lo
	s_or_b32 s22, s22, s23
	s_or_b32 exec_lo, exec_lo, s16
	s_and_saveexec_b32 s16, s22
	s_cbranch_execnz .LBB6_11009
	s_branch .LBB6_11010
.LBB6_12957:                            ;   in Loop: Header=BB6_10551 Depth=3
	s_or_saveexec_b32 s16, s16
	v_mov_b32_e32 v1, 0x7f800001
	s_xor_b32 exec_lo, exec_lo, s16
	s_cbranch_execz .LBB6_11024
.LBB6_12958:                            ;   in Loop: Header=BB6_10551 Depth=3
	v_cmp_ne_u16_sdwa s23, v51, v2 src0_sel:BYTE_1 src1_sel:DWORD
	v_mov_b32_e32 v1, 0
	s_andn2_b32 s22, s22, exec_lo
	s_and_b32 s23, s23, exec_lo
	s_or_b32 s22, s22, s23
	s_or_b32 exec_lo, exec_lo, s16
	s_and_saveexec_b32 s16, s22
	s_cbranch_execnz .LBB6_11025
	s_branch .LBB6_11026
.LBB6_12959:                            ;   in Loop: Header=BB6_10551 Depth=3
	s_or_saveexec_b32 s16, s16
	v_mov_b32_e32 v4, 0x7f800001
	s_xor_b32 exec_lo, exec_lo, s16
	s_cbranch_execz .LBB6_11030
.LBB6_12960:                            ;   in Loop: Header=BB6_10551 Depth=3
	v_cmp_ne_u16_sdwa s23, v39, v2 src0_sel:BYTE_1 src1_sel:DWORD
	v_mov_b32_e32 v4, 0
	s_andn2_b32 s22, s22, exec_lo
	s_and_b32 s23, s23, exec_lo
	s_or_b32 s22, s22, s23
	s_or_b32 exec_lo, exec_lo, s16
	s_and_saveexec_b32 s16, s22
	s_cbranch_execnz .LBB6_11031
	s_branch .LBB6_11032
.LBB6_12961:                            ;   in Loop: Header=BB6_10551 Depth=3
	s_or_saveexec_b32 s16, s16
	v_mov_b32_e32 v1, 0x7f800001
	s_xor_b32 exec_lo, exec_lo, s16
	s_cbranch_execz .LBB6_11038
.LBB6_12962:                            ;   in Loop: Header=BB6_10551 Depth=3
	v_cmp_ne_u16_sdwa s23, v51, v2 src0_sel:BYTE_1 src1_sel:DWORD
	v_mov_b32_e32 v1, 0
	s_andn2_b32 s22, s22, exec_lo
	s_and_b32 s23, s23, exec_lo
	s_or_b32 s22, s22, s23
	s_or_b32 exec_lo, exec_lo, s16
	s_and_saveexec_b32 s16, s22
	s_cbranch_execnz .LBB6_11039
	s_branch .LBB6_11040
.LBB6_12963:                            ;   in Loop: Header=BB6_10551 Depth=3
	s_or_saveexec_b32 s16, s16
	v_mov_b32_e32 v4, 0x7f800001
	s_xor_b32 exec_lo, exec_lo, s16
	s_cbranch_execz .LBB6_11044
.LBB6_12964:                            ;   in Loop: Header=BB6_10551 Depth=3
	v_cmp_ne_u16_sdwa s23, v39, v2 src0_sel:BYTE_1 src1_sel:DWORD
	v_mov_b32_e32 v4, 0
	s_andn2_b32 s22, s22, exec_lo
	s_and_b32 s23, s23, exec_lo
	s_or_b32 s22, s22, s23
	s_or_b32 exec_lo, exec_lo, s16
	s_and_saveexec_b32 s16, s22
	s_cbranch_execnz .LBB6_11045
	s_branch .LBB6_11046
.LBB6_12965:                            ;   in Loop: Header=BB6_10551 Depth=3
	s_or_saveexec_b32 s16, s16
	v_mov_b32_e32 v4, 0x7f800001
	s_xor_b32 exec_lo, exec_lo, s16
	s_cbranch_execz .LBB6_11060
.LBB6_12966:                            ;   in Loop: Header=BB6_10551 Depth=3
	v_cmp_ne_u16_e32 vcc_lo, 0, v1
	v_mov_b32_e32 v4, 0
	s_andn2_b32 s22, s22, exec_lo
	s_and_b32 s23, vcc_lo, exec_lo
	s_or_b32 s22, s22, s23
	s_or_b32 exec_lo, exec_lo, s16
	s_and_saveexec_b32 s16, s22
	s_cbranch_execnz .LBB6_11061
	s_branch .LBB6_11062
.LBB6_12967:                            ;   in Loop: Header=BB6_10551 Depth=3
	s_or_saveexec_b32 s16, s16
	v_mov_b32_e32 v5, 0x7f800001
	s_xor_b32 exec_lo, exec_lo, s16
	s_cbranch_execz .LBB6_11066
.LBB6_12968:                            ;   in Loop: Header=BB6_10551 Depth=3
	v_cmp_ne_u16_e32 vcc_lo, 0, v28
	v_mov_b32_e32 v5, 0
	s_andn2_b32 s22, s22, exec_lo
	s_and_b32 s23, vcc_lo, exec_lo
	s_or_b32 s22, s22, s23
	s_or_b32 exec_lo, exec_lo, s16
	s_and_saveexec_b32 s16, s22
	s_cbranch_execnz .LBB6_11067
	s_branch .LBB6_11068
.LBB6_12969:                            ;   in Loop: Header=BB6_10551 Depth=3
	s_or_saveexec_b32 s16, s16
	v_mov_b32_e32 v4, 0x7f800001
	s_xor_b32 exec_lo, exec_lo, s16
	s_cbranch_execz .LBB6_11074
.LBB6_12970:                            ;   in Loop: Header=BB6_10551 Depth=3
	v_cmp_ne_u16_e32 vcc_lo, 0, v1
	v_mov_b32_e32 v4, 0
	s_andn2_b32 s22, s22, exec_lo
	s_and_b32 s23, vcc_lo, exec_lo
	s_or_b32 s22, s22, s23
	s_or_b32 exec_lo, exec_lo, s16
	s_and_saveexec_b32 s16, s22
	s_cbranch_execnz .LBB6_11075
	s_branch .LBB6_11076
.LBB6_12971:                            ;   in Loop: Header=BB6_10551 Depth=3
	s_or_saveexec_b32 s16, s16
	v_mov_b32_e32 v1, 0x7f800001
	s_xor_b32 exec_lo, exec_lo, s16
	s_cbranch_execz .LBB6_11080
.LBB6_12972:                            ;   in Loop: Header=BB6_10551 Depth=3
	v_cmp_ne_u16_e32 vcc_lo, 0, v5
	v_mov_b32_e32 v1, 0
	s_andn2_b32 s22, s22, exec_lo
	s_and_b32 s23, vcc_lo, exec_lo
	s_or_b32 s22, s22, s23
	s_or_b32 exec_lo, exec_lo, s16
	s_and_saveexec_b32 s16, s22
	s_cbranch_execnz .LBB6_11081
	s_branch .LBB6_11082
.LBB6_12973:                            ;   in Loop: Header=BB6_10551 Depth=3
	s_or_saveexec_b32 s16, s16
	v_mov_b32_e32 v1, 0x7f800001
	s_xor_b32 exec_lo, exec_lo, s16
	s_cbranch_execz .LBB6_11096
.LBB6_12974:                            ;   in Loop: Header=BB6_10551 Depth=3
	v_cmp_ne_u16_sdwa s23, v51, v2 src0_sel:BYTE_3 src1_sel:DWORD
	v_mov_b32_e32 v1, 0
	s_andn2_b32 s22, s22, exec_lo
	s_and_b32 s23, s23, exec_lo
	s_or_b32 s22, s22, s23
	s_or_b32 exec_lo, exec_lo, s16
	s_and_saveexec_b32 s16, s22
	s_cbranch_execnz .LBB6_11097
	s_branch .LBB6_11098
.LBB6_12975:                            ;   in Loop: Header=BB6_10551 Depth=3
	s_or_saveexec_b32 s16, s16
	v_mov_b32_e32 v4, 0x7f800001
	s_xor_b32 exec_lo, exec_lo, s16
	s_cbranch_execz .LBB6_11102
.LBB6_12976:                            ;   in Loop: Header=BB6_10551 Depth=3
	v_cmp_ne_u16_sdwa s23, v39, v2 src0_sel:BYTE_3 src1_sel:DWORD
	v_mov_b32_e32 v4, 0
	s_andn2_b32 s22, s22, exec_lo
	s_and_b32 s23, s23, exec_lo
	s_or_b32 s22, s22, s23
	s_or_b32 exec_lo, exec_lo, s16
	s_and_saveexec_b32 s16, s22
	s_cbranch_execnz .LBB6_11103
	s_branch .LBB6_11104
.LBB6_12977:                            ;   in Loop: Header=BB6_10551 Depth=3
	s_or_saveexec_b32 s16, s16
	v_mov_b32_e32 v1, 0x7f800001
	s_xor_b32 exec_lo, exec_lo, s16
	s_cbranch_execz .LBB6_11110
.LBB6_12978:                            ;   in Loop: Header=BB6_10551 Depth=3
	v_cmp_ne_u16_sdwa s23, v51, v2 src0_sel:BYTE_3 src1_sel:DWORD
	v_mov_b32_e32 v1, 0
	s_andn2_b32 s22, s22, exec_lo
	s_and_b32 s23, s23, exec_lo
	s_or_b32 s22, s22, s23
	s_or_b32 exec_lo, exec_lo, s16
	s_and_saveexec_b32 s16, s22
	s_cbranch_execnz .LBB6_11111
	s_branch .LBB6_11112
.LBB6_12979:                            ;   in Loop: Header=BB6_10551 Depth=3
	s_or_saveexec_b32 s16, s16
	v_mov_b32_e32 v4, 0x7f800001
	s_xor_b32 exec_lo, exec_lo, s16
	s_cbranch_execz .LBB6_11116
.LBB6_12980:                            ;   in Loop: Header=BB6_10551 Depth=3
	v_cmp_ne_u16_sdwa s23, v39, v2 src0_sel:BYTE_3 src1_sel:DWORD
	v_mov_b32_e32 v4, 0
	s_andn2_b32 s22, s22, exec_lo
	s_and_b32 s23, s23, exec_lo
	s_or_b32 s22, s22, s23
	s_or_b32 exec_lo, exec_lo, s16
	s_and_saveexec_b32 s16, s22
	s_cbranch_execnz .LBB6_11117
	s_branch .LBB6_11118
.LBB6_12981:                            ;   in Loop: Header=BB6_10551 Depth=3
	s_or_saveexec_b32 s16, s16
	v_mov_b32_e32 v1, 0x7f800001
	s_xor_b32 exec_lo, exec_lo, s16
	s_cbranch_execz .LBB6_11132
.LBB6_12982:                            ;   in Loop: Header=BB6_10551 Depth=3
	v_cmp_ne_u16_sdwa s23, v32, v2 src0_sel:BYTE_0 src1_sel:DWORD
	v_mov_b32_e32 v1, 0
	s_andn2_b32 s22, s22, exec_lo
	s_and_b32 s23, s23, exec_lo
	s_or_b32 s22, s22, s23
	s_or_b32 exec_lo, exec_lo, s16
	s_and_saveexec_b32 s16, s22
	s_cbranch_execnz .LBB6_11133
	s_branch .LBB6_11134
.LBB6_12983:                            ;   in Loop: Header=BB6_10551 Depth=3
	s_or_saveexec_b32 s16, s16
	v_mov_b32_e32 v4, 0x7f800001
	s_xor_b32 exec_lo, exec_lo, s16
	s_cbranch_execz .LBB6_11138
.LBB6_12984:                            ;   in Loop: Header=BB6_10551 Depth=3
	v_cmp_ne_u16_sdwa s23, v24, v2 src0_sel:BYTE_0 src1_sel:DWORD
	v_mov_b32_e32 v4, 0
	s_andn2_b32 s22, s22, exec_lo
	s_and_b32 s23, s23, exec_lo
	s_or_b32 s22, s22, s23
	s_or_b32 exec_lo, exec_lo, s16
	s_and_saveexec_b32 s16, s22
	s_cbranch_execnz .LBB6_11139
	s_branch .LBB6_11140
.LBB6_12985:                            ;   in Loop: Header=BB6_10551 Depth=3
	s_or_saveexec_b32 s16, s16
	v_mov_b32_e32 v1, 0x7f800001
	s_xor_b32 exec_lo, exec_lo, s16
	s_cbranch_execz .LBB6_11146
.LBB6_12986:                            ;   in Loop: Header=BB6_10551 Depth=3
	v_cmp_ne_u16_sdwa s23, v32, v2 src0_sel:BYTE_0 src1_sel:DWORD
	v_mov_b32_e32 v1, 0
	s_andn2_b32 s22, s22, exec_lo
	s_and_b32 s23, s23, exec_lo
	s_or_b32 s22, s22, s23
	s_or_b32 exec_lo, exec_lo, s16
	s_and_saveexec_b32 s16, s22
	s_cbranch_execnz .LBB6_11147
	s_branch .LBB6_11148
.LBB6_12987:                            ;   in Loop: Header=BB6_10551 Depth=3
	s_or_saveexec_b32 s16, s16
	v_mov_b32_e32 v4, 0x7f800001
	s_xor_b32 exec_lo, exec_lo, s16
	s_cbranch_execz .LBB6_11152
.LBB6_12988:                            ;   in Loop: Header=BB6_10551 Depth=3
	v_cmp_ne_u16_sdwa s23, v24, v2 src0_sel:BYTE_0 src1_sel:DWORD
	v_mov_b32_e32 v4, 0
	s_andn2_b32 s22, s22, exec_lo
	s_and_b32 s23, s23, exec_lo
	s_or_b32 s22, s22, s23
	s_or_b32 exec_lo, exec_lo, s16
	s_and_saveexec_b32 s16, s22
	s_cbranch_execnz .LBB6_11153
	s_branch .LBB6_11154
.LBB6_12989:                            ;   in Loop: Header=BB6_10551 Depth=3
	s_or_saveexec_b32 s22, s22
	v_mov_b32_e32 v1, 0x7f800001
	s_xor_b32 exec_lo, exec_lo, s22
	s_cbranch_execz .LBB6_11168
.LBB6_12990:                            ;   in Loop: Header=BB6_10551 Depth=3
	v_cmp_ne_u16_sdwa s23, v32, v2 src0_sel:BYTE_1 src1_sel:DWORD
	v_mov_b32_e32 v1, 0
	s_andn2_b32 s16, s16, exec_lo
	s_and_b32 s23, s23, exec_lo
	s_or_b32 s16, s16, s23
	s_or_b32 exec_lo, exec_lo, s22
	s_and_saveexec_b32 s22, s16
	s_cbranch_execnz .LBB6_11169
	s_branch .LBB6_11170
.LBB6_12991:                            ;   in Loop: Header=BB6_10551 Depth=3
	s_or_saveexec_b32 s22, s22
	v_mov_b32_e32 v4, 0x7f800001
	s_xor_b32 exec_lo, exec_lo, s22
	s_cbranch_execz .LBB6_11174
.LBB6_12992:                            ;   in Loop: Header=BB6_10551 Depth=3
	v_cmp_ne_u16_sdwa s23, v24, v2 src0_sel:BYTE_1 src1_sel:DWORD
	v_mov_b32_e32 v4, 0
	s_andn2_b32 s16, s16, exec_lo
	s_and_b32 s23, s23, exec_lo
	s_or_b32 s16, s16, s23
	s_or_b32 exec_lo, exec_lo, s22
	s_and_saveexec_b32 s22, s16
	s_cbranch_execnz .LBB6_11175
	s_branch .LBB6_11176
.LBB6_12993:                            ;   in Loop: Header=BB6_10551 Depth=3
	s_or_saveexec_b32 s22, s22
	v_mov_b32_e32 v1, 0x7f800001
	s_xor_b32 exec_lo, exec_lo, s22
	s_cbranch_execz .LBB6_11182
.LBB6_12994:                            ;   in Loop: Header=BB6_10551 Depth=3
	v_cmp_ne_u16_sdwa s23, v32, v2 src0_sel:BYTE_1 src1_sel:DWORD
	v_mov_b32_e32 v1, 0
	s_andn2_b32 s16, s16, exec_lo
	s_and_b32 s23, s23, exec_lo
	s_or_b32 s16, s16, s23
	s_or_b32 exec_lo, exec_lo, s22
	s_and_saveexec_b32 s22, s16
	s_cbranch_execnz .LBB6_11183
	s_branch .LBB6_11184
.LBB6_12995:                            ;   in Loop: Header=BB6_10551 Depth=3
	s_or_saveexec_b32 s22, s22
	v_mov_b32_e32 v4, 0x7f800001
	s_xor_b32 exec_lo, exec_lo, s22
	s_cbranch_execz .LBB6_11188
.LBB6_12996:                            ;   in Loop: Header=BB6_10551 Depth=3
	v_cmp_ne_u16_sdwa s23, v24, v2 src0_sel:BYTE_1 src1_sel:DWORD
	v_mov_b32_e32 v4, 0
	s_andn2_b32 s16, s16, exec_lo
	s_and_b32 s23, s23, exec_lo
	s_or_b32 s16, s16, s23
	s_or_b32 exec_lo, exec_lo, s22
	s_and_saveexec_b32 s22, s16
	s_cbranch_execnz .LBB6_11189
	s_branch .LBB6_11190
.LBB6_12997:                            ;   in Loop: Header=BB6_10551 Depth=3
	s_or_saveexec_b32 s16, s16
	v_mov_b32_e32 v4, 0x7f800001
	s_xor_b32 exec_lo, exec_lo, s16
	s_cbranch_execz .LBB6_11204
.LBB6_12998:                            ;   in Loop: Header=BB6_10551 Depth=3
	v_cmp_ne_u16_e32 vcc_lo, 0, v1
	v_mov_b32_e32 v4, 0
	s_andn2_b32 s22, s22, exec_lo
	s_and_b32 s23, vcc_lo, exec_lo
	s_or_b32 s22, s22, s23
	s_or_b32 exec_lo, exec_lo, s16
	s_and_saveexec_b32 s16, s22
	s_cbranch_execnz .LBB6_11205
	s_branch .LBB6_11206
.LBB6_12999:                            ;   in Loop: Header=BB6_10551 Depth=3
	s_or_saveexec_b32 s16, s16
	v_mov_b32_e32 v5, 0x7f800001
	s_xor_b32 exec_lo, exec_lo, s16
	s_cbranch_execz .LBB6_11210
.LBB6_13000:                            ;   in Loop: Header=BB6_10551 Depth=3
	v_cmp_ne_u16_e32 vcc_lo, 0, v28
	v_mov_b32_e32 v5, 0
	s_andn2_b32 s22, s22, exec_lo
	s_and_b32 s23, vcc_lo, exec_lo
	s_or_b32 s22, s22, s23
	s_or_b32 exec_lo, exec_lo, s16
	s_and_saveexec_b32 s16, s22
	s_cbranch_execnz .LBB6_11211
	s_branch .LBB6_11212
.LBB6_13001:                            ;   in Loop: Header=BB6_10551 Depth=3
	s_or_saveexec_b32 s16, s16
	v_mov_b32_e32 v4, 0x7f800001
	s_xor_b32 exec_lo, exec_lo, s16
	s_cbranch_execz .LBB6_11218
.LBB6_13002:                            ;   in Loop: Header=BB6_10551 Depth=3
	v_cmp_ne_u16_e32 vcc_lo, 0, v1
	v_mov_b32_e32 v4, 0
	s_andn2_b32 s22, s22, exec_lo
	s_and_b32 s23, vcc_lo, exec_lo
	s_or_b32 s22, s22, s23
	s_or_b32 exec_lo, exec_lo, s16
	s_and_saveexec_b32 s16, s22
	s_cbranch_execnz .LBB6_11219
	s_branch .LBB6_11220
.LBB6_13003:                            ;   in Loop: Header=BB6_10551 Depth=3
	s_or_saveexec_b32 s16, s16
	v_mov_b32_e32 v1, 0x7f800001
	s_xor_b32 exec_lo, exec_lo, s16
	s_cbranch_execz .LBB6_11224
.LBB6_13004:                            ;   in Loop: Header=BB6_10551 Depth=3
	v_cmp_ne_u16_e32 vcc_lo, 0, v5
	v_mov_b32_e32 v1, 0
	s_andn2_b32 s22, s22, exec_lo
	s_and_b32 s23, vcc_lo, exec_lo
	s_or_b32 s22, s22, s23
	s_or_b32 exec_lo, exec_lo, s16
	s_and_saveexec_b32 s16, s22
	s_cbranch_execnz .LBB6_11225
	s_branch .LBB6_11226
.LBB6_13005:                            ;   in Loop: Header=BB6_10551 Depth=3
	s_or_saveexec_b32 s22, s22
	v_mov_b32_e32 v1, 0x7f800001
	s_xor_b32 exec_lo, exec_lo, s22
	s_cbranch_execz .LBB6_11240
.LBB6_13006:                            ;   in Loop: Header=BB6_10551 Depth=3
	v_cmp_ne_u16_sdwa s23, v32, v2 src0_sel:BYTE_3 src1_sel:DWORD
	v_mov_b32_e32 v1, 0
	s_andn2_b32 s16, s16, exec_lo
	s_and_b32 s23, s23, exec_lo
	s_or_b32 s16, s16, s23
	s_or_b32 exec_lo, exec_lo, s22
	s_and_saveexec_b32 s22, s16
	s_cbranch_execnz .LBB6_11241
	s_branch .LBB6_11242
.LBB6_13007:                            ;   in Loop: Header=BB6_10551 Depth=3
	s_or_saveexec_b32 s22, s22
	v_mov_b32_e32 v4, 0x7f800001
	s_xor_b32 exec_lo, exec_lo, s22
	s_cbranch_execz .LBB6_11246
.LBB6_13008:                            ;   in Loop: Header=BB6_10551 Depth=3
	v_cmp_ne_u16_sdwa s23, v24, v2 src0_sel:BYTE_3 src1_sel:DWORD
	v_mov_b32_e32 v4, 0
	s_andn2_b32 s16, s16, exec_lo
	s_and_b32 s23, s23, exec_lo
	s_or_b32 s16, s16, s23
	s_or_b32 exec_lo, exec_lo, s22
	s_and_saveexec_b32 s22, s16
	s_cbranch_execnz .LBB6_11247
	s_branch .LBB6_11248
.LBB6_13009:                            ;   in Loop: Header=BB6_10551 Depth=3
	s_or_saveexec_b32 s22, s22
	v_mov_b32_e32 v1, 0x7f800001
	s_xor_b32 exec_lo, exec_lo, s22
	s_cbranch_execz .LBB6_11254
.LBB6_13010:                            ;   in Loop: Header=BB6_10551 Depth=3
	v_cmp_ne_u16_sdwa s23, v32, v2 src0_sel:BYTE_3 src1_sel:DWORD
	v_mov_b32_e32 v1, 0
	s_andn2_b32 s16, s16, exec_lo
	s_and_b32 s23, s23, exec_lo
	s_or_b32 s16, s16, s23
	s_or_b32 exec_lo, exec_lo, s22
	s_and_saveexec_b32 s22, s16
	s_cbranch_execnz .LBB6_11255
	s_branch .LBB6_11256
.LBB6_13011:                            ;   in Loop: Header=BB6_10551 Depth=3
	s_or_saveexec_b32 s22, s22
	v_mov_b32_e32 v4, 0x7f800001
	s_xor_b32 exec_lo, exec_lo, s22
	s_cbranch_execz .LBB6_11260
.LBB6_13012:                            ;   in Loop: Header=BB6_10551 Depth=3
	v_cmp_ne_u16_sdwa s23, v24, v2 src0_sel:BYTE_3 src1_sel:DWORD
	v_mov_b32_e32 v4, 0
	s_andn2_b32 s16, s16, exec_lo
	s_and_b32 s23, s23, exec_lo
	s_or_b32 s16, s16, s23
	s_or_b32 exec_lo, exec_lo, s22
	s_and_saveexec_b32 s22, s16
	s_cbranch_execnz .LBB6_11261
	s_branch .LBB6_11262
.LBB6_13013:                            ;   in Loop: Header=BB6_10551 Depth=3
	s_or_saveexec_b32 s16, s16
	v_mov_b32_e32 v1, 0x7f800001
	s_xor_b32 exec_lo, exec_lo, s16
	s_cbranch_execz .LBB6_11276
.LBB6_13014:                            ;   in Loop: Header=BB6_10551 Depth=3
	v_cmp_ne_u16_sdwa s23, v33, v2 src0_sel:BYTE_0 src1_sel:DWORD
	v_mov_b32_e32 v1, 0
	s_andn2_b32 s22, s22, exec_lo
	s_and_b32 s23, s23, exec_lo
	s_or_b32 s22, s22, s23
	s_or_b32 exec_lo, exec_lo, s16
	s_and_saveexec_b32 s16, s22
	s_cbranch_execnz .LBB6_11277
	s_branch .LBB6_11278
.LBB6_13015:                            ;   in Loop: Header=BB6_10551 Depth=3
	s_or_saveexec_b32 s16, s16
	v_mov_b32_e32 v4, 0x7f800001
	s_xor_b32 exec_lo, exec_lo, s16
	s_cbranch_execz .LBB6_11282
.LBB6_13016:                            ;   in Loop: Header=BB6_10551 Depth=3
	v_cmp_ne_u16_sdwa s23, v25, v2 src0_sel:BYTE_0 src1_sel:DWORD
	v_mov_b32_e32 v4, 0
	s_andn2_b32 s22, s22, exec_lo
	s_and_b32 s23, s23, exec_lo
	s_or_b32 s22, s22, s23
	s_or_b32 exec_lo, exec_lo, s16
	s_and_saveexec_b32 s16, s22
	s_cbranch_execnz .LBB6_11283
	s_branch .LBB6_11284
.LBB6_13017:                            ;   in Loop: Header=BB6_10551 Depth=3
	s_or_saveexec_b32 s16, s16
	v_mov_b32_e32 v1, 0x7f800001
	s_xor_b32 exec_lo, exec_lo, s16
	s_cbranch_execz .LBB6_11290
.LBB6_13018:                            ;   in Loop: Header=BB6_10551 Depth=3
	v_cmp_ne_u16_sdwa s23, v33, v2 src0_sel:BYTE_0 src1_sel:DWORD
	v_mov_b32_e32 v1, 0
	s_andn2_b32 s22, s22, exec_lo
	s_and_b32 s23, s23, exec_lo
	s_or_b32 s22, s22, s23
	s_or_b32 exec_lo, exec_lo, s16
	s_and_saveexec_b32 s16, s22
	s_cbranch_execnz .LBB6_11291
	s_branch .LBB6_11292
.LBB6_13019:                            ;   in Loop: Header=BB6_10551 Depth=3
	s_or_saveexec_b32 s16, s16
	v_mov_b32_e32 v4, 0x7f800001
	s_xor_b32 exec_lo, exec_lo, s16
	s_cbranch_execz .LBB6_11296
.LBB6_13020:                            ;   in Loop: Header=BB6_10551 Depth=3
	v_cmp_ne_u16_sdwa s23, v25, v2 src0_sel:BYTE_0 src1_sel:DWORD
	v_mov_b32_e32 v4, 0
	s_andn2_b32 s22, s22, exec_lo
	s_and_b32 s23, s23, exec_lo
	s_or_b32 s22, s22, s23
	s_or_b32 exec_lo, exec_lo, s16
	s_and_saveexec_b32 s16, s22
	s_cbranch_execnz .LBB6_11297
	s_branch .LBB6_11298
.LBB6_13021:                            ;   in Loop: Header=BB6_10551 Depth=3
	s_or_saveexec_b32 s22, s22
	v_mov_b32_e32 v1, 0x7f800001
	s_xor_b32 exec_lo, exec_lo, s22
	s_cbranch_execz .LBB6_11312
.LBB6_13022:                            ;   in Loop: Header=BB6_10551 Depth=3
	v_cmp_ne_u16_sdwa s23, v33, v2 src0_sel:BYTE_1 src1_sel:DWORD
	v_mov_b32_e32 v1, 0
	s_andn2_b32 s16, s16, exec_lo
	s_and_b32 s23, s23, exec_lo
	s_or_b32 s16, s16, s23
	s_or_b32 exec_lo, exec_lo, s22
	s_and_saveexec_b32 s22, s16
	s_cbranch_execnz .LBB6_11313
	s_branch .LBB6_11314
.LBB6_13023:                            ;   in Loop: Header=BB6_10551 Depth=3
	s_or_saveexec_b32 s22, s22
	v_mov_b32_e32 v4, 0x7f800001
	s_xor_b32 exec_lo, exec_lo, s22
	s_cbranch_execz .LBB6_11318
.LBB6_13024:                            ;   in Loop: Header=BB6_10551 Depth=3
	v_cmp_ne_u16_sdwa s23, v25, v2 src0_sel:BYTE_1 src1_sel:DWORD
	v_mov_b32_e32 v4, 0
	s_andn2_b32 s16, s16, exec_lo
	s_and_b32 s23, s23, exec_lo
	s_or_b32 s16, s16, s23
	s_or_b32 exec_lo, exec_lo, s22
	s_and_saveexec_b32 s22, s16
	s_cbranch_execnz .LBB6_11319
	s_branch .LBB6_11320
.LBB6_13025:                            ;   in Loop: Header=BB6_10551 Depth=3
	s_or_saveexec_b32 s22, s22
	v_mov_b32_e32 v1, 0x7f800001
	s_xor_b32 exec_lo, exec_lo, s22
	s_cbranch_execz .LBB6_11326
.LBB6_13026:                            ;   in Loop: Header=BB6_10551 Depth=3
	v_cmp_ne_u16_sdwa s23, v33, v2 src0_sel:BYTE_1 src1_sel:DWORD
	v_mov_b32_e32 v1, 0
	s_andn2_b32 s16, s16, exec_lo
	s_and_b32 s23, s23, exec_lo
	s_or_b32 s16, s16, s23
	s_or_b32 exec_lo, exec_lo, s22
	s_and_saveexec_b32 s22, s16
	s_cbranch_execnz .LBB6_11327
	s_branch .LBB6_11328
.LBB6_13027:                            ;   in Loop: Header=BB6_10551 Depth=3
	s_or_saveexec_b32 s22, s22
	v_mov_b32_e32 v4, 0x7f800001
	s_xor_b32 exec_lo, exec_lo, s22
	s_cbranch_execz .LBB6_11332
.LBB6_13028:                            ;   in Loop: Header=BB6_10551 Depth=3
	v_cmp_ne_u16_sdwa s23, v25, v2 src0_sel:BYTE_1 src1_sel:DWORD
	v_mov_b32_e32 v4, 0
	s_andn2_b32 s16, s16, exec_lo
	s_and_b32 s23, s23, exec_lo
	s_or_b32 s16, s16, s23
	s_or_b32 exec_lo, exec_lo, s22
	s_and_saveexec_b32 s22, s16
	s_cbranch_execnz .LBB6_11333
	s_branch .LBB6_11334
.LBB6_13029:                            ;   in Loop: Header=BB6_10551 Depth=3
	s_or_saveexec_b32 s16, s16
	v_mov_b32_e32 v4, 0x7f800001
	s_xor_b32 exec_lo, exec_lo, s16
	s_cbranch_execz .LBB6_11348
.LBB6_13030:                            ;   in Loop: Header=BB6_10551 Depth=3
	v_cmp_ne_u16_e32 vcc_lo, 0, v1
	v_mov_b32_e32 v4, 0
	s_andn2_b32 s22, s22, exec_lo
	s_and_b32 s23, vcc_lo, exec_lo
	s_or_b32 s22, s22, s23
	s_or_b32 exec_lo, exec_lo, s16
	s_and_saveexec_b32 s16, s22
	s_cbranch_execnz .LBB6_11349
	s_branch .LBB6_11350
.LBB6_13031:                            ;   in Loop: Header=BB6_10551 Depth=3
	s_or_saveexec_b32 s16, s16
	v_mov_b32_e32 v5, 0x7f800001
	s_xor_b32 exec_lo, exec_lo, s16
	s_cbranch_execz .LBB6_11354
.LBB6_13032:                            ;   in Loop: Header=BB6_10551 Depth=3
	v_cmp_ne_u16_e32 vcc_lo, 0, v28
	v_mov_b32_e32 v5, 0
	s_andn2_b32 s22, s22, exec_lo
	s_and_b32 s23, vcc_lo, exec_lo
	s_or_b32 s22, s22, s23
	s_or_b32 exec_lo, exec_lo, s16
	s_and_saveexec_b32 s16, s22
	s_cbranch_execnz .LBB6_11355
	s_branch .LBB6_11356
.LBB6_13033:                            ;   in Loop: Header=BB6_10551 Depth=3
	s_or_saveexec_b32 s16, s16
	v_mov_b32_e32 v4, 0x7f800001
	s_xor_b32 exec_lo, exec_lo, s16
	s_cbranch_execz .LBB6_11362
.LBB6_13034:                            ;   in Loop: Header=BB6_10551 Depth=3
	v_cmp_ne_u16_e32 vcc_lo, 0, v1
	v_mov_b32_e32 v4, 0
	s_andn2_b32 s22, s22, exec_lo
	s_and_b32 s23, vcc_lo, exec_lo
	s_or_b32 s22, s22, s23
	s_or_b32 exec_lo, exec_lo, s16
	s_and_saveexec_b32 s16, s22
	s_cbranch_execnz .LBB6_11363
	s_branch .LBB6_11364
.LBB6_13035:                            ;   in Loop: Header=BB6_10551 Depth=3
	s_or_saveexec_b32 s16, s16
	v_mov_b32_e32 v1, 0x7f800001
	s_xor_b32 exec_lo, exec_lo, s16
	s_cbranch_execz .LBB6_11368
.LBB6_13036:                            ;   in Loop: Header=BB6_10551 Depth=3
	v_cmp_ne_u16_e32 vcc_lo, 0, v5
	v_mov_b32_e32 v1, 0
	s_andn2_b32 s22, s22, exec_lo
	s_and_b32 s23, vcc_lo, exec_lo
	s_or_b32 s22, s22, s23
	s_or_b32 exec_lo, exec_lo, s16
	s_and_saveexec_b32 s16, s22
	s_cbranch_execnz .LBB6_11369
	s_branch .LBB6_11370
.LBB6_13037:                            ;   in Loop: Header=BB6_10551 Depth=3
	s_or_saveexec_b32 s22, s22
	v_mov_b32_e32 v1, 0x7f800001
	s_xor_b32 exec_lo, exec_lo, s22
	s_cbranch_execz .LBB6_11384
.LBB6_13038:                            ;   in Loop: Header=BB6_10551 Depth=3
	v_cmp_ne_u16_sdwa s23, v33, v2 src0_sel:BYTE_3 src1_sel:DWORD
	v_mov_b32_e32 v1, 0
	s_andn2_b32 s16, s16, exec_lo
	s_and_b32 s23, s23, exec_lo
	s_or_b32 s16, s16, s23
	s_or_b32 exec_lo, exec_lo, s22
	s_and_saveexec_b32 s22, s16
	s_cbranch_execnz .LBB6_11385
	s_branch .LBB6_11386
.LBB6_13039:                            ;   in Loop: Header=BB6_10551 Depth=3
	s_or_saveexec_b32 s22, s22
	v_mov_b32_e32 v4, 0x7f800001
	s_xor_b32 exec_lo, exec_lo, s22
	s_cbranch_execz .LBB6_11390
.LBB6_13040:                            ;   in Loop: Header=BB6_10551 Depth=3
	v_cmp_ne_u16_sdwa s23, v25, v2 src0_sel:BYTE_3 src1_sel:DWORD
	v_mov_b32_e32 v4, 0
	s_andn2_b32 s16, s16, exec_lo
	s_and_b32 s23, s23, exec_lo
	s_or_b32 s16, s16, s23
	s_or_b32 exec_lo, exec_lo, s22
	s_and_saveexec_b32 s22, s16
	s_cbranch_execnz .LBB6_11391
	s_branch .LBB6_11392
.LBB6_13041:                            ;   in Loop: Header=BB6_10551 Depth=3
	s_or_saveexec_b32 s22, s22
	v_mov_b32_e32 v1, 0x7f800001
	s_xor_b32 exec_lo, exec_lo, s22
	s_cbranch_execz .LBB6_11398
.LBB6_13042:                            ;   in Loop: Header=BB6_10551 Depth=3
	v_cmp_ne_u16_sdwa s23, v33, v2 src0_sel:BYTE_3 src1_sel:DWORD
	v_mov_b32_e32 v1, 0
	s_andn2_b32 s16, s16, exec_lo
	s_and_b32 s23, s23, exec_lo
	s_or_b32 s16, s16, s23
	s_or_b32 exec_lo, exec_lo, s22
	s_and_saveexec_b32 s22, s16
	s_cbranch_execnz .LBB6_11399
	s_branch .LBB6_11400
.LBB6_13043:                            ;   in Loop: Header=BB6_10551 Depth=3
	s_or_saveexec_b32 s22, s22
	v_mov_b32_e32 v4, 0x7f800001
	s_xor_b32 exec_lo, exec_lo, s22
	s_cbranch_execz .LBB6_11404
.LBB6_13044:                            ;   in Loop: Header=BB6_10551 Depth=3
	v_cmp_ne_u16_sdwa s23, v25, v2 src0_sel:BYTE_3 src1_sel:DWORD
	v_mov_b32_e32 v4, 0
	s_andn2_b32 s16, s16, exec_lo
	s_and_b32 s23, s23, exec_lo
	s_or_b32 s16, s16, s23
	s_or_b32 exec_lo, exec_lo, s22
	s_and_saveexec_b32 s22, s16
	s_cbranch_execnz .LBB6_11405
	s_branch .LBB6_11406
.LBB6_13045:                            ;   in Loop: Header=BB6_10551 Depth=3
	s_or_saveexec_b32 s16, s16
	v_mov_b32_e32 v1, 0x7f800001
	s_xor_b32 exec_lo, exec_lo, s16
	s_cbranch_execz .LBB6_11420
.LBB6_13046:                            ;   in Loop: Header=BB6_10551 Depth=3
	v_cmp_ne_u16_sdwa s23, v34, v2 src0_sel:BYTE_0 src1_sel:DWORD
	v_mov_b32_e32 v1, 0
	s_andn2_b32 s22, s22, exec_lo
	s_and_b32 s23, s23, exec_lo
	s_or_b32 s22, s22, s23
	s_or_b32 exec_lo, exec_lo, s16
	s_and_saveexec_b32 s16, s22
	s_cbranch_execnz .LBB6_11421
	s_branch .LBB6_11422
.LBB6_13047:                            ;   in Loop: Header=BB6_10551 Depth=3
	s_or_saveexec_b32 s16, s16
	v_mov_b32_e32 v4, 0x7f800001
	s_xor_b32 exec_lo, exec_lo, s16
	s_cbranch_execz .LBB6_11426
.LBB6_13048:                            ;   in Loop: Header=BB6_10551 Depth=3
	v_cmp_ne_u16_sdwa s23, v26, v2 src0_sel:BYTE_0 src1_sel:DWORD
	v_mov_b32_e32 v4, 0
	s_andn2_b32 s22, s22, exec_lo
	s_and_b32 s23, s23, exec_lo
	s_or_b32 s22, s22, s23
	s_or_b32 exec_lo, exec_lo, s16
	s_and_saveexec_b32 s16, s22
	s_cbranch_execnz .LBB6_11427
	s_branch .LBB6_11428
.LBB6_13049:                            ;   in Loop: Header=BB6_10551 Depth=3
	s_or_saveexec_b32 s16, s16
	v_mov_b32_e32 v1, 0x7f800001
	s_xor_b32 exec_lo, exec_lo, s16
	s_cbranch_execz .LBB6_11434
.LBB6_13050:                            ;   in Loop: Header=BB6_10551 Depth=3
	v_cmp_ne_u16_sdwa s23, v34, v2 src0_sel:BYTE_0 src1_sel:DWORD
	v_mov_b32_e32 v1, 0
	s_andn2_b32 s22, s22, exec_lo
	s_and_b32 s23, s23, exec_lo
	s_or_b32 s22, s22, s23
	s_or_b32 exec_lo, exec_lo, s16
	s_and_saveexec_b32 s16, s22
	s_cbranch_execnz .LBB6_11435
	s_branch .LBB6_11436
.LBB6_13051:                            ;   in Loop: Header=BB6_10551 Depth=3
	s_or_saveexec_b32 s16, s16
	v_mov_b32_e32 v4, 0x7f800001
	s_xor_b32 exec_lo, exec_lo, s16
	s_cbranch_execz .LBB6_11440
.LBB6_13052:                            ;   in Loop: Header=BB6_10551 Depth=3
	v_cmp_ne_u16_sdwa s23, v26, v2 src0_sel:BYTE_0 src1_sel:DWORD
	v_mov_b32_e32 v4, 0
	s_andn2_b32 s22, s22, exec_lo
	s_and_b32 s23, s23, exec_lo
	s_or_b32 s22, s22, s23
	s_or_b32 exec_lo, exec_lo, s16
	s_and_saveexec_b32 s16, s22
	s_cbranch_execnz .LBB6_11441
	s_branch .LBB6_11442
.LBB6_13053:                            ;   in Loop: Header=BB6_10551 Depth=3
	s_or_saveexec_b32 s22, s22
	v_mov_b32_e32 v1, 0x7f800001
	s_xor_b32 exec_lo, exec_lo, s22
	s_cbranch_execz .LBB6_11456
.LBB6_13054:                            ;   in Loop: Header=BB6_10551 Depth=3
	v_cmp_ne_u16_sdwa s23, v34, v2 src0_sel:BYTE_1 src1_sel:DWORD
	v_mov_b32_e32 v1, 0
	s_andn2_b32 s16, s16, exec_lo
	s_and_b32 s23, s23, exec_lo
	s_or_b32 s16, s16, s23
	s_or_b32 exec_lo, exec_lo, s22
	s_and_saveexec_b32 s22, s16
	s_cbranch_execnz .LBB6_11457
	s_branch .LBB6_11458
.LBB6_13055:                            ;   in Loop: Header=BB6_10551 Depth=3
	s_or_saveexec_b32 s22, s22
	v_mov_b32_e32 v4, 0x7f800001
	s_xor_b32 exec_lo, exec_lo, s22
	s_cbranch_execz .LBB6_11462
.LBB6_13056:                            ;   in Loop: Header=BB6_10551 Depth=3
	v_cmp_ne_u16_sdwa s23, v26, v2 src0_sel:BYTE_1 src1_sel:DWORD
	v_mov_b32_e32 v4, 0
	s_andn2_b32 s16, s16, exec_lo
	s_and_b32 s23, s23, exec_lo
	s_or_b32 s16, s16, s23
	s_or_b32 exec_lo, exec_lo, s22
	s_and_saveexec_b32 s22, s16
	s_cbranch_execnz .LBB6_11463
	s_branch .LBB6_11464
.LBB6_13057:                            ;   in Loop: Header=BB6_10551 Depth=3
	s_or_saveexec_b32 s22, s22
	v_mov_b32_e32 v1, 0x7f800001
	s_xor_b32 exec_lo, exec_lo, s22
	s_cbranch_execz .LBB6_11470
.LBB6_13058:                            ;   in Loop: Header=BB6_10551 Depth=3
	v_cmp_ne_u16_sdwa s23, v34, v2 src0_sel:BYTE_1 src1_sel:DWORD
	v_mov_b32_e32 v1, 0
	s_andn2_b32 s16, s16, exec_lo
	s_and_b32 s23, s23, exec_lo
	s_or_b32 s16, s16, s23
	s_or_b32 exec_lo, exec_lo, s22
	s_and_saveexec_b32 s22, s16
	s_cbranch_execnz .LBB6_11471
	s_branch .LBB6_11472
.LBB6_13059:                            ;   in Loop: Header=BB6_10551 Depth=3
	s_or_saveexec_b32 s22, s22
	v_mov_b32_e32 v4, 0x7f800001
	s_xor_b32 exec_lo, exec_lo, s22
	s_cbranch_execz .LBB6_11476
.LBB6_13060:                            ;   in Loop: Header=BB6_10551 Depth=3
	v_cmp_ne_u16_sdwa s23, v26, v2 src0_sel:BYTE_1 src1_sel:DWORD
	v_mov_b32_e32 v4, 0
	s_andn2_b32 s16, s16, exec_lo
	s_and_b32 s23, s23, exec_lo
	s_or_b32 s16, s16, s23
	s_or_b32 exec_lo, exec_lo, s22
	s_and_saveexec_b32 s22, s16
	s_cbranch_execnz .LBB6_11477
	s_branch .LBB6_11478
.LBB6_13061:                            ;   in Loop: Header=BB6_10551 Depth=3
	s_or_saveexec_b32 s16, s16
	v_mov_b32_e32 v4, 0x7f800001
	s_xor_b32 exec_lo, exec_lo, s16
	s_cbranch_execz .LBB6_11492
.LBB6_13062:                            ;   in Loop: Header=BB6_10551 Depth=3
	v_cmp_ne_u16_e32 vcc_lo, 0, v1
	v_mov_b32_e32 v4, 0
	s_andn2_b32 s22, s22, exec_lo
	s_and_b32 s23, vcc_lo, exec_lo
	s_or_b32 s22, s22, s23
	s_or_b32 exec_lo, exec_lo, s16
	s_and_saveexec_b32 s16, s22
	s_cbranch_execnz .LBB6_11493
	s_branch .LBB6_11494
.LBB6_13063:                            ;   in Loop: Header=BB6_10551 Depth=3
	s_or_saveexec_b32 s16, s16
	v_mov_b32_e32 v5, 0x7f800001
	s_xor_b32 exec_lo, exec_lo, s16
	s_cbranch_execz .LBB6_11498
.LBB6_13064:                            ;   in Loop: Header=BB6_10551 Depth=3
	v_cmp_ne_u16_e32 vcc_lo, 0, v31
	v_mov_b32_e32 v5, 0
	s_andn2_b32 s22, s22, exec_lo
	s_and_b32 s23, vcc_lo, exec_lo
	s_or_b32 s22, s22, s23
	s_or_b32 exec_lo, exec_lo, s16
	s_and_saveexec_b32 s16, s22
	s_cbranch_execnz .LBB6_11499
	s_branch .LBB6_11500
.LBB6_13065:                            ;   in Loop: Header=BB6_10551 Depth=3
	s_or_saveexec_b32 s16, s16
	v_mov_b32_e32 v4, 0x7f800001
	s_xor_b32 exec_lo, exec_lo, s16
	s_cbranch_execz .LBB6_11506
.LBB6_13066:                            ;   in Loop: Header=BB6_10551 Depth=3
	v_cmp_ne_u16_e32 vcc_lo, 0, v1
	v_mov_b32_e32 v4, 0
	s_andn2_b32 s22, s22, exec_lo
	s_and_b32 s23, vcc_lo, exec_lo
	s_or_b32 s22, s22, s23
	s_or_b32 exec_lo, exec_lo, s16
	s_and_saveexec_b32 s16, s22
	s_cbranch_execnz .LBB6_11507
	s_branch .LBB6_11508
.LBB6_13067:                            ;   in Loop: Header=BB6_10551 Depth=3
	s_or_saveexec_b32 s16, s16
	v_mov_b32_e32 v1, 0x7f800001
	s_xor_b32 exec_lo, exec_lo, s16
	s_cbranch_execz .LBB6_11512
.LBB6_13068:                            ;   in Loop: Header=BB6_10551 Depth=3
	v_cmp_ne_u16_e32 vcc_lo, 0, v5
	v_mov_b32_e32 v1, 0
	s_andn2_b32 s22, s22, exec_lo
	s_and_b32 s23, vcc_lo, exec_lo
	s_or_b32 s22, s22, s23
	s_or_b32 exec_lo, exec_lo, s16
	s_and_saveexec_b32 s16, s22
	s_cbranch_execnz .LBB6_11513
	s_branch .LBB6_11514
.LBB6_13069:                            ;   in Loop: Header=BB6_10551 Depth=3
	s_or_saveexec_b32 s22, s22
	v_mov_b32_e32 v1, 0x7f800001
	s_xor_b32 exec_lo, exec_lo, s22
	s_cbranch_execz .LBB6_11528
.LBB6_13070:                            ;   in Loop: Header=BB6_10551 Depth=3
	v_cmp_ne_u16_sdwa s23, v34, v2 src0_sel:BYTE_3 src1_sel:DWORD
	v_mov_b32_e32 v1, 0
	s_andn2_b32 s16, s16, exec_lo
	s_and_b32 s23, s23, exec_lo
	s_or_b32 s16, s16, s23
	s_or_b32 exec_lo, exec_lo, s22
	s_and_saveexec_b32 s22, s16
	s_cbranch_execnz .LBB6_11529
	s_branch .LBB6_11530
.LBB6_13071:                            ;   in Loop: Header=BB6_10551 Depth=3
	s_or_saveexec_b32 s22, s22
	v_mov_b32_e32 v4, 0x7f800001
	s_xor_b32 exec_lo, exec_lo, s22
	s_cbranch_execz .LBB6_11534
.LBB6_13072:                            ;   in Loop: Header=BB6_10551 Depth=3
	v_cmp_ne_u16_sdwa s23, v26, v2 src0_sel:BYTE_3 src1_sel:DWORD
	v_mov_b32_e32 v4, 0
	s_andn2_b32 s16, s16, exec_lo
	s_and_b32 s23, s23, exec_lo
	s_or_b32 s16, s16, s23
	s_or_b32 exec_lo, exec_lo, s22
	s_and_saveexec_b32 s22, s16
	s_cbranch_execnz .LBB6_11535
	s_branch .LBB6_11536
.LBB6_13073:                            ;   in Loop: Header=BB6_10551 Depth=3
	s_or_saveexec_b32 s22, s22
	v_mov_b32_e32 v1, 0x7f800001
	s_xor_b32 exec_lo, exec_lo, s22
	s_cbranch_execz .LBB6_11542
.LBB6_13074:                            ;   in Loop: Header=BB6_10551 Depth=3
	v_cmp_ne_u16_sdwa s23, v34, v2 src0_sel:BYTE_3 src1_sel:DWORD
	v_mov_b32_e32 v1, 0
	s_andn2_b32 s16, s16, exec_lo
	s_and_b32 s23, s23, exec_lo
	s_or_b32 s16, s16, s23
	s_or_b32 exec_lo, exec_lo, s22
	s_and_saveexec_b32 s22, s16
	s_cbranch_execnz .LBB6_11543
	s_branch .LBB6_11544
.LBB6_13075:                            ;   in Loop: Header=BB6_10551 Depth=3
	s_or_saveexec_b32 s22, s22
	v_mov_b32_e32 v4, 0x7f800001
	s_xor_b32 exec_lo, exec_lo, s22
	s_cbranch_execz .LBB6_11548
.LBB6_13076:                            ;   in Loop: Header=BB6_10551 Depth=3
	v_cmp_ne_u16_sdwa s23, v26, v2 src0_sel:BYTE_3 src1_sel:DWORD
	v_mov_b32_e32 v4, 0
	s_andn2_b32 s16, s16, exec_lo
	s_and_b32 s23, s23, exec_lo
	s_or_b32 s16, s16, s23
	s_or_b32 exec_lo, exec_lo, s22
	s_and_saveexec_b32 s22, s16
	s_cbranch_execnz .LBB6_11549
	s_branch .LBB6_11550
.LBB6_13077:                            ;   in Loop: Header=BB6_10551 Depth=3
	s_or_saveexec_b32 s16, s16
	v_mov_b32_e32 v1, 0x7f800001
	s_xor_b32 exec_lo, exec_lo, s16
	s_cbranch_execz .LBB6_11564
.LBB6_13078:                            ;   in Loop: Header=BB6_10551 Depth=3
	v_cmp_ne_u16_sdwa s23, v35, v2 src0_sel:BYTE_0 src1_sel:DWORD
	v_mov_b32_e32 v1, 0
	s_andn2_b32 s22, s22, exec_lo
	s_and_b32 s23, s23, exec_lo
	s_or_b32 s22, s22, s23
	s_or_b32 exec_lo, exec_lo, s16
	s_and_saveexec_b32 s16, s22
	s_cbranch_execnz .LBB6_11565
	s_branch .LBB6_11566
.LBB6_13079:                            ;   in Loop: Header=BB6_10551 Depth=3
	s_or_saveexec_b32 s16, s16
	v_mov_b32_e32 v4, 0x7f800001
	s_xor_b32 exec_lo, exec_lo, s16
	s_cbranch_execz .LBB6_11570
.LBB6_13080:                            ;   in Loop: Header=BB6_10551 Depth=3
	v_cmp_ne_u16_sdwa s23, v27, v2 src0_sel:BYTE_0 src1_sel:DWORD
	v_mov_b32_e32 v4, 0
	s_andn2_b32 s22, s22, exec_lo
	s_and_b32 s23, s23, exec_lo
	s_or_b32 s22, s22, s23
	s_or_b32 exec_lo, exec_lo, s16
	s_and_saveexec_b32 s16, s22
	s_cbranch_execnz .LBB6_11571
	s_branch .LBB6_11572
.LBB6_13081:                            ;   in Loop: Header=BB6_10551 Depth=3
	s_or_saveexec_b32 s16, s16
	v_mov_b32_e32 v1, 0x7f800001
	s_xor_b32 exec_lo, exec_lo, s16
	s_cbranch_execz .LBB6_11578
.LBB6_13082:                            ;   in Loop: Header=BB6_10551 Depth=3
	v_cmp_ne_u16_sdwa s23, v35, v2 src0_sel:BYTE_0 src1_sel:DWORD
	v_mov_b32_e32 v1, 0
	s_andn2_b32 s22, s22, exec_lo
	s_and_b32 s23, s23, exec_lo
	s_or_b32 s22, s22, s23
	s_or_b32 exec_lo, exec_lo, s16
	s_and_saveexec_b32 s16, s22
	s_cbranch_execnz .LBB6_11579
	s_branch .LBB6_11580
.LBB6_13083:                            ;   in Loop: Header=BB6_10551 Depth=3
	s_or_saveexec_b32 s16, s16
	v_mov_b32_e32 v4, 0x7f800001
	s_xor_b32 exec_lo, exec_lo, s16
	s_cbranch_execz .LBB6_11584
.LBB6_13084:                            ;   in Loop: Header=BB6_10551 Depth=3
	v_cmp_ne_u16_sdwa s23, v27, v2 src0_sel:BYTE_0 src1_sel:DWORD
	v_mov_b32_e32 v4, 0
	s_andn2_b32 s22, s22, exec_lo
	s_and_b32 s23, s23, exec_lo
	s_or_b32 s22, s22, s23
	s_or_b32 exec_lo, exec_lo, s16
	s_and_saveexec_b32 s16, s22
	s_cbranch_execnz .LBB6_11585
	s_branch .LBB6_11586
.LBB6_13085:                            ;   in Loop: Header=BB6_10551 Depth=3
	s_or_saveexec_b32 s22, s22
	v_mov_b32_e32 v1, 0x7f800001
	s_xor_b32 exec_lo, exec_lo, s22
	s_cbranch_execz .LBB6_11600
.LBB6_13086:                            ;   in Loop: Header=BB6_10551 Depth=3
	v_cmp_ne_u16_sdwa s23, v35, v2 src0_sel:BYTE_1 src1_sel:DWORD
	v_mov_b32_e32 v1, 0
	s_andn2_b32 s16, s16, exec_lo
	s_and_b32 s23, s23, exec_lo
	s_or_b32 s16, s16, s23
	s_or_b32 exec_lo, exec_lo, s22
	s_and_saveexec_b32 s22, s16
	s_cbranch_execnz .LBB6_11601
	s_branch .LBB6_11602
.LBB6_13087:                            ;   in Loop: Header=BB6_10551 Depth=3
	s_or_saveexec_b32 s22, s22
	v_mov_b32_e32 v4, 0x7f800001
	s_xor_b32 exec_lo, exec_lo, s22
	s_cbranch_execz .LBB6_11606
.LBB6_13088:                            ;   in Loop: Header=BB6_10551 Depth=3
	v_cmp_ne_u16_sdwa s23, v27, v2 src0_sel:BYTE_1 src1_sel:DWORD
	v_mov_b32_e32 v4, 0
	s_andn2_b32 s16, s16, exec_lo
	s_and_b32 s23, s23, exec_lo
	s_or_b32 s16, s16, s23
	s_or_b32 exec_lo, exec_lo, s22
	s_and_saveexec_b32 s22, s16
	s_cbranch_execnz .LBB6_11607
	s_branch .LBB6_11608
.LBB6_13089:                            ;   in Loop: Header=BB6_10551 Depth=3
	s_or_saveexec_b32 s22, s22
	v_mov_b32_e32 v1, 0x7f800001
	s_xor_b32 exec_lo, exec_lo, s22
	s_cbranch_execz .LBB6_11614
.LBB6_13090:                            ;   in Loop: Header=BB6_10551 Depth=3
	v_cmp_ne_u16_sdwa s23, v35, v2 src0_sel:BYTE_1 src1_sel:DWORD
	v_mov_b32_e32 v1, 0
	s_andn2_b32 s16, s16, exec_lo
	s_and_b32 s23, s23, exec_lo
	s_or_b32 s16, s16, s23
	s_or_b32 exec_lo, exec_lo, s22
	s_and_saveexec_b32 s22, s16
	s_cbranch_execnz .LBB6_11615
	s_branch .LBB6_11616
.LBB6_13091:                            ;   in Loop: Header=BB6_10551 Depth=3
	s_or_saveexec_b32 s22, s22
	v_mov_b32_e32 v4, 0x7f800001
	s_xor_b32 exec_lo, exec_lo, s22
	s_cbranch_execz .LBB6_11620
.LBB6_13092:                            ;   in Loop: Header=BB6_10551 Depth=3
	v_cmp_ne_u16_sdwa s23, v27, v2 src0_sel:BYTE_1 src1_sel:DWORD
	v_mov_b32_e32 v4, 0
	s_andn2_b32 s16, s16, exec_lo
	s_and_b32 s23, s23, exec_lo
	s_or_b32 s16, s16, s23
	s_or_b32 exec_lo, exec_lo, s22
	s_and_saveexec_b32 s22, s16
	s_cbranch_execnz .LBB6_11621
	s_branch .LBB6_11622
.LBB6_13093:                            ;   in Loop: Header=BB6_10551 Depth=3
	s_or_saveexec_b32 s16, s16
	v_mov_b32_e32 v4, 0x7f800001
	s_xor_b32 exec_lo, exec_lo, s16
	s_cbranch_execz .LBB6_11636
.LBB6_13094:                            ;   in Loop: Header=BB6_10551 Depth=3
	v_cmp_ne_u16_e32 vcc_lo, 0, v1
	v_mov_b32_e32 v4, 0
	s_andn2_b32 s22, s22, exec_lo
	s_and_b32 s23, vcc_lo, exec_lo
	s_or_b32 s22, s22, s23
	s_or_b32 exec_lo, exec_lo, s16
	s_and_saveexec_b32 s16, s22
	s_cbranch_execnz .LBB6_11637
	s_branch .LBB6_11638
.LBB6_13095:                            ;   in Loop: Header=BB6_10551 Depth=3
	s_or_saveexec_b32 s16, s16
	v_mov_b32_e32 v5, 0x7f800001
	s_xor_b32 exec_lo, exec_lo, s16
	s_cbranch_execz .LBB6_11642
.LBB6_13096:                            ;   in Loop: Header=BB6_10551 Depth=3
	v_cmp_ne_u16_e32 vcc_lo, 0, v31
	v_mov_b32_e32 v5, 0
	s_andn2_b32 s22, s22, exec_lo
	s_and_b32 s23, vcc_lo, exec_lo
	s_or_b32 s22, s22, s23
	s_or_b32 exec_lo, exec_lo, s16
	s_and_saveexec_b32 s16, s22
	s_cbranch_execnz .LBB6_11643
	s_branch .LBB6_11644
.LBB6_13097:                            ;   in Loop: Header=BB6_10551 Depth=3
	s_or_saveexec_b32 s16, s16
	v_mov_b32_e32 v4, 0x7f800001
	s_xor_b32 exec_lo, exec_lo, s16
	s_cbranch_execz .LBB6_11650
.LBB6_13098:                            ;   in Loop: Header=BB6_10551 Depth=3
	v_cmp_ne_u16_e32 vcc_lo, 0, v1
	v_mov_b32_e32 v4, 0
	s_andn2_b32 s22, s22, exec_lo
	s_and_b32 s23, vcc_lo, exec_lo
	s_or_b32 s22, s22, s23
	s_or_b32 exec_lo, exec_lo, s16
	s_and_saveexec_b32 s16, s22
	s_cbranch_execnz .LBB6_11651
	s_branch .LBB6_11652
.LBB6_13099:                            ;   in Loop: Header=BB6_10551 Depth=3
	s_or_saveexec_b32 s16, s16
	v_mov_b32_e32 v1, 0x7f800001
	s_xor_b32 exec_lo, exec_lo, s16
	s_cbranch_execz .LBB6_11656
.LBB6_13100:                            ;   in Loop: Header=BB6_10551 Depth=3
	v_cmp_ne_u16_e32 vcc_lo, 0, v5
	v_mov_b32_e32 v1, 0
	s_andn2_b32 s22, s22, exec_lo
	s_and_b32 s23, vcc_lo, exec_lo
	s_or_b32 s22, s22, s23
	s_or_b32 exec_lo, exec_lo, s16
	s_and_saveexec_b32 s16, s22
	s_cbranch_execnz .LBB6_11657
	s_branch .LBB6_11658
.LBB6_13101:                            ;   in Loop: Header=BB6_10551 Depth=3
	s_or_saveexec_b32 s22, s22
	v_mov_b32_e32 v1, 0x7f800001
	s_xor_b32 exec_lo, exec_lo, s22
	s_cbranch_execz .LBB6_11672
.LBB6_13102:                            ;   in Loop: Header=BB6_10551 Depth=3
	v_cmp_ne_u16_sdwa s23, v35, v2 src0_sel:BYTE_3 src1_sel:DWORD
	v_mov_b32_e32 v1, 0
	s_andn2_b32 s16, s16, exec_lo
	s_and_b32 s23, s23, exec_lo
	s_or_b32 s16, s16, s23
	s_or_b32 exec_lo, exec_lo, s22
	s_and_saveexec_b32 s22, s16
	s_cbranch_execnz .LBB6_11673
	s_branch .LBB6_11674
.LBB6_13103:                            ;   in Loop: Header=BB6_10551 Depth=3
	s_or_saveexec_b32 s22, s22
	v_mov_b32_e32 v4, 0x7f800001
	s_xor_b32 exec_lo, exec_lo, s22
	s_cbranch_execz .LBB6_11678
.LBB6_13104:                            ;   in Loop: Header=BB6_10551 Depth=3
	v_cmp_ne_u16_sdwa s23, v27, v2 src0_sel:BYTE_3 src1_sel:DWORD
	v_mov_b32_e32 v4, 0
	s_andn2_b32 s16, s16, exec_lo
	s_and_b32 s23, s23, exec_lo
	s_or_b32 s16, s16, s23
	s_or_b32 exec_lo, exec_lo, s22
	s_and_saveexec_b32 s22, s16
	s_cbranch_execnz .LBB6_11679
	s_branch .LBB6_11680
.LBB6_13105:                            ;   in Loop: Header=BB6_10551 Depth=3
	s_or_saveexec_b32 s22, s22
	v_mov_b32_e32 v1, 0x7f800001
	s_xor_b32 exec_lo, exec_lo, s22
	s_cbranch_execz .LBB6_11686
.LBB6_13106:                            ;   in Loop: Header=BB6_10551 Depth=3
	v_cmp_ne_u16_sdwa s23, v35, v2 src0_sel:BYTE_3 src1_sel:DWORD
	v_mov_b32_e32 v1, 0
	s_andn2_b32 s16, s16, exec_lo
	s_and_b32 s23, s23, exec_lo
	s_or_b32 s16, s16, s23
	s_or_b32 exec_lo, exec_lo, s22
	s_and_saveexec_b32 s22, s16
	s_cbranch_execnz .LBB6_11687
	s_branch .LBB6_11688
.LBB6_13107:                            ;   in Loop: Header=BB6_10551 Depth=3
	s_or_saveexec_b32 s22, s22
	v_mov_b32_e32 v4, 0x7f800001
	s_xor_b32 exec_lo, exec_lo, s22
	s_cbranch_execz .LBB6_11692
.LBB6_13108:                            ;   in Loop: Header=BB6_10551 Depth=3
	v_cmp_ne_u16_sdwa s23, v27, v2 src0_sel:BYTE_3 src1_sel:DWORD
	v_mov_b32_e32 v4, 0
	s_andn2_b32 s16, s16, exec_lo
	s_and_b32 s23, s23, exec_lo
	s_or_b32 s16, s16, s23
	s_or_b32 exec_lo, exec_lo, s22
	s_and_saveexec_b32 s22, s16
	s_cbranch_execnz .LBB6_11693
	s_branch .LBB6_11694
.LBB6_13109:                            ;   in Loop: Header=BB6_10551 Depth=3
	s_or_saveexec_b32 s16, s16
	v_mov_b32_e32 v1, 0x7f800001
	s_xor_b32 exec_lo, exec_lo, s16
	s_cbranch_execz .LBB6_11708
.LBB6_13110:                            ;   in Loop: Header=BB6_10551 Depth=3
	v_cmp_ne_u16_sdwa s23, v20, v2 src0_sel:BYTE_0 src1_sel:DWORD
	v_mov_b32_e32 v1, 0
	s_andn2_b32 s22, s22, exec_lo
	s_and_b32 s23, s23, exec_lo
	s_or_b32 s22, s22, s23
	s_or_b32 exec_lo, exec_lo, s16
	s_and_saveexec_b32 s16, s22
	s_cbranch_execnz .LBB6_11709
	s_branch .LBB6_11710
.LBB6_13111:                            ;   in Loop: Header=BB6_10551 Depth=3
	s_or_saveexec_b32 s16, s16
	v_mov_b32_e32 v5, 0x7f800001
	s_xor_b32 exec_lo, exec_lo, s16
	s_cbranch_execz .LBB6_11714
.LBB6_13112:                            ;   in Loop: Header=BB6_10551 Depth=3
	v_cmp_ne_u16_sdwa s23, v16, v2 src0_sel:BYTE_0 src1_sel:DWORD
	v_mov_b32_e32 v5, 0
	s_andn2_b32 s22, s22, exec_lo
	s_and_b32 s23, s23, exec_lo
	s_or_b32 s22, s22, s23
	s_or_b32 exec_lo, exec_lo, s16
	s_and_saveexec_b32 s16, s22
	s_cbranch_execnz .LBB6_11715
	s_branch .LBB6_11716
.LBB6_13113:                            ;   in Loop: Header=BB6_10551 Depth=3
	s_or_saveexec_b32 s16, s16
	v_mov_b32_e32 v1, 0x7f800001
	s_xor_b32 exec_lo, exec_lo, s16
	s_cbranch_execz .LBB6_11722
.LBB6_13114:                            ;   in Loop: Header=BB6_10551 Depth=3
	v_cmp_ne_u16_sdwa s23, v20, v2 src0_sel:BYTE_0 src1_sel:DWORD
	v_mov_b32_e32 v1, 0
	s_andn2_b32 s22, s22, exec_lo
	s_and_b32 s23, s23, exec_lo
	s_or_b32 s22, s22, s23
	s_or_b32 exec_lo, exec_lo, s16
	s_and_saveexec_b32 s16, s22
	s_cbranch_execnz .LBB6_11723
	s_branch .LBB6_11724
.LBB6_13115:                            ;   in Loop: Header=BB6_10551 Depth=3
	s_or_saveexec_b32 s16, s16
	v_mov_b32_e32 v5, 0x7f800001
	s_xor_b32 exec_lo, exec_lo, s16
	s_cbranch_execz .LBB6_11728
.LBB6_13116:                            ;   in Loop: Header=BB6_10551 Depth=3
	v_cmp_ne_u16_sdwa s23, v16, v2 src0_sel:BYTE_0 src1_sel:DWORD
	v_mov_b32_e32 v5, 0
	s_andn2_b32 s22, s22, exec_lo
	s_and_b32 s23, s23, exec_lo
	s_or_b32 s22, s22, s23
	s_or_b32 exec_lo, exec_lo, s16
	s_and_saveexec_b32 s16, s22
	s_cbranch_execnz .LBB6_11729
	s_branch .LBB6_11730
.LBB6_13117:                            ;   in Loop: Header=BB6_10551 Depth=3
	s_or_saveexec_b32 s22, s22
	v_mov_b32_e32 v1, 0x7f800001
	s_xor_b32 exec_lo, exec_lo, s22
	s_cbranch_execz .LBB6_11744
.LBB6_13118:                            ;   in Loop: Header=BB6_10551 Depth=3
	v_cmp_ne_u16_sdwa s23, v20, v2 src0_sel:BYTE_1 src1_sel:DWORD
	v_mov_b32_e32 v1, 0
	s_andn2_b32 s16, s16, exec_lo
	s_and_b32 s23, s23, exec_lo
	s_or_b32 s16, s16, s23
	s_or_b32 exec_lo, exec_lo, s22
	s_and_saveexec_b32 s22, s16
	s_cbranch_execnz .LBB6_11745
	s_branch .LBB6_11746
.LBB6_13119:                            ;   in Loop: Header=BB6_10551 Depth=3
	s_or_saveexec_b32 s22, s22
	v_mov_b32_e32 v27, 0x7f800001
	s_xor_b32 exec_lo, exec_lo, s22
	s_cbranch_execz .LBB6_11750
.LBB6_13120:                            ;   in Loop: Header=BB6_10551 Depth=3
	v_cmp_ne_u16_sdwa s23, v16, v2 src0_sel:BYTE_1 src1_sel:DWORD
	v_mov_b32_e32 v27, 0
	s_andn2_b32 s16, s16, exec_lo
	s_and_b32 s23, s23, exec_lo
	s_or_b32 s16, s16, s23
	s_or_b32 exec_lo, exec_lo, s22
	s_and_saveexec_b32 s22, s16
	s_cbranch_execnz .LBB6_11751
	s_branch .LBB6_11752
.LBB6_13121:                            ;   in Loop: Header=BB6_10551 Depth=3
	s_or_saveexec_b32 s22, s22
	v_mov_b32_e32 v1, 0x7f800001
	s_xor_b32 exec_lo, exec_lo, s22
	s_cbranch_execz .LBB6_11758
.LBB6_13122:                            ;   in Loop: Header=BB6_10551 Depth=3
	v_cmp_ne_u16_sdwa s23, v20, v2 src0_sel:BYTE_1 src1_sel:DWORD
	v_mov_b32_e32 v1, 0
	s_andn2_b32 s16, s16, exec_lo
	s_and_b32 s23, s23, exec_lo
	s_or_b32 s16, s16, s23
	s_or_b32 exec_lo, exec_lo, s22
	s_and_saveexec_b32 s22, s16
	s_cbranch_execnz .LBB6_11759
	s_branch .LBB6_11760
.LBB6_13123:                            ;   in Loop: Header=BB6_10551 Depth=3
	s_or_saveexec_b32 s22, s22
	v_mov_b32_e32 v27, 0x7f800001
	s_xor_b32 exec_lo, exec_lo, s22
	s_cbranch_execz .LBB6_11764
.LBB6_13124:                            ;   in Loop: Header=BB6_10551 Depth=3
	v_cmp_ne_u16_sdwa s23, v16, v2 src0_sel:BYTE_1 src1_sel:DWORD
	v_mov_b32_e32 v27, 0
	s_andn2_b32 s16, s16, exec_lo
	s_and_b32 s23, s23, exec_lo
	s_or_b32 s16, s16, s23
	s_or_b32 exec_lo, exec_lo, s22
	s_and_saveexec_b32 s22, s16
	s_cbranch_execnz .LBB6_11765
	s_branch .LBB6_11766
.LBB6_13125:                            ;   in Loop: Header=BB6_10551 Depth=3
	s_or_saveexec_b32 s16, s16
	v_mov_b32_e32 v31, 0x7f800001
	s_xor_b32 exec_lo, exec_lo, s16
	s_cbranch_execz .LBB6_11780
.LBB6_13126:                            ;   in Loop: Header=BB6_10551 Depth=3
	v_cmp_ne_u16_e32 vcc_lo, 0, v1
	v_mov_b32_e32 v31, 0
	s_andn2_b32 s22, s22, exec_lo
	s_and_b32 s23, vcc_lo, exec_lo
	s_or_b32 s22, s22, s23
	s_or_b32 exec_lo, exec_lo, s16
	s_and_saveexec_b32 s16, s22
	s_cbranch_execnz .LBB6_11781
	s_branch .LBB6_11782
.LBB6_13127:                            ;   in Loop: Header=BB6_10551 Depth=3
	s_or_saveexec_b32 s16, s16
	v_mov_b32_e32 v35, 0x7f800001
	s_xor_b32 exec_lo, exec_lo, s16
	s_cbranch_execz .LBB6_11786
.LBB6_13128:                            ;   in Loop: Header=BB6_10551 Depth=3
	v_cmp_ne_u16_e32 vcc_lo, 0, v82
	v_mov_b32_e32 v35, 0
	s_andn2_b32 s22, s22, exec_lo
	s_and_b32 s23, vcc_lo, exec_lo
	s_or_b32 s22, s22, s23
	s_or_b32 exec_lo, exec_lo, s16
	s_and_saveexec_b32 s16, s22
	s_cbranch_execnz .LBB6_11787
	s_branch .LBB6_11788
.LBB6_13129:                            ;   in Loop: Header=BB6_10551 Depth=3
	s_or_saveexec_b32 s16, s16
	v_mov_b32_e32 v31, 0x7f800001
	s_xor_b32 exec_lo, exec_lo, s16
	s_cbranch_execz .LBB6_11794
.LBB6_13130:                            ;   in Loop: Header=BB6_10551 Depth=3
	v_cmp_ne_u16_e32 vcc_lo, 0, v1
	v_mov_b32_e32 v31, 0
	s_andn2_b32 s22, s22, exec_lo
	s_and_b32 s23, vcc_lo, exec_lo
	s_or_b32 s22, s22, s23
	s_or_b32 exec_lo, exec_lo, s16
	s_and_saveexec_b32 s16, s22
	s_cbranch_execnz .LBB6_11795
	s_branch .LBB6_11796
.LBB6_13131:                            ;   in Loop: Header=BB6_10551 Depth=3
	s_or_saveexec_b32 s16, s16
	v_mov_b32_e32 v1, 0x7f800001
	s_xor_b32 exec_lo, exec_lo, s16
	s_cbranch_execz .LBB6_11800
.LBB6_13132:                            ;   in Loop: Header=BB6_10551 Depth=3
	v_cmp_ne_u16_e32 vcc_lo, 0, v35
	v_mov_b32_e32 v1, 0
	s_andn2_b32 s22, s22, exec_lo
	s_and_b32 s23, vcc_lo, exec_lo
	s_or_b32 s22, s22, s23
	s_or_b32 exec_lo, exec_lo, s16
	s_and_saveexec_b32 s16, s22
	s_cbranch_execnz .LBB6_11801
	s_branch .LBB6_11802
.LBB6_13133:                            ;   in Loop: Header=BB6_10551 Depth=3
	s_or_saveexec_b32 s22, s22
	v_mov_b32_e32 v1, 0x7f800001
	s_xor_b32 exec_lo, exec_lo, s22
	s_cbranch_execz .LBB6_11816
.LBB6_13134:                            ;   in Loop: Header=BB6_10551 Depth=3
	v_cmp_ne_u16_sdwa s23, v20, v2 src0_sel:BYTE_3 src1_sel:DWORD
	v_mov_b32_e32 v1, 0
	s_andn2_b32 s16, s16, exec_lo
	s_and_b32 s23, s23, exec_lo
	s_or_b32 s16, s16, s23
	s_or_b32 exec_lo, exec_lo, s22
	s_and_saveexec_b32 s22, s16
	s_cbranch_execnz .LBB6_11817
	s_branch .LBB6_11818
.LBB6_13135:                            ;   in Loop: Header=BB6_10551 Depth=3
	s_or_saveexec_b32 s22, s22
	v_mov_b32_e32 v31, 0x7f800001
	s_xor_b32 exec_lo, exec_lo, s22
	s_cbranch_execz .LBB6_11822
.LBB6_13136:                            ;   in Loop: Header=BB6_10551 Depth=3
	v_cmp_ne_u16_sdwa s23, v16, v2 src0_sel:BYTE_3 src1_sel:DWORD
	v_mov_b32_e32 v31, 0
	s_andn2_b32 s16, s16, exec_lo
	s_and_b32 s23, s23, exec_lo
	s_or_b32 s16, s16, s23
	s_or_b32 exec_lo, exec_lo, s22
	s_and_saveexec_b32 s22, s16
	s_cbranch_execnz .LBB6_11823
	s_branch .LBB6_11824
.LBB6_13137:                            ;   in Loop: Header=BB6_10551 Depth=3
	s_or_saveexec_b32 s22, s22
	v_mov_b32_e32 v1, 0x7f800001
	s_xor_b32 exec_lo, exec_lo, s22
	s_cbranch_execz .LBB6_11830
.LBB6_13138:                            ;   in Loop: Header=BB6_10551 Depth=3
	v_cmp_ne_u16_sdwa s23, v20, v2 src0_sel:BYTE_3 src1_sel:DWORD
	v_mov_b32_e32 v1, 0
	s_andn2_b32 s16, s16, exec_lo
	s_and_b32 s23, s23, exec_lo
	s_or_b32 s16, s16, s23
	s_or_b32 exec_lo, exec_lo, s22
	s_and_saveexec_b32 s22, s16
	s_cbranch_execnz .LBB6_11831
	s_branch .LBB6_11832
.LBB6_13139:                            ;   in Loop: Header=BB6_10551 Depth=3
	s_or_saveexec_b32 s22, s22
	v_mov_b32_e32 v20, 0x7f800001
	s_xor_b32 exec_lo, exec_lo, s22
	s_cbranch_execz .LBB6_11836
.LBB6_13140:                            ;   in Loop: Header=BB6_10551 Depth=3
	v_cmp_ne_u16_sdwa s23, v16, v2 src0_sel:BYTE_3 src1_sel:DWORD
	v_mov_b32_e32 v20, 0
	s_andn2_b32 s16, s16, exec_lo
	s_and_b32 s23, s23, exec_lo
	s_or_b32 s16, s16, s23
	s_or_b32 exec_lo, exec_lo, s22
	s_and_saveexec_b32 s22, s16
	s_cbranch_execnz .LBB6_11837
	s_branch .LBB6_11838
.LBB6_13141:                            ;   in Loop: Header=BB6_10551 Depth=3
	s_or_saveexec_b32 s16, s16
	v_mov_b32_e32 v1, 0x7f800001
	s_xor_b32 exec_lo, exec_lo, s16
	s_cbranch_execz .LBB6_11852
.LBB6_13142:                            ;   in Loop: Header=BB6_10551 Depth=3
	v_cmp_ne_u16_sdwa s23, v21, v2 src0_sel:BYTE_0 src1_sel:DWORD
	v_mov_b32_e32 v1, 0
	s_andn2_b32 s22, s22, exec_lo
	s_and_b32 s23, s23, exec_lo
	s_or_b32 s22, s22, s23
	s_or_b32 exec_lo, exec_lo, s16
	s_and_saveexec_b32 s16, s22
	s_cbranch_execnz .LBB6_11853
	s_branch .LBB6_11854
.LBB6_13143:                            ;   in Loop: Header=BB6_10551 Depth=3
	s_or_saveexec_b32 s16, s16
	v_mov_b32_e32 v20, 0x7f800001
	s_xor_b32 exec_lo, exec_lo, s16
	s_cbranch_execz .LBB6_11858
.LBB6_13144:                            ;   in Loop: Header=BB6_10551 Depth=3
	v_cmp_ne_u16_sdwa s23, v17, v2 src0_sel:BYTE_0 src1_sel:DWORD
	v_mov_b32_e32 v20, 0
	s_andn2_b32 s22, s22, exec_lo
	s_and_b32 s23, s23, exec_lo
	s_or_b32 s22, s22, s23
	s_or_b32 exec_lo, exec_lo, s16
	s_and_saveexec_b32 s16, s22
	s_cbranch_execnz .LBB6_11859
	s_branch .LBB6_11860
.LBB6_13145:                            ;   in Loop: Header=BB6_10551 Depth=3
	s_or_saveexec_b32 s16, s16
	v_mov_b32_e32 v1, 0x7f800001
	s_xor_b32 exec_lo, exec_lo, s16
	s_cbranch_execz .LBB6_11866
.LBB6_13146:                            ;   in Loop: Header=BB6_10551 Depth=3
	v_cmp_ne_u16_sdwa s23, v21, v2 src0_sel:BYTE_0 src1_sel:DWORD
	v_mov_b32_e32 v1, 0
	s_andn2_b32 s22, s22, exec_lo
	s_and_b32 s23, s23, exec_lo
	s_or_b32 s22, s22, s23
	s_or_b32 exec_lo, exec_lo, s16
	s_and_saveexec_b32 s16, s22
	s_cbranch_execnz .LBB6_11867
	s_branch .LBB6_11868
.LBB6_13147:                            ;   in Loop: Header=BB6_10551 Depth=3
	s_or_saveexec_b32 s16, s16
	v_mov_b32_e32 v20, 0x7f800001
	s_xor_b32 exec_lo, exec_lo, s16
	s_cbranch_execz .LBB6_11872
.LBB6_13148:                            ;   in Loop: Header=BB6_10551 Depth=3
	v_cmp_ne_u16_sdwa s23, v17, v2 src0_sel:BYTE_0 src1_sel:DWORD
	v_mov_b32_e32 v20, 0
	s_andn2_b32 s22, s22, exec_lo
	s_and_b32 s23, s23, exec_lo
	s_or_b32 s22, s22, s23
	s_or_b32 exec_lo, exec_lo, s16
	s_and_saveexec_b32 s16, s22
	s_cbranch_execnz .LBB6_11873
	s_branch .LBB6_11874
.LBB6_13149:                            ;   in Loop: Header=BB6_10551 Depth=3
	s_or_saveexec_b32 s22, s22
	v_mov_b32_e32 v1, 0x7f800001
	s_xor_b32 exec_lo, exec_lo, s22
	s_cbranch_execz .LBB6_11888
.LBB6_13150:                            ;   in Loop: Header=BB6_10551 Depth=3
	v_cmp_ne_u16_sdwa s23, v21, v2 src0_sel:BYTE_1 src1_sel:DWORD
	v_mov_b32_e32 v1, 0
	s_andn2_b32 s16, s16, exec_lo
	s_and_b32 s23, s23, exec_lo
	s_or_b32 s16, s16, s23
	s_or_b32 exec_lo, exec_lo, s22
	s_and_saveexec_b32 s22, s16
	s_cbranch_execnz .LBB6_11889
	s_branch .LBB6_11890
.LBB6_13151:                            ;   in Loop: Header=BB6_10551 Depth=3
	s_or_saveexec_b32 s22, s22
	v_mov_b32_e32 v31, 0x7f800001
	s_xor_b32 exec_lo, exec_lo, s22
	s_cbranch_execz .LBB6_11894
.LBB6_13152:                            ;   in Loop: Header=BB6_10551 Depth=3
	v_cmp_ne_u16_sdwa s23, v17, v2 src0_sel:BYTE_1 src1_sel:DWORD
	v_mov_b32_e32 v31, 0
	s_andn2_b32 s16, s16, exec_lo
	s_and_b32 s23, s23, exec_lo
	s_or_b32 s16, s16, s23
	s_or_b32 exec_lo, exec_lo, s22
	s_and_saveexec_b32 s22, s16
	s_cbranch_execnz .LBB6_11895
	s_branch .LBB6_11896
.LBB6_13153:                            ;   in Loop: Header=BB6_10551 Depth=3
	s_or_saveexec_b32 s22, s22
	v_mov_b32_e32 v1, 0x7f800001
	s_xor_b32 exec_lo, exec_lo, s22
	s_cbranch_execz .LBB6_11902
.LBB6_13154:                            ;   in Loop: Header=BB6_10551 Depth=3
	v_cmp_ne_u16_sdwa s23, v21, v2 src0_sel:BYTE_1 src1_sel:DWORD
	v_mov_b32_e32 v1, 0
	s_andn2_b32 s16, s16, exec_lo
	s_and_b32 s23, s23, exec_lo
	s_or_b32 s16, s16, s23
	s_or_b32 exec_lo, exec_lo, s22
	s_and_saveexec_b32 s22, s16
	s_cbranch_execnz .LBB6_11903
	s_branch .LBB6_11904
.LBB6_13155:                            ;   in Loop: Header=BB6_10551 Depth=3
	s_or_saveexec_b32 s22, s22
	v_mov_b32_e32 v31, 0x7f800001
	s_xor_b32 exec_lo, exec_lo, s22
	s_cbranch_execz .LBB6_11908
.LBB6_13156:                            ;   in Loop: Header=BB6_10551 Depth=3
	v_cmp_ne_u16_sdwa s23, v17, v2 src0_sel:BYTE_1 src1_sel:DWORD
	v_mov_b32_e32 v31, 0
	s_andn2_b32 s16, s16, exec_lo
	s_and_b32 s23, s23, exec_lo
	s_or_b32 s16, s16, s23
	s_or_b32 exec_lo, exec_lo, s22
	s_and_saveexec_b32 s22, s16
	s_cbranch_execnz .LBB6_11909
	s_branch .LBB6_11910
.LBB6_13157:                            ;   in Loop: Header=BB6_10551 Depth=3
	s_or_saveexec_b32 s16, s16
	v_mov_b32_e32 v31, 0x7f800001
	s_xor_b32 exec_lo, exec_lo, s16
	s_cbranch_execz .LBB6_11924
.LBB6_13158:                            ;   in Loop: Header=BB6_10551 Depth=3
	v_cmp_ne_u16_e32 vcc_lo, 0, v1
	v_mov_b32_e32 v31, 0
	s_andn2_b32 s22, s22, exec_lo
	s_and_b32 s23, vcc_lo, exec_lo
	s_or_b32 s22, s22, s23
	s_or_b32 exec_lo, exec_lo, s16
	s_and_saveexec_b32 s16, s22
	s_cbranch_execnz .LBB6_11925
	s_branch .LBB6_11926
.LBB6_13159:                            ;   in Loop: Header=BB6_10551 Depth=3
	s_or_saveexec_b32 s16, s16
	v_mov_b32_e32 v83, 0x7f800001
	s_xor_b32 exec_lo, exec_lo, s16
	s_cbranch_execz .LBB6_11930
.LBB6_13160:                            ;   in Loop: Header=BB6_10551 Depth=3
	v_cmp_ne_u16_e32 vcc_lo, 0, v86
	v_mov_b32_e32 v83, 0
	s_andn2_b32 s22, s22, exec_lo
	s_and_b32 s23, vcc_lo, exec_lo
	s_or_b32 s22, s22, s23
	s_or_b32 exec_lo, exec_lo, s16
	s_and_saveexec_b32 s16, s22
	s_cbranch_execnz .LBB6_11931
	s_branch .LBB6_11932
.LBB6_13161:                            ;   in Loop: Header=BB6_10551 Depth=3
	s_or_saveexec_b32 s16, s16
	v_mov_b32_e32 v31, 0x7f800001
	s_xor_b32 exec_lo, exec_lo, s16
	s_cbranch_execz .LBB6_11938
.LBB6_13162:                            ;   in Loop: Header=BB6_10551 Depth=3
	v_cmp_ne_u16_e32 vcc_lo, 0, v1
	v_mov_b32_e32 v31, 0
	s_andn2_b32 s22, s22, exec_lo
	s_and_b32 s23, vcc_lo, exec_lo
	s_or_b32 s22, s22, s23
	s_or_b32 exec_lo, exec_lo, s16
	s_and_saveexec_b32 s16, s22
	s_cbranch_execnz .LBB6_11939
	s_branch .LBB6_11940
.LBB6_13163:                            ;   in Loop: Header=BB6_10551 Depth=3
	s_or_saveexec_b32 s16, s16
	v_mov_b32_e32 v1, 0x7f800001
	s_xor_b32 exec_lo, exec_lo, s16
	s_cbranch_execz .LBB6_11944
.LBB6_13164:                            ;   in Loop: Header=BB6_10551 Depth=3
	v_cmp_ne_u16_e32 vcc_lo, 0, v83
	v_mov_b32_e32 v1, 0
	s_andn2_b32 s22, s22, exec_lo
	s_and_b32 s23, vcc_lo, exec_lo
	s_or_b32 s22, s22, s23
	s_or_b32 exec_lo, exec_lo, s16
	s_and_saveexec_b32 s16, s22
	s_cbranch_execnz .LBB6_11945
	s_branch .LBB6_11946
.LBB6_13165:                            ;   in Loop: Header=BB6_10551 Depth=3
	s_or_saveexec_b32 s22, s22
	v_mov_b32_e32 v1, 0x7f800001
	s_xor_b32 exec_lo, exec_lo, s22
	s_cbranch_execz .LBB6_11960
.LBB6_13166:                            ;   in Loop: Header=BB6_10551 Depth=3
	v_cmp_ne_u16_sdwa s23, v21, v2 src0_sel:BYTE_3 src1_sel:DWORD
	v_mov_b32_e32 v1, 0
	s_andn2_b32 s16, s16, exec_lo
	s_and_b32 s23, s23, exec_lo
	s_or_b32 s16, s16, s23
	s_or_b32 exec_lo, exec_lo, s22
	s_and_saveexec_b32 s22, s16
	s_cbranch_execnz .LBB6_11961
	s_branch .LBB6_11962
.LBB6_13167:                            ;   in Loop: Header=BB6_10551 Depth=3
	s_or_saveexec_b32 s22, s22
	v_mov_b32_e32 v31, 0x7f800001
	s_xor_b32 exec_lo, exec_lo, s22
	s_cbranch_execz .LBB6_11966
.LBB6_13168:                            ;   in Loop: Header=BB6_10551 Depth=3
	v_cmp_ne_u16_sdwa s23, v17, v2 src0_sel:BYTE_3 src1_sel:DWORD
	v_mov_b32_e32 v31, 0
	s_andn2_b32 s16, s16, exec_lo
	s_and_b32 s23, s23, exec_lo
	s_or_b32 s16, s16, s23
	s_or_b32 exec_lo, exec_lo, s22
	s_and_saveexec_b32 s22, s16
	s_cbranch_execnz .LBB6_11967
	s_branch .LBB6_11968
.LBB6_13169:                            ;   in Loop: Header=BB6_10551 Depth=3
	s_or_saveexec_b32 s22, s22
	v_mov_b32_e32 v1, 0x7f800001
	s_xor_b32 exec_lo, exec_lo, s22
	s_cbranch_execz .LBB6_11974
.LBB6_13170:                            ;   in Loop: Header=BB6_10551 Depth=3
	v_cmp_ne_u16_sdwa s23, v21, v2 src0_sel:BYTE_3 src1_sel:DWORD
	v_mov_b32_e32 v1, 0
	s_andn2_b32 s16, s16, exec_lo
	s_and_b32 s23, s23, exec_lo
	s_or_b32 s16, s16, s23
	s_or_b32 exec_lo, exec_lo, s22
	s_and_saveexec_b32 s22, s16
	s_cbranch_execnz .LBB6_11975
	s_branch .LBB6_11976
.LBB6_13171:                            ;   in Loop: Header=BB6_10551 Depth=3
	s_or_saveexec_b32 s22, s22
	v_mov_b32_e32 v21, 0x7f800001
	s_xor_b32 exec_lo, exec_lo, s22
	s_cbranch_execz .LBB6_11980
.LBB6_13172:                            ;   in Loop: Header=BB6_10551 Depth=3
	v_cmp_ne_u16_sdwa s23, v17, v2 src0_sel:BYTE_3 src1_sel:DWORD
	v_mov_b32_e32 v21, 0
	s_andn2_b32 s16, s16, exec_lo
	s_and_b32 s23, s23, exec_lo
	s_or_b32 s16, s16, s23
	s_or_b32 exec_lo, exec_lo, s22
	s_and_saveexec_b32 s22, s16
	s_cbranch_execnz .LBB6_11981
	s_branch .LBB6_11982
.LBB6_13173:                            ;   in Loop: Header=BB6_10551 Depth=3
	s_or_saveexec_b32 s16, s16
	v_mov_b32_e32 v1, 0x7f800001
	s_xor_b32 exec_lo, exec_lo, s16
	s_cbranch_execz .LBB6_11996
.LBB6_13174:                            ;   in Loop: Header=BB6_10551 Depth=3
	v_cmp_ne_u16_sdwa s23, v22, v2 src0_sel:BYTE_0 src1_sel:DWORD
	v_mov_b32_e32 v1, 0
	s_andn2_b32 s22, s22, exec_lo
	s_and_b32 s23, s23, exec_lo
	s_or_b32 s22, s22, s23
	s_or_b32 exec_lo, exec_lo, s16
	s_and_saveexec_b32 s16, s22
	s_cbranch_execnz .LBB6_11997
	s_branch .LBB6_11998
.LBB6_13175:                            ;   in Loop: Header=BB6_10551 Depth=3
	s_or_saveexec_b32 s16, s16
	v_mov_b32_e32 v21, 0x7f800001
	s_xor_b32 exec_lo, exec_lo, s16
	s_cbranch_execz .LBB6_12002
.LBB6_13176:                            ;   in Loop: Header=BB6_10551 Depth=3
	v_cmp_ne_u16_sdwa s23, v18, v2 src0_sel:BYTE_0 src1_sel:DWORD
	v_mov_b32_e32 v21, 0
	s_andn2_b32 s22, s22, exec_lo
	s_and_b32 s23, s23, exec_lo
	s_or_b32 s22, s22, s23
	s_or_b32 exec_lo, exec_lo, s16
	s_and_saveexec_b32 s16, s22
	s_cbranch_execnz .LBB6_12003
	s_branch .LBB6_12004
.LBB6_13177:                            ;   in Loop: Header=BB6_10551 Depth=3
	s_or_saveexec_b32 s16, s16
	v_mov_b32_e32 v1, 0x7f800001
	s_xor_b32 exec_lo, exec_lo, s16
	s_cbranch_execz .LBB6_12010
.LBB6_13178:                            ;   in Loop: Header=BB6_10551 Depth=3
	v_cmp_ne_u16_sdwa s23, v22, v2 src0_sel:BYTE_0 src1_sel:DWORD
	v_mov_b32_e32 v1, 0
	s_andn2_b32 s22, s22, exec_lo
	s_and_b32 s23, s23, exec_lo
	s_or_b32 s22, s22, s23
	s_or_b32 exec_lo, exec_lo, s16
	s_and_saveexec_b32 s16, s22
	s_cbranch_execnz .LBB6_12011
	s_branch .LBB6_12012
.LBB6_13179:                            ;   in Loop: Header=BB6_10551 Depth=3
	s_or_saveexec_b32 s16, s16
	v_mov_b32_e32 v21, 0x7f800001
	s_xor_b32 exec_lo, exec_lo, s16
	s_cbranch_execz .LBB6_12016
.LBB6_13180:                            ;   in Loop: Header=BB6_10551 Depth=3
	v_cmp_ne_u16_sdwa s23, v18, v2 src0_sel:BYTE_0 src1_sel:DWORD
	v_mov_b32_e32 v21, 0
	s_andn2_b32 s22, s22, exec_lo
	s_and_b32 s23, s23, exec_lo
	s_or_b32 s22, s22, s23
	s_or_b32 exec_lo, exec_lo, s16
	s_and_saveexec_b32 s16, s22
	s_cbranch_execnz .LBB6_12017
	s_branch .LBB6_12018
.LBB6_13181:                            ;   in Loop: Header=BB6_10551 Depth=3
	s_or_saveexec_b32 s22, s22
	v_mov_b32_e32 v1, 0x7f800001
	s_xor_b32 exec_lo, exec_lo, s22
	s_cbranch_execz .LBB6_12032
.LBB6_13182:                            ;   in Loop: Header=BB6_10551 Depth=3
	v_cmp_ne_u16_sdwa s23, v22, v2 src0_sel:BYTE_1 src1_sel:DWORD
	v_mov_b32_e32 v1, 0
	s_andn2_b32 s16, s16, exec_lo
	s_and_b32 s23, s23, exec_lo
	s_or_b32 s16, s16, s23
	s_or_b32 exec_lo, exec_lo, s22
	s_and_saveexec_b32 s22, s16
	s_cbranch_execnz .LBB6_12033
	s_branch .LBB6_12034
.LBB6_13183:                            ;   in Loop: Header=BB6_10551 Depth=3
	s_or_saveexec_b32 s22, s22
	v_mov_b32_e32 v31, 0x7f800001
	s_xor_b32 exec_lo, exec_lo, s22
	s_cbranch_execz .LBB6_12038
.LBB6_13184:                            ;   in Loop: Header=BB6_10551 Depth=3
	v_cmp_ne_u16_sdwa s23, v18, v2 src0_sel:BYTE_1 src1_sel:DWORD
	v_mov_b32_e32 v31, 0
	s_andn2_b32 s16, s16, exec_lo
	s_and_b32 s23, s23, exec_lo
	s_or_b32 s16, s16, s23
	s_or_b32 exec_lo, exec_lo, s22
	s_and_saveexec_b32 s22, s16
	s_cbranch_execnz .LBB6_12039
	s_branch .LBB6_12040
.LBB6_13185:                            ;   in Loop: Header=BB6_10551 Depth=3
	s_or_saveexec_b32 s22, s22
	v_mov_b32_e32 v1, 0x7f800001
	s_xor_b32 exec_lo, exec_lo, s22
	s_cbranch_execz .LBB6_12046
.LBB6_13186:                            ;   in Loop: Header=BB6_10551 Depth=3
	v_cmp_ne_u16_sdwa s23, v22, v2 src0_sel:BYTE_1 src1_sel:DWORD
	v_mov_b32_e32 v1, 0
	s_andn2_b32 s16, s16, exec_lo
	s_and_b32 s23, s23, exec_lo
	s_or_b32 s16, s16, s23
	s_or_b32 exec_lo, exec_lo, s22
	s_and_saveexec_b32 s22, s16
	s_cbranch_execnz .LBB6_12047
	s_branch .LBB6_12048
.LBB6_13187:                            ;   in Loop: Header=BB6_10551 Depth=3
	s_or_saveexec_b32 s22, s22
	v_mov_b32_e32 v31, 0x7f800001
	s_xor_b32 exec_lo, exec_lo, s22
	s_cbranch_execz .LBB6_12052
.LBB6_13188:                            ;   in Loop: Header=BB6_10551 Depth=3
	v_cmp_ne_u16_sdwa s23, v18, v2 src0_sel:BYTE_1 src1_sel:DWORD
	v_mov_b32_e32 v31, 0
	s_andn2_b32 s16, s16, exec_lo
	s_and_b32 s23, s23, exec_lo
	s_or_b32 s16, s16, s23
	s_or_b32 exec_lo, exec_lo, s22
	s_and_saveexec_b32 s22, s16
	s_cbranch_execnz .LBB6_12053
	s_branch .LBB6_12054
.LBB6_13189:                            ;   in Loop: Header=BB6_10551 Depth=3
	s_or_saveexec_b32 s16, s16
	v_mov_b32_e32 v31, 0x7f800001
	s_xor_b32 exec_lo, exec_lo, s16
	s_cbranch_execz .LBB6_12068
.LBB6_13190:                            ;   in Loop: Header=BB6_10551 Depth=3
	v_cmp_ne_u16_e32 vcc_lo, 0, v1
	v_mov_b32_e32 v31, 0
	s_andn2_b32 s22, s22, exec_lo
	s_and_b32 s23, vcc_lo, exec_lo
	s_or_b32 s22, s22, s23
	s_or_b32 exec_lo, exec_lo, s16
	s_and_saveexec_b32 s16, s22
	s_cbranch_execnz .LBB6_12069
	s_branch .LBB6_12070
.LBB6_13191:                            ;   in Loop: Header=BB6_10551 Depth=3
	s_or_saveexec_b32 s16, s16
	v_mov_b32_e32 v86, 0x7f800001
	s_xor_b32 exec_lo, exec_lo, s16
	s_cbranch_execz .LBB6_12074
.LBB6_13192:                            ;   in Loop: Header=BB6_10551 Depth=3
	v_cmp_ne_u16_e32 vcc_lo, 0, v87
	v_mov_b32_e32 v86, 0
	s_andn2_b32 s22, s22, exec_lo
	s_and_b32 s23, vcc_lo, exec_lo
	s_or_b32 s22, s22, s23
	s_or_b32 exec_lo, exec_lo, s16
	s_and_saveexec_b32 s16, s22
	s_cbranch_execnz .LBB6_12075
	s_branch .LBB6_12076
.LBB6_13193:                            ;   in Loop: Header=BB6_10551 Depth=3
	s_or_saveexec_b32 s16, s16
	v_mov_b32_e32 v31, 0x7f800001
	s_xor_b32 exec_lo, exec_lo, s16
	s_cbranch_execz .LBB6_12082
.LBB6_13194:                            ;   in Loop: Header=BB6_10551 Depth=3
	v_cmp_ne_u16_e32 vcc_lo, 0, v1
	v_mov_b32_e32 v31, 0
	s_andn2_b32 s22, s22, exec_lo
	s_and_b32 s23, vcc_lo, exec_lo
	s_or_b32 s22, s22, s23
	s_or_b32 exec_lo, exec_lo, s16
	s_and_saveexec_b32 s16, s22
	s_cbranch_execnz .LBB6_12083
	s_branch .LBB6_12084
.LBB6_13195:                            ;   in Loop: Header=BB6_10551 Depth=3
	s_or_saveexec_b32 s16, s16
	v_mov_b32_e32 v1, 0x7f800001
	s_xor_b32 exec_lo, exec_lo, s16
	s_cbranch_execz .LBB6_12088
.LBB6_13196:                            ;   in Loop: Header=BB6_10551 Depth=3
	v_cmp_ne_u16_e32 vcc_lo, 0, v86
	v_mov_b32_e32 v1, 0
	s_andn2_b32 s22, s22, exec_lo
	s_and_b32 s23, vcc_lo, exec_lo
	s_or_b32 s22, s22, s23
	s_or_b32 exec_lo, exec_lo, s16
	s_and_saveexec_b32 s16, s22
	s_cbranch_execnz .LBB6_12089
	s_branch .LBB6_12090
.LBB6_13197:                            ;   in Loop: Header=BB6_10551 Depth=3
	s_or_saveexec_b32 s22, s22
	v_mov_b32_e32 v1, 0x7f800001
	s_xor_b32 exec_lo, exec_lo, s22
	s_cbranch_execz .LBB6_12104
.LBB6_13198:                            ;   in Loop: Header=BB6_10551 Depth=3
	v_cmp_ne_u16_sdwa s23, v22, v2 src0_sel:BYTE_3 src1_sel:DWORD
	v_mov_b32_e32 v1, 0
	s_andn2_b32 s16, s16, exec_lo
	s_and_b32 s23, s23, exec_lo
	s_or_b32 s16, s16, s23
	s_or_b32 exec_lo, exec_lo, s22
	s_and_saveexec_b32 s22, s16
	s_cbranch_execnz .LBB6_12105
	s_branch .LBB6_12106
.LBB6_13199:                            ;   in Loop: Header=BB6_10551 Depth=3
	s_or_saveexec_b32 s22, s22
	v_mov_b32_e32 v86, 0x7f800001
	s_xor_b32 exec_lo, exec_lo, s22
	s_cbranch_execz .LBB6_12110
.LBB6_13200:                            ;   in Loop: Header=BB6_10551 Depth=3
	v_cmp_ne_u16_sdwa s23, v18, v2 src0_sel:BYTE_3 src1_sel:DWORD
	v_mov_b32_e32 v86, 0
	s_andn2_b32 s16, s16, exec_lo
	s_and_b32 s23, s23, exec_lo
	s_or_b32 s16, s16, s23
	s_or_b32 exec_lo, exec_lo, s22
	s_and_saveexec_b32 s22, s16
	s_cbranch_execnz .LBB6_12111
	s_branch .LBB6_12112
.LBB6_13201:                            ;   in Loop: Header=BB6_10551 Depth=3
	s_or_saveexec_b32 s22, s22
	v_mov_b32_e32 v1, 0x7f800001
	s_xor_b32 exec_lo, exec_lo, s22
	s_cbranch_execz .LBB6_12118
.LBB6_13202:                            ;   in Loop: Header=BB6_10551 Depth=3
	v_cmp_ne_u16_sdwa s23, v22, v2 src0_sel:BYTE_3 src1_sel:DWORD
	v_mov_b32_e32 v1, 0
	s_andn2_b32 s16, s16, exec_lo
	s_and_b32 s23, s23, exec_lo
	s_or_b32 s16, s16, s23
	s_or_b32 exec_lo, exec_lo, s22
	s_and_saveexec_b32 s22, s16
	s_cbranch_execnz .LBB6_12119
	s_branch .LBB6_12120
.LBB6_13203:                            ;   in Loop: Header=BB6_10551 Depth=3
	s_or_saveexec_b32 s22, s22
	v_mov_b32_e32 v22, 0x7f800001
	s_xor_b32 exec_lo, exec_lo, s22
	s_cbranch_execz .LBB6_12124
.LBB6_13204:                            ;   in Loop: Header=BB6_10551 Depth=3
	v_cmp_ne_u16_sdwa s23, v18, v2 src0_sel:BYTE_3 src1_sel:DWORD
	v_mov_b32_e32 v22, 0
	s_andn2_b32 s16, s16, exec_lo
	s_and_b32 s23, s23, exec_lo
	s_or_b32 s16, s16, s23
	s_or_b32 exec_lo, exec_lo, s22
	s_and_saveexec_b32 s22, s16
	s_cbranch_execnz .LBB6_12125
	s_branch .LBB6_12126
.LBB6_13205:                            ;   in Loop: Header=BB6_10551 Depth=3
	s_or_saveexec_b32 s16, s16
	v_mov_b32_e32 v18, 0x7f800001
	s_xor_b32 exec_lo, exec_lo, s16
	s_cbranch_execz .LBB6_12140
.LBB6_13206:                            ;   in Loop: Header=BB6_10551 Depth=3
	v_cmp_ne_u16_sdwa s23, v23, v2 src0_sel:BYTE_0 src1_sel:DWORD
	v_mov_b32_e32 v18, 0
	s_andn2_b32 s22, s22, exec_lo
	s_and_b32 s23, s23, exec_lo
	s_or_b32 s22, s22, s23
	s_or_b32 exec_lo, exec_lo, s16
	s_and_saveexec_b32 s16, s22
	s_cbranch_execnz .LBB6_12141
	s_branch .LBB6_12142
.LBB6_13207:                            ;   in Loop: Header=BB6_10551 Depth=3
	s_or_saveexec_b32 s16, s16
	v_mov_b32_e32 v22, 0x7f800001
	s_xor_b32 exec_lo, exec_lo, s16
	s_cbranch_execz .LBB6_12146
.LBB6_13208:                            ;   in Loop: Header=BB6_10551 Depth=3
	v_cmp_ne_u16_sdwa s23, v19, v2 src0_sel:BYTE_0 src1_sel:DWORD
	v_mov_b32_e32 v22, 0
	s_andn2_b32 s22, s22, exec_lo
	s_and_b32 s23, s23, exec_lo
	s_or_b32 s22, s22, s23
	s_or_b32 exec_lo, exec_lo, s16
	s_and_saveexec_b32 s16, s22
	s_cbranch_execnz .LBB6_12147
	s_branch .LBB6_12148
.LBB6_13209:                            ;   in Loop: Header=BB6_10551 Depth=3
	s_or_saveexec_b32 s16, s16
	v_mov_b32_e32 v18, 0x7f800001
	s_xor_b32 exec_lo, exec_lo, s16
	s_cbranch_execz .LBB6_12154
.LBB6_13210:                            ;   in Loop: Header=BB6_10551 Depth=3
	v_cmp_ne_u16_sdwa s23, v23, v2 src0_sel:BYTE_0 src1_sel:DWORD
	v_mov_b32_e32 v18, 0
	s_andn2_b32 s22, s22, exec_lo
	s_and_b32 s23, s23, exec_lo
	s_or_b32 s22, s22, s23
	s_or_b32 exec_lo, exec_lo, s16
	s_and_saveexec_b32 s16, s22
	s_cbranch_execnz .LBB6_12155
	s_branch .LBB6_12156
.LBB6_13211:                            ;   in Loop: Header=BB6_10551 Depth=3
	s_or_saveexec_b32 s16, s16
	v_mov_b32_e32 v22, 0x7f800001
	s_xor_b32 exec_lo, exec_lo, s16
	s_cbranch_execz .LBB6_12160
.LBB6_13212:                            ;   in Loop: Header=BB6_10551 Depth=3
	v_cmp_ne_u16_sdwa s23, v19, v2 src0_sel:BYTE_0 src1_sel:DWORD
	v_mov_b32_e32 v22, 0
	s_andn2_b32 s22, s22, exec_lo
	s_and_b32 s23, s23, exec_lo
	s_or_b32 s22, s22, s23
	s_or_b32 exec_lo, exec_lo, s16
	s_and_saveexec_b32 s16, s22
	s_cbranch_execnz .LBB6_12161
	s_branch .LBB6_12162
.LBB6_13213:                            ;   in Loop: Header=BB6_10551 Depth=3
	s_or_saveexec_b32 s22, s22
	v_mov_b32_e32 v22, 0x7f800001
	s_xor_b32 exec_lo, exec_lo, s22
	s_cbranch_execz .LBB6_12176
.LBB6_13214:                            ;   in Loop: Header=BB6_10551 Depth=3
	v_cmp_ne_u16_sdwa s23, v23, v2 src0_sel:BYTE_1 src1_sel:DWORD
	v_mov_b32_e32 v22, 0
	s_andn2_b32 s16, s16, exec_lo
	s_and_b32 s23, s23, exec_lo
	s_or_b32 s16, s16, s23
	s_or_b32 exec_lo, exec_lo, s22
	s_and_saveexec_b32 s22, s16
	s_cbranch_execnz .LBB6_12177
	s_branch .LBB6_12178
.LBB6_13215:                            ;   in Loop: Header=BB6_10551 Depth=3
	s_or_saveexec_b32 s22, s22
	v_mov_b32_e32 v86, 0x7f800001
	s_xor_b32 exec_lo, exec_lo, s22
	s_cbranch_execz .LBB6_12182
.LBB6_13216:                            ;   in Loop: Header=BB6_10551 Depth=3
	v_cmp_ne_u16_sdwa s23, v19, v2 src0_sel:BYTE_1 src1_sel:DWORD
	v_mov_b32_e32 v86, 0
	s_andn2_b32 s16, s16, exec_lo
	s_and_b32 s23, s23, exec_lo
	s_or_b32 s16, s16, s23
	s_or_b32 exec_lo, exec_lo, s22
	s_and_saveexec_b32 s22, s16
	s_cbranch_execnz .LBB6_12183
	s_branch .LBB6_12184
.LBB6_13217:                            ;   in Loop: Header=BB6_10551 Depth=3
	s_or_saveexec_b32 s22, s22
	v_mov_b32_e32 v22, 0x7f800001
	s_xor_b32 exec_lo, exec_lo, s22
	s_cbranch_execz .LBB6_12190
.LBB6_13218:                            ;   in Loop: Header=BB6_10551 Depth=3
	v_cmp_ne_u16_sdwa s23, v23, v2 src0_sel:BYTE_1 src1_sel:DWORD
	v_mov_b32_e32 v22, 0
	s_andn2_b32 s16, s16, exec_lo
	s_and_b32 s23, s23, exec_lo
	s_or_b32 s16, s16, s23
	s_or_b32 exec_lo, exec_lo, s22
	s_and_saveexec_b32 s22, s16
	s_cbranch_execnz .LBB6_12191
	s_branch .LBB6_12192
.LBB6_13219:                            ;   in Loop: Header=BB6_10551 Depth=3
	s_or_saveexec_b32 s22, s22
	v_mov_b32_e32 v86, 0x7f800001
	s_xor_b32 exec_lo, exec_lo, s22
	s_cbranch_execz .LBB6_12196
.LBB6_13220:                            ;   in Loop: Header=BB6_10551 Depth=3
	v_cmp_ne_u16_sdwa s23, v19, v2 src0_sel:BYTE_1 src1_sel:DWORD
	v_mov_b32_e32 v86, 0
	s_andn2_b32 s16, s16, exec_lo
	s_and_b32 s23, s23, exec_lo
	s_or_b32 s16, s16, s23
	s_or_b32 exec_lo, exec_lo, s22
	s_and_saveexec_b32 s22, s16
	s_cbranch_execnz .LBB6_12197
	s_branch .LBB6_12198
.LBB6_13221:                            ;   in Loop: Header=BB6_10551 Depth=3
	s_or_saveexec_b32 s16, s16
	v_mov_b32_e32 v99, 0x7f800001
	s_xor_b32 exec_lo, exec_lo, s16
	s_cbranch_execz .LBB6_12212
.LBB6_13222:                            ;   in Loop: Header=BB6_10551 Depth=3
	v_cmp_ne_u16_e32 vcc_lo, 0, v98
	v_mov_b32_e32 v99, 0
	s_andn2_b32 s22, s22, exec_lo
	s_and_b32 s23, vcc_lo, exec_lo
	s_or_b32 s22, s22, s23
	s_or_b32 exec_lo, exec_lo, s16
	s_and_saveexec_b32 s16, s22
	s_cbranch_execnz .LBB6_12213
	s_branch .LBB6_12214
.LBB6_13223:                            ;   in Loop: Header=BB6_10551 Depth=3
	s_or_saveexec_b32 s16, s16
	v_mov_b32_e32 v86, 0x7f800001
	s_xor_b32 exec_lo, exec_lo, s16
	s_cbranch_execz .LBB6_12218
.LBB6_13224:                            ;   in Loop: Header=BB6_10551 Depth=3
	v_cmp_ne_u16_e32 vcc_lo, 0, v87
	v_mov_b32_e32 v86, 0
	s_andn2_b32 s22, s22, exec_lo
	s_and_b32 s23, vcc_lo, exec_lo
	s_or_b32 s22, s22, s23
	s_or_b32 exec_lo, exec_lo, s16
	s_and_saveexec_b32 s16, s22
	s_cbranch_execnz .LBB6_12219
	s_branch .LBB6_12220
.LBB6_13225:                            ;   in Loop: Header=BB6_10551 Depth=3
	s_or_saveexec_b32 s16, s16
	v_mov_b32_e32 v99, 0x7f800001
	s_xor_b32 exec_lo, exec_lo, s16
	s_cbranch_execz .LBB6_12226
.LBB6_13226:                            ;   in Loop: Header=BB6_10551 Depth=3
	v_cmp_ne_u16_e32 vcc_lo, 0, v98
	v_mov_b32_e32 v99, 0
	s_andn2_b32 s22, s22, exec_lo
	s_and_b32 s23, vcc_lo, exec_lo
	s_or_b32 s22, s22, s23
	s_or_b32 exec_lo, exec_lo, s16
	s_and_saveexec_b32 s16, s22
	s_cbranch_execnz .LBB6_12227
	s_branch .LBB6_12228
.LBB6_13227:                            ;   in Loop: Header=BB6_10551 Depth=3
	s_or_saveexec_b32 s16, s16
	v_mov_b32_e32 v86, 0x7f800001
	s_xor_b32 exec_lo, exec_lo, s16
	s_cbranch_execz .LBB6_12232
.LBB6_13228:                            ;   in Loop: Header=BB6_10551 Depth=3
	v_cmp_ne_u16_e32 vcc_lo, 0, v87
	v_mov_b32_e32 v86, 0
	s_andn2_b32 s22, s22, exec_lo
	s_and_b32 s23, vcc_lo, exec_lo
	s_or_b32 s22, s22, s23
	s_or_b32 exec_lo, exec_lo, s16
	s_and_saveexec_b32 s16, s22
	s_cbranch_execnz .LBB6_12233
	s_branch .LBB6_12234
.LBB6_13229:                            ;   in Loop: Header=BB6_10551 Depth=3
	s_or_saveexec_b32 s22, s22
	v_mov_b32_e32 v98, 0x7f800001
	s_xor_b32 exec_lo, exec_lo, s22
	s_cbranch_execz .LBB6_12248
.LBB6_13230:                            ;   in Loop: Header=BB6_10551 Depth=3
	v_cmp_ne_u16_sdwa s23, v23, v2 src0_sel:BYTE_3 src1_sel:DWORD
	v_mov_b32_e32 v98, 0
	s_andn2_b32 s16, s16, exec_lo
	s_and_b32 s23, s23, exec_lo
	s_or_b32 s16, s16, s23
	s_or_b32 exec_lo, exec_lo, s22
	s_and_saveexec_b32 s22, s16
	s_cbranch_execnz .LBB6_12249
	s_branch .LBB6_12250
.LBB6_13231:                            ;   in Loop: Header=BB6_10551 Depth=3
	s_or_saveexec_b32 s22, s22
	v_mov_b32_e32 v86, 0x7f800001
	s_xor_b32 exec_lo, exec_lo, s22
	s_cbranch_execz .LBB6_12254
.LBB6_13232:                            ;   in Loop: Header=BB6_10551 Depth=3
	v_cmp_ne_u16_sdwa s23, v19, v2 src0_sel:BYTE_3 src1_sel:DWORD
	v_mov_b32_e32 v86, 0
	s_andn2_b32 s16, s16, exec_lo
	s_and_b32 s23, s23, exec_lo
	s_or_b32 s16, s16, s23
	s_or_b32 exec_lo, exec_lo, s22
	s_and_saveexec_b32 s22, s16
	s_cbranch_execnz .LBB6_12255
	s_branch .LBB6_12256
.LBB6_13233:                            ;   in Loop: Header=BB6_10551 Depth=3
	s_or_saveexec_b32 s22, s22
	v_mov_b32_e32 v98, 0x7f800001
	s_xor_b32 exec_lo, exec_lo, s22
	s_cbranch_execz .LBB6_12262
.LBB6_13234:                            ;   in Loop: Header=BB6_10551 Depth=3
	v_cmp_ne_u16_sdwa s23, v23, v2 src0_sel:BYTE_3 src1_sel:DWORD
	v_mov_b32_e32 v98, 0
	s_andn2_b32 s16, s16, exec_lo
	s_and_b32 s23, s23, exec_lo
	s_or_b32 s16, s16, s23
	s_or_b32 exec_lo, exec_lo, s22
	s_and_saveexec_b32 s22, s16
	s_cbranch_execnz .LBB6_12263
	s_branch .LBB6_12264
.LBB6_13235:                            ;   in Loop: Header=BB6_10551 Depth=3
	s_or_saveexec_b32 s22, s22
	v_mov_b32_e32 v23, 0x7f800001
	s_xor_b32 exec_lo, exec_lo, s22
	s_cbranch_execz .LBB6_12268
.LBB6_13236:                            ;   in Loop: Header=BB6_10551 Depth=3
	v_cmp_ne_u16_sdwa s23, v19, v2 src0_sel:BYTE_3 src1_sel:DWORD
	v_mov_b32_e32 v23, 0
	s_andn2_b32 s16, s16, exec_lo
	s_and_b32 s23, s23, exec_lo
	s_or_b32 s16, s16, s23
	s_or_b32 exec_lo, exec_lo, s22
	s_and_saveexec_b32 s22, s16
	s_cbranch_execnz .LBB6_12269
	s_branch .LBB6_12270
.LBB6_13237:                            ;   in Loop: Header=BB6_10551 Depth=3
	s_or_saveexec_b32 s16, s16
	v_mov_b32_e32 v23, 0x7f800001
	s_xor_b32 exec_lo, exec_lo, s16
	s_cbranch_execz .LBB6_12284
.LBB6_13238:                            ;   in Loop: Header=BB6_10551 Depth=3
	v_cmp_ne_u16_sdwa s23, v12, v2 src0_sel:BYTE_0 src1_sel:DWORD
	v_mov_b32_e32 v23, 0
	s_andn2_b32 s22, s22, exec_lo
	s_and_b32 s23, s23, exec_lo
	s_or_b32 s22, s22, s23
	s_or_b32 exec_lo, exec_lo, s16
	s_and_saveexec_b32 s16, s22
	s_cbranch_execnz .LBB6_12285
	s_branch .LBB6_12286
.LBB6_13239:                            ;   in Loop: Header=BB6_10551 Depth=3
	s_or_saveexec_b32 s16, s16
	v_mov_b32_e32 v86, 0x7f800001
	s_xor_b32 exec_lo, exec_lo, s16
	s_cbranch_execz .LBB6_12290
.LBB6_13240:                            ;   in Loop: Header=BB6_10551 Depth=3
	v_cmp_ne_u16_sdwa s23, v8, v2 src0_sel:BYTE_0 src1_sel:DWORD
	v_mov_b32_e32 v86, 0
	s_andn2_b32 s22, s22, exec_lo
	s_and_b32 s23, s23, exec_lo
	s_or_b32 s22, s22, s23
	s_or_b32 exec_lo, exec_lo, s16
	s_and_saveexec_b32 s16, s22
	s_cbranch_execnz .LBB6_12291
	s_branch .LBB6_12292
.LBB6_13241:                            ;   in Loop: Header=BB6_10551 Depth=3
	s_or_saveexec_b32 s16, s16
	v_mov_b32_e32 v23, 0x7f800001
	s_xor_b32 exec_lo, exec_lo, s16
	s_cbranch_execz .LBB6_12298
.LBB6_13242:                            ;   in Loop: Header=BB6_10551 Depth=3
	v_cmp_ne_u16_sdwa s23, v12, v2 src0_sel:BYTE_0 src1_sel:DWORD
	v_mov_b32_e32 v23, 0
	s_andn2_b32 s22, s22, exec_lo
	s_and_b32 s23, s23, exec_lo
	s_or_b32 s22, s22, s23
	s_or_b32 exec_lo, exec_lo, s16
	s_and_saveexec_b32 s16, s22
	s_cbranch_execnz .LBB6_12299
	s_branch .LBB6_12300
.LBB6_13243:                            ;   in Loop: Header=BB6_10551 Depth=3
	s_or_saveexec_b32 s16, s16
	v_mov_b32_e32 v86, 0x7f800001
	s_xor_b32 exec_lo, exec_lo, s16
	s_cbranch_execz .LBB6_12304
.LBB6_13244:                            ;   in Loop: Header=BB6_10551 Depth=3
	v_cmp_ne_u16_sdwa s23, v8, v2 src0_sel:BYTE_0 src1_sel:DWORD
	v_mov_b32_e32 v86, 0
	s_andn2_b32 s22, s22, exec_lo
	s_and_b32 s23, s23, exec_lo
	s_or_b32 s22, s22, s23
	s_or_b32 exec_lo, exec_lo, s16
	s_and_saveexec_b32 s16, s22
	s_cbranch_execnz .LBB6_12305
	s_branch .LBB6_12306
.LBB6_13245:                            ;   in Loop: Header=BB6_10551 Depth=3
	s_or_saveexec_b32 s22, s22
	v_mov_b32_e32 v98, 0x7f800001
	s_xor_b32 exec_lo, exec_lo, s22
	s_cbranch_execz .LBB6_12320
.LBB6_13246:                            ;   in Loop: Header=BB6_10551 Depth=3
	v_cmp_ne_u16_sdwa s23, v12, v2 src0_sel:BYTE_1 src1_sel:DWORD
	v_mov_b32_e32 v98, 0
	s_andn2_b32 s16, s16, exec_lo
	s_and_b32 s23, s23, exec_lo
	s_or_b32 s16, s16, s23
	s_or_b32 exec_lo, exec_lo, s22
	s_and_saveexec_b32 s22, s16
	s_cbranch_execnz .LBB6_12321
	s_branch .LBB6_12322
.LBB6_13247:                            ;   in Loop: Header=BB6_10551 Depth=3
	s_or_saveexec_b32 s22, s22
	v_mov_b32_e32 v86, 0x7f800001
	s_xor_b32 exec_lo, exec_lo, s22
	s_cbranch_execz .LBB6_12326
.LBB6_13248:                            ;   in Loop: Header=BB6_10551 Depth=3
	v_cmp_ne_u16_sdwa s23, v8, v2 src0_sel:BYTE_1 src1_sel:DWORD
	v_mov_b32_e32 v86, 0
	s_andn2_b32 s16, s16, exec_lo
	s_and_b32 s23, s23, exec_lo
	s_or_b32 s16, s16, s23
	s_or_b32 exec_lo, exec_lo, s22
	s_and_saveexec_b32 s22, s16
	s_cbranch_execnz .LBB6_12327
	s_branch .LBB6_12328
.LBB6_13249:                            ;   in Loop: Header=BB6_10551 Depth=3
	s_or_saveexec_b32 s22, s22
	v_mov_b32_e32 v98, 0x7f800001
	s_xor_b32 exec_lo, exec_lo, s22
	s_cbranch_execz .LBB6_12334
.LBB6_13250:                            ;   in Loop: Header=BB6_10551 Depth=3
	v_cmp_ne_u16_sdwa s23, v12, v2 src0_sel:BYTE_1 src1_sel:DWORD
	v_mov_b32_e32 v98, 0
	s_andn2_b32 s16, s16, exec_lo
	s_and_b32 s23, s23, exec_lo
	s_or_b32 s16, s16, s23
	s_or_b32 exec_lo, exec_lo, s22
	s_and_saveexec_b32 s22, s16
	s_cbranch_execnz .LBB6_12335
	s_branch .LBB6_12336
.LBB6_13251:                            ;   in Loop: Header=BB6_10551 Depth=3
	s_or_saveexec_b32 s22, s22
	v_mov_b32_e32 v86, 0x7f800001
	s_xor_b32 exec_lo, exec_lo, s22
	s_cbranch_execz .LBB6_12340
.LBB6_13252:                            ;   in Loop: Header=BB6_10551 Depth=3
	v_cmp_ne_u16_sdwa s23, v8, v2 src0_sel:BYTE_1 src1_sel:DWORD
	v_mov_b32_e32 v86, 0
	s_andn2_b32 s16, s16, exec_lo
	s_and_b32 s23, s23, exec_lo
	s_or_b32 s16, s16, s23
	s_or_b32 exec_lo, exec_lo, s22
	s_and_saveexec_b32 s22, s16
	s_cbranch_execnz .LBB6_12341
	s_branch .LBB6_12342
.LBB6_13253:                            ;   in Loop: Header=BB6_10551 Depth=3
	s_or_saveexec_b32 s16, s16
	v_mov_b32_e32 v99, 0x7f800001
	s_xor_b32 exec_lo, exec_lo, s16
	s_cbranch_execz .LBB6_12356
.LBB6_13254:                            ;   in Loop: Header=BB6_10551 Depth=3
	v_cmp_ne_u16_e32 vcc_lo, 0, v98
	v_mov_b32_e32 v99, 0
	s_andn2_b32 s22, s22, exec_lo
	s_and_b32 s23, vcc_lo, exec_lo
	s_or_b32 s22, s22, s23
	s_or_b32 exec_lo, exec_lo, s16
	s_and_saveexec_b32 s16, s22
	s_cbranch_execnz .LBB6_12357
	s_branch .LBB6_12358
.LBB6_13255:                            ;   in Loop: Header=BB6_10551 Depth=3
	s_or_saveexec_b32 s16, s16
	v_mov_b32_e32 v86, 0x7f800001
	s_xor_b32 exec_lo, exec_lo, s16
	s_cbranch_execz .LBB6_12362
.LBB6_13256:                            ;   in Loop: Header=BB6_10551 Depth=3
	v_cmp_ne_u16_e32 vcc_lo, 0, v87
	v_mov_b32_e32 v86, 0
	s_andn2_b32 s22, s22, exec_lo
	s_and_b32 s23, vcc_lo, exec_lo
	s_or_b32 s22, s22, s23
	s_or_b32 exec_lo, exec_lo, s16
	s_and_saveexec_b32 s16, s22
	s_cbranch_execnz .LBB6_12363
	s_branch .LBB6_12364
.LBB6_13257:                            ;   in Loop: Header=BB6_10551 Depth=3
	s_or_saveexec_b32 s16, s16
	v_mov_b32_e32 v99, 0x7f800001
	s_xor_b32 exec_lo, exec_lo, s16
	s_cbranch_execz .LBB6_12370
.LBB6_13258:                            ;   in Loop: Header=BB6_10551 Depth=3
	v_cmp_ne_u16_e32 vcc_lo, 0, v98
	v_mov_b32_e32 v99, 0
	s_andn2_b32 s22, s22, exec_lo
	s_and_b32 s23, vcc_lo, exec_lo
	s_or_b32 s22, s22, s23
	s_or_b32 exec_lo, exec_lo, s16
	s_and_saveexec_b32 s16, s22
	s_cbranch_execnz .LBB6_12371
	s_branch .LBB6_12372
.LBB6_13259:                            ;   in Loop: Header=BB6_10551 Depth=3
	s_or_saveexec_b32 s16, s16
	v_mov_b32_e32 v86, 0x7f800001
	s_xor_b32 exec_lo, exec_lo, s16
	s_cbranch_execz .LBB6_12376
.LBB6_13260:                            ;   in Loop: Header=BB6_10551 Depth=3
	v_cmp_ne_u16_e32 vcc_lo, 0, v87
	v_mov_b32_e32 v86, 0
	s_andn2_b32 s22, s22, exec_lo
	s_and_b32 s23, vcc_lo, exec_lo
	s_or_b32 s22, s22, s23
	s_or_b32 exec_lo, exec_lo, s16
	s_and_saveexec_b32 s16, s22
	s_cbranch_execnz .LBB6_12377
	s_branch .LBB6_12378
.LBB6_13261:                            ;   in Loop: Header=BB6_10551 Depth=3
	s_or_saveexec_b32 s22, s22
	v_mov_b32_e32 v98, 0x7f800001
	s_xor_b32 exec_lo, exec_lo, s22
	s_cbranch_execz .LBB6_12392
.LBB6_13262:                            ;   in Loop: Header=BB6_10551 Depth=3
	v_cmp_ne_u16_sdwa s23, v12, v2 src0_sel:BYTE_3 src1_sel:DWORD
	v_mov_b32_e32 v98, 0
	s_andn2_b32 s16, s16, exec_lo
	s_and_b32 s23, s23, exec_lo
	s_or_b32 s16, s16, s23
	s_or_b32 exec_lo, exec_lo, s22
	s_and_saveexec_b32 s22, s16
	s_cbranch_execnz .LBB6_12393
	s_branch .LBB6_12394
.LBB6_13263:                            ;   in Loop: Header=BB6_10551 Depth=3
	s_or_saveexec_b32 s22, s22
	v_mov_b32_e32 v86, 0x7f800001
	s_xor_b32 exec_lo, exec_lo, s22
	s_cbranch_execz .LBB6_12398
.LBB6_13264:                            ;   in Loop: Header=BB6_10551 Depth=3
	v_cmp_ne_u16_sdwa s23, v8, v2 src0_sel:BYTE_3 src1_sel:DWORD
	v_mov_b32_e32 v86, 0
	s_andn2_b32 s16, s16, exec_lo
	s_and_b32 s23, s23, exec_lo
	s_or_b32 s16, s16, s23
	s_or_b32 exec_lo, exec_lo, s22
	s_and_saveexec_b32 s22, s16
	s_cbranch_execnz .LBB6_12399
	s_branch .LBB6_12400
.LBB6_13265:                            ;   in Loop: Header=BB6_10551 Depth=3
	s_or_saveexec_b32 s22, s22
	v_mov_b32_e32 v98, 0x7f800001
	s_xor_b32 exec_lo, exec_lo, s22
	s_cbranch_execz .LBB6_12406
.LBB6_13266:                            ;   in Loop: Header=BB6_10551 Depth=3
	v_cmp_ne_u16_sdwa s23, v12, v2 src0_sel:BYTE_3 src1_sel:DWORD
	v_mov_b32_e32 v98, 0
	s_andn2_b32 s16, s16, exec_lo
	s_and_b32 s23, s23, exec_lo
	s_or_b32 s16, s16, s23
	s_or_b32 exec_lo, exec_lo, s22
	s_and_saveexec_b32 s22, s16
	s_cbranch_execnz .LBB6_12407
	s_branch .LBB6_12408
.LBB6_13267:                            ;   in Loop: Header=BB6_10551 Depth=3
	s_or_saveexec_b32 s22, s22
	v_mov_b32_e32 v12, 0x7f800001
	s_xor_b32 exec_lo, exec_lo, s22
	s_cbranch_execz .LBB6_12412
.LBB6_13268:                            ;   in Loop: Header=BB6_10551 Depth=3
	v_cmp_ne_u16_sdwa s23, v8, v2 src0_sel:BYTE_3 src1_sel:DWORD
	v_mov_b32_e32 v12, 0
	s_andn2_b32 s16, s16, exec_lo
	s_and_b32 s23, s23, exec_lo
	s_or_b32 s16, s16, s23
	s_or_b32 exec_lo, exec_lo, s22
	s_and_saveexec_b32 s22, s16
	s_cbranch_execnz .LBB6_12413
	s_branch .LBB6_12414
.LBB6_13269:                            ;   in Loop: Header=BB6_10551 Depth=3
	s_or_saveexec_b32 s16, s16
	v_mov_b32_e32 v12, 0x7f800001
	s_xor_b32 exec_lo, exec_lo, s16
	s_cbranch_execz .LBB6_12428
.LBB6_13270:                            ;   in Loop: Header=BB6_10551 Depth=3
	v_cmp_ne_u16_sdwa s23, v13, v2 src0_sel:BYTE_0 src1_sel:DWORD
	v_mov_b32_e32 v12, 0
	s_andn2_b32 s22, s22, exec_lo
	s_and_b32 s23, s23, exec_lo
	s_or_b32 s22, s22, s23
	s_or_b32 exec_lo, exec_lo, s16
	s_and_saveexec_b32 s16, s22
	s_cbranch_execnz .LBB6_12429
	s_branch .LBB6_12430
.LBB6_13271:                            ;   in Loop: Header=BB6_10551 Depth=3
	s_or_saveexec_b32 s16, s16
	v_mov_b32_e32 v86, 0x7f800001
	s_xor_b32 exec_lo, exec_lo, s16
	s_cbranch_execz .LBB6_12434
.LBB6_13272:                            ;   in Loop: Header=BB6_10551 Depth=3
	v_cmp_ne_u16_sdwa s23, v9, v2 src0_sel:BYTE_0 src1_sel:DWORD
	v_mov_b32_e32 v86, 0
	s_andn2_b32 s22, s22, exec_lo
	s_and_b32 s23, s23, exec_lo
	s_or_b32 s22, s22, s23
	s_or_b32 exec_lo, exec_lo, s16
	s_and_saveexec_b32 s16, s22
	s_cbranch_execnz .LBB6_12435
	s_branch .LBB6_12436
.LBB6_13273:                            ;   in Loop: Header=BB6_10551 Depth=3
	s_or_saveexec_b32 s16, s16
	v_mov_b32_e32 v12, 0x7f800001
	s_xor_b32 exec_lo, exec_lo, s16
	s_cbranch_execz .LBB6_12442
.LBB6_13274:                            ;   in Loop: Header=BB6_10551 Depth=3
	v_cmp_ne_u16_sdwa s23, v13, v2 src0_sel:BYTE_0 src1_sel:DWORD
	v_mov_b32_e32 v12, 0
	s_andn2_b32 s22, s22, exec_lo
	s_and_b32 s23, s23, exec_lo
	s_or_b32 s22, s22, s23
	s_or_b32 exec_lo, exec_lo, s16
	s_and_saveexec_b32 s16, s22
	s_cbranch_execnz .LBB6_12443
	s_branch .LBB6_12444
.LBB6_13275:                            ;   in Loop: Header=BB6_10551 Depth=3
	s_or_saveexec_b32 s16, s16
	v_mov_b32_e32 v86, 0x7f800001
	s_xor_b32 exec_lo, exec_lo, s16
	s_cbranch_execz .LBB6_12448
.LBB6_13276:                            ;   in Loop: Header=BB6_10551 Depth=3
	v_cmp_ne_u16_sdwa s23, v9, v2 src0_sel:BYTE_0 src1_sel:DWORD
	v_mov_b32_e32 v86, 0
	s_andn2_b32 s22, s22, exec_lo
	s_and_b32 s23, s23, exec_lo
	s_or_b32 s22, s22, s23
	s_or_b32 exec_lo, exec_lo, s16
	s_and_saveexec_b32 s16, s22
	s_cbranch_execnz .LBB6_12449
	s_branch .LBB6_12450
.LBB6_13277:                            ;   in Loop: Header=BB6_10551 Depth=3
	s_or_saveexec_b32 s22, s22
	v_mov_b32_e32 v98, 0x7f800001
	s_xor_b32 exec_lo, exec_lo, s22
	s_cbranch_execz .LBB6_12464
.LBB6_13278:                            ;   in Loop: Header=BB6_10551 Depth=3
	v_cmp_ne_u16_sdwa s23, v13, v2 src0_sel:BYTE_1 src1_sel:DWORD
	v_mov_b32_e32 v98, 0
	s_andn2_b32 s16, s16, exec_lo
	s_and_b32 s23, s23, exec_lo
	s_or_b32 s16, s16, s23
	s_or_b32 exec_lo, exec_lo, s22
	s_and_saveexec_b32 s22, s16
	s_cbranch_execnz .LBB6_12465
	s_branch .LBB6_12466
.LBB6_13279:                            ;   in Loop: Header=BB6_10551 Depth=3
	s_or_saveexec_b32 s22, s22
	v_mov_b32_e32 v86, 0x7f800001
	s_xor_b32 exec_lo, exec_lo, s22
	s_cbranch_execz .LBB6_12470
.LBB6_13280:                            ;   in Loop: Header=BB6_10551 Depth=3
	v_cmp_ne_u16_sdwa s23, v9, v2 src0_sel:BYTE_1 src1_sel:DWORD
	v_mov_b32_e32 v86, 0
	s_andn2_b32 s16, s16, exec_lo
	s_and_b32 s23, s23, exec_lo
	s_or_b32 s16, s16, s23
	s_or_b32 exec_lo, exec_lo, s22
	s_and_saveexec_b32 s22, s16
	s_cbranch_execnz .LBB6_12471
	s_branch .LBB6_12472
.LBB6_13281:                            ;   in Loop: Header=BB6_10551 Depth=3
	s_or_saveexec_b32 s22, s22
	v_mov_b32_e32 v98, 0x7f800001
	s_xor_b32 exec_lo, exec_lo, s22
	s_cbranch_execz .LBB6_12478
.LBB6_13282:                            ;   in Loop: Header=BB6_10551 Depth=3
	v_cmp_ne_u16_sdwa s23, v13, v2 src0_sel:BYTE_1 src1_sel:DWORD
	v_mov_b32_e32 v98, 0
	s_andn2_b32 s16, s16, exec_lo
	s_and_b32 s23, s23, exec_lo
	s_or_b32 s16, s16, s23
	s_or_b32 exec_lo, exec_lo, s22
	s_and_saveexec_b32 s22, s16
	s_cbranch_execnz .LBB6_12479
	s_branch .LBB6_12480
.LBB6_13283:                            ;   in Loop: Header=BB6_10551 Depth=3
	s_or_saveexec_b32 s22, s22
	v_mov_b32_e32 v86, 0x7f800001
	s_xor_b32 exec_lo, exec_lo, s22
	s_cbranch_execz .LBB6_12484
.LBB6_13284:                            ;   in Loop: Header=BB6_10551 Depth=3
	v_cmp_ne_u16_sdwa s23, v9, v2 src0_sel:BYTE_1 src1_sel:DWORD
	v_mov_b32_e32 v86, 0
	s_andn2_b32 s16, s16, exec_lo
	s_and_b32 s23, s23, exec_lo
	s_or_b32 s16, s16, s23
	s_or_b32 exec_lo, exec_lo, s22
	s_and_saveexec_b32 s22, s16
	s_cbranch_execnz .LBB6_12485
	s_branch .LBB6_12486
.LBB6_13285:                            ;   in Loop: Header=BB6_10551 Depth=3
	s_or_saveexec_b32 s16, s16
	v_mov_b32_e32 v99, 0x7f800001
	s_xor_b32 exec_lo, exec_lo, s16
	s_cbranch_execz .LBB6_12500
.LBB6_13286:                            ;   in Loop: Header=BB6_10551 Depth=3
	v_cmp_ne_u16_e32 vcc_lo, 0, v98
	v_mov_b32_e32 v99, 0
	s_andn2_b32 s22, s22, exec_lo
	s_and_b32 s23, vcc_lo, exec_lo
	s_or_b32 s22, s22, s23
	s_or_b32 exec_lo, exec_lo, s16
	s_and_saveexec_b32 s16, s22
	s_cbranch_execnz .LBB6_12501
	s_branch .LBB6_12502
.LBB6_13287:                            ;   in Loop: Header=BB6_10551 Depth=3
	s_or_saveexec_b32 s16, s16
	v_mov_b32_e32 v86, 0x7f800001
	s_xor_b32 exec_lo, exec_lo, s16
	s_cbranch_execz .LBB6_12506
.LBB6_13288:                            ;   in Loop: Header=BB6_10551 Depth=3
	v_cmp_ne_u16_e32 vcc_lo, 0, v87
	v_mov_b32_e32 v86, 0
	s_andn2_b32 s22, s22, exec_lo
	s_and_b32 s23, vcc_lo, exec_lo
	s_or_b32 s22, s22, s23
	s_or_b32 exec_lo, exec_lo, s16
	s_and_saveexec_b32 s16, s22
	s_cbranch_execnz .LBB6_12507
	s_branch .LBB6_12508
.LBB6_13289:                            ;   in Loop: Header=BB6_10551 Depth=3
	s_or_saveexec_b32 s16, s16
	v_mov_b32_e32 v99, 0x7f800001
	s_xor_b32 exec_lo, exec_lo, s16
	s_cbranch_execz .LBB6_12514
.LBB6_13290:                            ;   in Loop: Header=BB6_10551 Depth=3
	v_cmp_ne_u16_e32 vcc_lo, 0, v98
	v_mov_b32_e32 v99, 0
	s_andn2_b32 s22, s22, exec_lo
	s_and_b32 s23, vcc_lo, exec_lo
	s_or_b32 s22, s22, s23
	s_or_b32 exec_lo, exec_lo, s16
	s_and_saveexec_b32 s16, s22
	s_cbranch_execnz .LBB6_12515
	s_branch .LBB6_12516
.LBB6_13291:                            ;   in Loop: Header=BB6_10551 Depth=3
	s_or_saveexec_b32 s16, s16
	v_mov_b32_e32 v86, 0x7f800001
	s_xor_b32 exec_lo, exec_lo, s16
	s_cbranch_execz .LBB6_12520
.LBB6_13292:                            ;   in Loop: Header=BB6_10551 Depth=3
	v_cmp_ne_u16_e32 vcc_lo, 0, v87
	v_mov_b32_e32 v86, 0
	s_andn2_b32 s22, s22, exec_lo
	s_and_b32 s23, vcc_lo, exec_lo
	s_or_b32 s22, s22, s23
	s_or_b32 exec_lo, exec_lo, s16
	s_and_saveexec_b32 s16, s22
	s_cbranch_execnz .LBB6_12521
	s_branch .LBB6_12522
.LBB6_13293:                            ;   in Loop: Header=BB6_10551 Depth=3
	s_or_saveexec_b32 s22, s22
	v_mov_b32_e32 v98, 0x7f800001
	s_xor_b32 exec_lo, exec_lo, s22
	s_cbranch_execz .LBB6_12536
.LBB6_13294:                            ;   in Loop: Header=BB6_10551 Depth=3
	v_cmp_ne_u16_sdwa s23, v13, v2 src0_sel:BYTE_3 src1_sel:DWORD
	v_mov_b32_e32 v98, 0
	s_andn2_b32 s16, s16, exec_lo
	s_and_b32 s23, s23, exec_lo
	s_or_b32 s16, s16, s23
	s_or_b32 exec_lo, exec_lo, s22
	s_and_saveexec_b32 s22, s16
	s_cbranch_execnz .LBB6_12537
	s_branch .LBB6_12538
.LBB6_13295:                            ;   in Loop: Header=BB6_10551 Depth=3
	s_or_saveexec_b32 s22, s22
	v_mov_b32_e32 v86, 0x7f800001
	s_xor_b32 exec_lo, exec_lo, s22
	s_cbranch_execz .LBB6_12542
.LBB6_13296:                            ;   in Loop: Header=BB6_10551 Depth=3
	v_cmp_ne_u16_sdwa s23, v9, v2 src0_sel:BYTE_3 src1_sel:DWORD
	v_mov_b32_e32 v86, 0
	s_andn2_b32 s16, s16, exec_lo
	s_and_b32 s23, s23, exec_lo
	s_or_b32 s16, s16, s23
	s_or_b32 exec_lo, exec_lo, s22
	s_and_saveexec_b32 s22, s16
	s_cbranch_execnz .LBB6_12543
	s_branch .LBB6_12544
.LBB6_13297:                            ;   in Loop: Header=BB6_10551 Depth=3
	s_or_saveexec_b32 s22, s22
	v_mov_b32_e32 v98, 0x7f800001
	s_xor_b32 exec_lo, exec_lo, s22
	s_cbranch_execz .LBB6_12550
.LBB6_13298:                            ;   in Loop: Header=BB6_10551 Depth=3
	v_cmp_ne_u16_sdwa s23, v13, v2 src0_sel:BYTE_3 src1_sel:DWORD
	v_mov_b32_e32 v98, 0
	s_andn2_b32 s16, s16, exec_lo
	s_and_b32 s23, s23, exec_lo
	s_or_b32 s16, s16, s23
	s_or_b32 exec_lo, exec_lo, s22
	s_and_saveexec_b32 s22, s16
	s_cbranch_execnz .LBB6_12551
	s_branch .LBB6_12552
.LBB6_13299:                            ;   in Loop: Header=BB6_10551 Depth=3
	s_or_saveexec_b32 s22, s22
	v_mov_b32_e32 v13, 0x7f800001
	s_xor_b32 exec_lo, exec_lo, s22
	s_cbranch_execz .LBB6_12556
.LBB6_13300:                            ;   in Loop: Header=BB6_10551 Depth=3
	v_cmp_ne_u16_sdwa s23, v9, v2 src0_sel:BYTE_3 src1_sel:DWORD
	v_mov_b32_e32 v13, 0
	s_andn2_b32 s16, s16, exec_lo
	s_and_b32 s23, s23, exec_lo
	s_or_b32 s16, s16, s23
	s_or_b32 exec_lo, exec_lo, s22
	s_and_saveexec_b32 s22, s16
	s_cbranch_execnz .LBB6_12557
	s_branch .LBB6_12558
.LBB6_13301:                            ;   in Loop: Header=BB6_10551 Depth=3
	s_or_saveexec_b32 s16, s16
	v_mov_b32_e32 v13, 0x7f800001
	s_xor_b32 exec_lo, exec_lo, s16
	s_cbranch_execz .LBB6_12572
.LBB6_13302:                            ;   in Loop: Header=BB6_10551 Depth=3
	v_cmp_ne_u16_sdwa s23, v14, v2 src0_sel:BYTE_0 src1_sel:DWORD
	v_mov_b32_e32 v13, 0
	s_andn2_b32 s22, s22, exec_lo
	s_and_b32 s23, s23, exec_lo
	s_or_b32 s22, s22, s23
	s_or_b32 exec_lo, exec_lo, s16
	s_and_saveexec_b32 s16, s22
	s_cbranch_execnz .LBB6_12573
	s_branch .LBB6_12574
.LBB6_13303:                            ;   in Loop: Header=BB6_10551 Depth=3
	s_or_saveexec_b32 s16, s16
	v_mov_b32_e32 v86, 0x7f800001
	s_xor_b32 exec_lo, exec_lo, s16
	s_cbranch_execz .LBB6_12578
.LBB6_13304:                            ;   in Loop: Header=BB6_10551 Depth=3
	v_cmp_ne_u16_sdwa s23, v10, v2 src0_sel:BYTE_0 src1_sel:DWORD
	v_mov_b32_e32 v86, 0
	s_andn2_b32 s22, s22, exec_lo
	s_and_b32 s23, s23, exec_lo
	s_or_b32 s22, s22, s23
	s_or_b32 exec_lo, exec_lo, s16
	s_and_saveexec_b32 s16, s22
	s_cbranch_execnz .LBB6_12579
	s_branch .LBB6_12580
.LBB6_13305:                            ;   in Loop: Header=BB6_10551 Depth=3
	s_or_saveexec_b32 s16, s16
	v_mov_b32_e32 v13, 0x7f800001
	s_xor_b32 exec_lo, exec_lo, s16
	s_cbranch_execz .LBB6_12586
.LBB6_13306:                            ;   in Loop: Header=BB6_10551 Depth=3
	v_cmp_ne_u16_sdwa s23, v14, v2 src0_sel:BYTE_0 src1_sel:DWORD
	v_mov_b32_e32 v13, 0
	s_andn2_b32 s22, s22, exec_lo
	s_and_b32 s23, s23, exec_lo
	s_or_b32 s22, s22, s23
	s_or_b32 exec_lo, exec_lo, s16
	s_and_saveexec_b32 s16, s22
	s_cbranch_execnz .LBB6_12587
	s_branch .LBB6_12588
.LBB6_13307:                            ;   in Loop: Header=BB6_10551 Depth=3
	s_or_saveexec_b32 s16, s16
	v_mov_b32_e32 v86, 0x7f800001
	s_xor_b32 exec_lo, exec_lo, s16
	s_cbranch_execz .LBB6_12592
.LBB6_13308:                            ;   in Loop: Header=BB6_10551 Depth=3
	v_cmp_ne_u16_sdwa s23, v10, v2 src0_sel:BYTE_0 src1_sel:DWORD
	v_mov_b32_e32 v86, 0
	s_andn2_b32 s22, s22, exec_lo
	s_and_b32 s23, s23, exec_lo
	s_or_b32 s22, s22, s23
	s_or_b32 exec_lo, exec_lo, s16
	s_and_saveexec_b32 s16, s22
	s_cbranch_execnz .LBB6_12593
	s_branch .LBB6_12594
.LBB6_13309:                            ;   in Loop: Header=BB6_10551 Depth=3
	s_or_saveexec_b32 s22, s22
	v_mov_b32_e32 v98, 0x7f800001
	s_xor_b32 exec_lo, exec_lo, s22
	s_cbranch_execz .LBB6_12608
.LBB6_13310:                            ;   in Loop: Header=BB6_10551 Depth=3
	v_cmp_ne_u16_sdwa s23, v14, v2 src0_sel:BYTE_1 src1_sel:DWORD
	v_mov_b32_e32 v98, 0
	s_andn2_b32 s16, s16, exec_lo
	s_and_b32 s23, s23, exec_lo
	s_or_b32 s16, s16, s23
	s_or_b32 exec_lo, exec_lo, s22
	s_and_saveexec_b32 s22, s16
	s_cbranch_execnz .LBB6_12609
	s_branch .LBB6_12610
.LBB6_13311:                            ;   in Loop: Header=BB6_10551 Depth=3
	s_or_saveexec_b32 s22, s22
	v_mov_b32_e32 v86, 0x7f800001
	s_xor_b32 exec_lo, exec_lo, s22
	s_cbranch_execz .LBB6_12614
.LBB6_13312:                            ;   in Loop: Header=BB6_10551 Depth=3
	v_cmp_ne_u16_sdwa s23, v10, v2 src0_sel:BYTE_1 src1_sel:DWORD
	v_mov_b32_e32 v86, 0
	s_andn2_b32 s16, s16, exec_lo
	s_and_b32 s23, s23, exec_lo
	s_or_b32 s16, s16, s23
	s_or_b32 exec_lo, exec_lo, s22
	s_and_saveexec_b32 s22, s16
	s_cbranch_execnz .LBB6_12615
	s_branch .LBB6_12616
.LBB6_13313:                            ;   in Loop: Header=BB6_10551 Depth=3
	s_or_saveexec_b32 s22, s22
	v_mov_b32_e32 v98, 0x7f800001
	s_xor_b32 exec_lo, exec_lo, s22
	s_cbranch_execz .LBB6_12622
.LBB6_13314:                            ;   in Loop: Header=BB6_10551 Depth=3
	v_cmp_ne_u16_sdwa s23, v14, v2 src0_sel:BYTE_1 src1_sel:DWORD
	v_mov_b32_e32 v98, 0
	s_andn2_b32 s16, s16, exec_lo
	s_and_b32 s23, s23, exec_lo
	s_or_b32 s16, s16, s23
	s_or_b32 exec_lo, exec_lo, s22
	s_and_saveexec_b32 s22, s16
	s_cbranch_execnz .LBB6_12623
	s_branch .LBB6_12624
.LBB6_13315:                            ;   in Loop: Header=BB6_10551 Depth=3
	s_or_saveexec_b32 s22, s22
	v_mov_b32_e32 v86, 0x7f800001
	s_xor_b32 exec_lo, exec_lo, s22
	s_cbranch_execz .LBB6_12628
.LBB6_13316:                            ;   in Loop: Header=BB6_10551 Depth=3
	v_cmp_ne_u16_sdwa s23, v10, v2 src0_sel:BYTE_1 src1_sel:DWORD
	v_mov_b32_e32 v86, 0
	s_andn2_b32 s16, s16, exec_lo
	s_and_b32 s23, s23, exec_lo
	s_or_b32 s16, s16, s23
	s_or_b32 exec_lo, exec_lo, s22
	s_and_saveexec_b32 s22, s16
	s_cbranch_execnz .LBB6_12629
	s_branch .LBB6_12630
.LBB6_13317:                            ;   in Loop: Header=BB6_10551 Depth=3
	s_or_saveexec_b32 s16, s16
	v_mov_b32_e32 v112, 0x7f800001
	s_xor_b32 exec_lo, exec_lo, s16
	s_cbranch_execz .LBB6_12644
.LBB6_13318:                            ;   in Loop: Header=BB6_10551 Depth=3
	v_cmp_ne_u16_e32 vcc_lo, 0, v99
	v_mov_b32_e32 v112, 0
	s_andn2_b32 s22, s22, exec_lo
	s_and_b32 s23, vcc_lo, exec_lo
	s_or_b32 s22, s22, s23
	s_or_b32 exec_lo, exec_lo, s16
	s_and_saveexec_b32 s16, s22
	s_cbranch_execnz .LBB6_12645
	s_branch .LBB6_12646
.LBB6_13319:                            ;   in Loop: Header=BB6_10551 Depth=3
	s_or_saveexec_b32 s16, s16
	v_mov_b32_e32 v86, 0x7f800001
	s_xor_b32 exec_lo, exec_lo, s16
	s_cbranch_execz .LBB6_12650
.LBB6_13320:                            ;   in Loop: Header=BB6_10551 Depth=3
	v_cmp_ne_u16_e32 vcc_lo, 0, v87
	v_mov_b32_e32 v86, 0
	s_andn2_b32 s22, s22, exec_lo
	s_and_b32 s23, vcc_lo, exec_lo
	s_or_b32 s22, s22, s23
	s_or_b32 exec_lo, exec_lo, s16
	s_and_saveexec_b32 s16, s22
	s_cbranch_execnz .LBB6_12651
	s_branch .LBB6_12652
.LBB6_13321:                            ;   in Loop: Header=BB6_10551 Depth=3
	s_or_saveexec_b32 s16, s16
	v_mov_b32_e32 v112, 0x7f800001
	s_xor_b32 exec_lo, exec_lo, s16
	s_cbranch_execz .LBB6_12658
.LBB6_13322:                            ;   in Loop: Header=BB6_10551 Depth=3
	v_cmp_ne_u16_e32 vcc_lo, 0, v99
	v_mov_b32_e32 v112, 0
	s_andn2_b32 s22, s22, exec_lo
	s_and_b32 s23, vcc_lo, exec_lo
	s_or_b32 s22, s22, s23
	s_or_b32 exec_lo, exec_lo, s16
	s_and_saveexec_b32 s16, s22
	s_cbranch_execnz .LBB6_12659
	s_branch .LBB6_12660
.LBB6_13323:                            ;   in Loop: Header=BB6_10551 Depth=3
	s_or_saveexec_b32 s16, s16
	v_mov_b32_e32 v86, 0x7f800001
	s_xor_b32 exec_lo, exec_lo, s16
	s_cbranch_execz .LBB6_12664
.LBB6_13324:                            ;   in Loop: Header=BB6_10551 Depth=3
	v_cmp_ne_u16_e32 vcc_lo, 0, v87
	v_mov_b32_e32 v86, 0
	s_andn2_b32 s22, s22, exec_lo
	s_and_b32 s23, vcc_lo, exec_lo
	s_or_b32 s22, s22, s23
	s_or_b32 exec_lo, exec_lo, s16
	s_and_saveexec_b32 s16, s22
	s_cbranch_execnz .LBB6_12665
	s_branch .LBB6_12666
.LBB6_13325:                            ;   in Loop: Header=BB6_10551 Depth=3
	s_or_saveexec_b32 s22, s22
	v_mov_b32_e32 v112, 0x7f800001
	s_xor_b32 exec_lo, exec_lo, s22
	s_cbranch_execz .LBB6_12680
.LBB6_13326:                            ;   in Loop: Header=BB6_10551 Depth=3
	v_cmp_ne_u16_sdwa s23, v14, v2 src0_sel:BYTE_3 src1_sel:DWORD
	v_mov_b32_e32 v112, 0
	s_andn2_b32 s16, s16, exec_lo
	s_and_b32 s23, s23, exec_lo
	s_or_b32 s16, s16, s23
	s_or_b32 exec_lo, exec_lo, s22
	s_and_saveexec_b32 s22, s16
	s_cbranch_execnz .LBB6_12681
	s_branch .LBB6_12682
.LBB6_13327:                            ;   in Loop: Header=BB6_10551 Depth=3
	s_or_saveexec_b32 s22, s22
	v_mov_b32_e32 v86, 0x7f800001
	s_xor_b32 exec_lo, exec_lo, s22
	s_cbranch_execz .LBB6_12686
.LBB6_13328:                            ;   in Loop: Header=BB6_10551 Depth=3
	v_cmp_ne_u16_sdwa s23, v10, v2 src0_sel:BYTE_3 src1_sel:DWORD
	v_mov_b32_e32 v86, 0
	s_andn2_b32 s16, s16, exec_lo
	s_and_b32 s23, s23, exec_lo
	s_or_b32 s16, s16, s23
	s_or_b32 exec_lo, exec_lo, s22
	s_and_saveexec_b32 s22, s16
	s_cbranch_execnz .LBB6_12687
	s_branch .LBB6_12688
.LBB6_13329:                            ;   in Loop: Header=BB6_10551 Depth=3
	s_or_saveexec_b32 s22, s22
	v_mov_b32_e32 v112, 0x7f800001
	s_xor_b32 exec_lo, exec_lo, s22
	s_cbranch_execz .LBB6_12694
.LBB6_13330:                            ;   in Loop: Header=BB6_10551 Depth=3
	v_cmp_ne_u16_sdwa s23, v14, v2 src0_sel:BYTE_3 src1_sel:DWORD
	v_mov_b32_e32 v112, 0
	s_andn2_b32 s16, s16, exec_lo
	s_and_b32 s23, s23, exec_lo
	s_or_b32 s16, s16, s23
	s_or_b32 exec_lo, exec_lo, s22
	s_and_saveexec_b32 s22, s16
	s_cbranch_execnz .LBB6_12695
	s_branch .LBB6_12696
.LBB6_13331:                            ;   in Loop: Header=BB6_10551 Depth=3
	s_or_saveexec_b32 s22, s22
	v_mov_b32_e32 v14, 0x7f800001
	s_xor_b32 exec_lo, exec_lo, s22
	s_cbranch_execz .LBB6_12700
.LBB6_13332:                            ;   in Loop: Header=BB6_10551 Depth=3
	v_cmp_ne_u16_sdwa s23, v10, v2 src0_sel:BYTE_3 src1_sel:DWORD
	v_mov_b32_e32 v14, 0
	s_andn2_b32 s16, s16, exec_lo
	s_and_b32 s23, s23, exec_lo
	s_or_b32 s16, s16, s23
	s_or_b32 exec_lo, exec_lo, s22
	s_and_saveexec_b32 s22, s16
	s_cbranch_execnz .LBB6_12701
	s_branch .LBB6_12702
.LBB6_13333:                            ;   in Loop: Header=BB6_10551 Depth=3
	s_or_saveexec_b32 s16, s16
	v_mov_b32_e32 v14, 0x7f800001
	s_xor_b32 exec_lo, exec_lo, s16
	s_cbranch_execz .LBB6_12716
.LBB6_13334:                            ;   in Loop: Header=BB6_10551 Depth=3
	v_cmp_ne_u16_sdwa s23, v15, v2 src0_sel:BYTE_0 src1_sel:DWORD
	v_mov_b32_e32 v14, 0
	s_andn2_b32 s22, s22, exec_lo
	s_and_b32 s23, s23, exec_lo
	s_or_b32 s22, s22, s23
	s_or_b32 exec_lo, exec_lo, s16
	s_and_saveexec_b32 s16, s22
	s_cbranch_execnz .LBB6_12717
	s_branch .LBB6_12718
.LBB6_13335:                            ;   in Loop: Header=BB6_10551 Depth=3
	s_or_saveexec_b32 s16, s16
	v_mov_b32_e32 v86, 0x7f800001
	s_xor_b32 exec_lo, exec_lo, s16
	s_cbranch_execz .LBB6_12722
.LBB6_13336:                            ;   in Loop: Header=BB6_10551 Depth=3
	v_cmp_ne_u16_sdwa s23, v11, v2 src0_sel:BYTE_0 src1_sel:DWORD
	v_mov_b32_e32 v86, 0
	s_andn2_b32 s22, s22, exec_lo
	s_and_b32 s23, s23, exec_lo
	s_or_b32 s22, s22, s23
	s_or_b32 exec_lo, exec_lo, s16
	s_and_saveexec_b32 s16, s22
	s_cbranch_execnz .LBB6_12723
	s_branch .LBB6_12724
.LBB6_13337:                            ;   in Loop: Header=BB6_10551 Depth=3
	s_or_saveexec_b32 s16, s16
	v_mov_b32_e32 v14, 0x7f800001
	s_xor_b32 exec_lo, exec_lo, s16
	s_cbranch_execz .LBB6_12730
.LBB6_13338:                            ;   in Loop: Header=BB6_10551 Depth=3
	v_cmp_ne_u16_sdwa s23, v15, v2 src0_sel:BYTE_0 src1_sel:DWORD
	v_mov_b32_e32 v14, 0
	s_andn2_b32 s22, s22, exec_lo
	s_and_b32 s23, s23, exec_lo
	s_or_b32 s22, s22, s23
	s_or_b32 exec_lo, exec_lo, s16
	s_and_saveexec_b32 s16, s22
	s_cbranch_execnz .LBB6_12731
	s_branch .LBB6_12732
.LBB6_13339:                            ;   in Loop: Header=BB6_10551 Depth=3
	s_or_saveexec_b32 s16, s16
	v_mov_b32_e32 v86, 0x7f800001
	s_xor_b32 exec_lo, exec_lo, s16
	s_cbranch_execz .LBB6_12736
.LBB6_13340:                            ;   in Loop: Header=BB6_10551 Depth=3
	v_cmp_ne_u16_sdwa s23, v11, v2 src0_sel:BYTE_0 src1_sel:DWORD
	v_mov_b32_e32 v86, 0
	s_andn2_b32 s22, s22, exec_lo
	s_and_b32 s23, s23, exec_lo
	s_or_b32 s22, s22, s23
	s_or_b32 exec_lo, exec_lo, s16
	s_and_saveexec_b32 s16, s22
	s_cbranch_execnz .LBB6_12737
	s_branch .LBB6_12738
.LBB6_13341:                            ;   in Loop: Header=BB6_10551 Depth=3
	s_or_saveexec_b32 s22, s22
	v_mov_b32_e32 v112, 0x7f800001
	s_xor_b32 exec_lo, exec_lo, s22
	s_cbranch_execz .LBB6_12752
.LBB6_13342:                            ;   in Loop: Header=BB6_10551 Depth=3
	v_cmp_ne_u16_sdwa s23, v15, v2 src0_sel:BYTE_1 src1_sel:DWORD
	v_mov_b32_e32 v112, 0
	s_andn2_b32 s16, s16, exec_lo
	s_and_b32 s23, s23, exec_lo
	s_or_b32 s16, s16, s23
	s_or_b32 exec_lo, exec_lo, s22
	s_and_saveexec_b32 s22, s16
	s_cbranch_execnz .LBB6_12753
	s_branch .LBB6_12754
.LBB6_13343:                            ;   in Loop: Header=BB6_10551 Depth=3
	s_or_saveexec_b32 s22, s22
	v_mov_b32_e32 v86, 0x7f800001
	s_xor_b32 exec_lo, exec_lo, s22
	s_cbranch_execz .LBB6_12758
.LBB6_13344:                            ;   in Loop: Header=BB6_10551 Depth=3
	v_cmp_ne_u16_sdwa s23, v11, v2 src0_sel:BYTE_1 src1_sel:DWORD
	v_mov_b32_e32 v86, 0
	s_andn2_b32 s16, s16, exec_lo
	s_and_b32 s23, s23, exec_lo
	s_or_b32 s16, s16, s23
	s_or_b32 exec_lo, exec_lo, s22
	s_and_saveexec_b32 s22, s16
	s_cbranch_execnz .LBB6_12759
	s_branch .LBB6_12760
.LBB6_13345:                            ;   in Loop: Header=BB6_10551 Depth=3
	s_or_saveexec_b32 s22, s22
	v_mov_b32_e32 v112, 0x7f800001
	s_xor_b32 exec_lo, exec_lo, s22
	s_cbranch_execz .LBB6_12766
.LBB6_13346:                            ;   in Loop: Header=BB6_10551 Depth=3
	v_cmp_ne_u16_sdwa s23, v15, v2 src0_sel:BYTE_1 src1_sel:DWORD
	v_mov_b32_e32 v112, 0
	s_andn2_b32 s16, s16, exec_lo
	s_and_b32 s23, s23, exec_lo
	s_or_b32 s16, s16, s23
	s_or_b32 exec_lo, exec_lo, s22
	s_and_saveexec_b32 s22, s16
	s_cbranch_execnz .LBB6_12767
	s_branch .LBB6_12768
.LBB6_13347:                            ;   in Loop: Header=BB6_10551 Depth=3
	s_or_saveexec_b32 s22, s22
	v_mov_b32_e32 v86, 0x7f800001
	s_xor_b32 exec_lo, exec_lo, s22
	s_cbranch_execz .LBB6_12772
.LBB6_13348:                            ;   in Loop: Header=BB6_10551 Depth=3
	v_cmp_ne_u16_sdwa s23, v11, v2 src0_sel:BYTE_1 src1_sel:DWORD
	v_mov_b32_e32 v86, 0
	s_andn2_b32 s16, s16, exec_lo
	s_and_b32 s23, s23, exec_lo
	s_or_b32 s16, s16, s23
	s_or_b32 exec_lo, exec_lo, s22
	s_and_saveexec_b32 s22, s16
	s_cbranch_execnz .LBB6_12773
	s_branch .LBB6_12774
.LBB6_13349:                            ;   in Loop: Header=BB6_10551 Depth=3
	s_or_saveexec_b32 s16, s16
	v_mov_b32_e32 v46, 0x7f800001
	s_xor_b32 exec_lo, exec_lo, s16
	s_cbranch_execz .LBB6_12788
.LBB6_13350:                            ;   in Loop: Header=BB6_10551 Depth=3
	v_cmp_ne_u16_e32 vcc_lo, 0, v113
	v_mov_b32_e32 v46, 0
	s_andn2_b32 s22, s22, exec_lo
	s_and_b32 s23, vcc_lo, exec_lo
	s_or_b32 s22, s22, s23
	s_or_b32 exec_lo, exec_lo, s16
	s_and_saveexec_b32 s16, s22
	s_cbranch_execnz .LBB6_12789
	s_branch .LBB6_12790
.LBB6_13351:                            ;   in Loop: Header=BB6_10551 Depth=3
	s_or_saveexec_b32 s16, s16
	v_mov_b32_e32 v86, 0x7f800001
	s_xor_b32 exec_lo, exec_lo, s16
	s_cbranch_execz .LBB6_12794
.LBB6_13352:                            ;   in Loop: Header=BB6_10551 Depth=3
	v_cmp_ne_u16_e32 vcc_lo, 0, v87
	v_mov_b32_e32 v86, 0
	s_andn2_b32 s22, s22, exec_lo
	s_and_b32 s23, vcc_lo, exec_lo
	s_or_b32 s22, s22, s23
	s_or_b32 exec_lo, exec_lo, s16
	s_and_saveexec_b32 s16, s22
	s_cbranch_execnz .LBB6_12795
	s_branch .LBB6_12796
.LBB6_13353:                            ;   in Loop: Header=BB6_10551 Depth=3
	s_or_saveexec_b32 s16, s16
	v_mov_b32_e32 v46, 0x7f800001
	s_xor_b32 exec_lo, exec_lo, s16
	s_cbranch_execz .LBB6_12802
.LBB6_13354:                            ;   in Loop: Header=BB6_10551 Depth=3
	v_cmp_ne_u16_e32 vcc_lo, 0, v113
	v_mov_b32_e32 v46, 0
	s_andn2_b32 s22, s22, exec_lo
	s_and_b32 s23, vcc_lo, exec_lo
	s_or_b32 s22, s22, s23
	s_or_b32 exec_lo, exec_lo, s16
	s_and_saveexec_b32 s16, s22
	s_cbranch_execnz .LBB6_12803
	s_branch .LBB6_12804
.LBB6_13355:                            ;   in Loop: Header=BB6_10551 Depth=3
	s_or_saveexec_b32 s16, s16
	v_mov_b32_e32 v86, 0x7f800001
	s_xor_b32 exec_lo, exec_lo, s16
	s_cbranch_execz .LBB6_12808
.LBB6_13356:                            ;   in Loop: Header=BB6_10551 Depth=3
	v_cmp_ne_u16_e32 vcc_lo, 0, v87
	v_mov_b32_e32 v86, 0
	s_andn2_b32 s22, s22, exec_lo
	s_and_b32 s23, vcc_lo, exec_lo
	s_or_b32 s22, s22, s23
	s_or_b32 exec_lo, exec_lo, s16
	s_and_saveexec_b32 s16, s22
	s_cbranch_execnz .LBB6_12809
	s_branch .LBB6_12810
.LBB6_13357:                            ;   in Loop: Header=BB6_10551 Depth=3
	s_or_saveexec_b32 s22, s22
	v_mov_b32_e32 v46, 0x7f800001
	s_xor_b32 exec_lo, exec_lo, s22
	s_cbranch_execz .LBB6_12824
.LBB6_13358:                            ;   in Loop: Header=BB6_10551 Depth=3
	v_cmp_ne_u16_sdwa s23, v15, v2 src0_sel:BYTE_3 src1_sel:DWORD
	v_mov_b32_e32 v46, 0
	s_andn2_b32 s16, s16, exec_lo
	s_and_b32 s23, s23, exec_lo
	s_or_b32 s16, s16, s23
	s_or_b32 exec_lo, exec_lo, s22
	s_and_saveexec_b32 s22, s16
	s_cbranch_execnz .LBB6_12825
	s_branch .LBB6_12826
.LBB6_13359:                            ;   in Loop: Header=BB6_10551 Depth=3
	s_or_saveexec_b32 s22, s22
	v_mov_b32_e32 v86, 0x7f800001
	s_xor_b32 exec_lo, exec_lo, s22
	s_cbranch_execz .LBB6_12830
.LBB6_13360:                            ;   in Loop: Header=BB6_10551 Depth=3
	v_cmp_ne_u16_sdwa s23, v11, v2 src0_sel:BYTE_3 src1_sel:DWORD
	v_mov_b32_e32 v86, 0
	s_andn2_b32 s16, s16, exec_lo
	s_and_b32 s23, s23, exec_lo
	s_or_b32 s16, s16, s23
	s_or_b32 exec_lo, exec_lo, s22
	s_and_saveexec_b32 s22, s16
	s_cbranch_execnz .LBB6_12831
	s_branch .LBB6_12832
.LBB6_13361:                            ;   in Loop: Header=BB6_10551 Depth=3
	s_or_saveexec_b32 s22, s22
	v_mov_b32_e32 v46, 0x7f800001
	s_xor_b32 exec_lo, exec_lo, s22
	s_cbranch_execz .LBB6_12838
.LBB6_13362:                            ;   in Loop: Header=BB6_10551 Depth=3
	v_cmp_ne_u16_sdwa s23, v15, v2 src0_sel:BYTE_3 src1_sel:DWORD
	v_mov_b32_e32 v46, 0
	s_andn2_b32 s16, s16, exec_lo
	s_and_b32 s23, s23, exec_lo
	s_or_b32 s16, s16, s23
	s_or_b32 exec_lo, exec_lo, s22
	s_and_saveexec_b32 s22, s16
	s_cbranch_execnz .LBB6_12839
	s_branch .LBB6_12840
.LBB6_13363:                            ;   in Loop: Header=BB6_10551 Depth=3
	s_or_saveexec_b32 s22, s22
	v_mov_b32_e32 v15, 0x7f800001
	s_xor_b32 exec_lo, exec_lo, s22
	s_cbranch_execz .LBB6_12844
.LBB6_13364:                            ;   in Loop: Header=BB6_10551 Depth=3
	v_cmp_ne_u16_sdwa s23, v11, v2 src0_sel:BYTE_3 src1_sel:DWORD
	v_mov_b32_e32 v15, 0
	s_andn2_b32 s16, s16, exec_lo
	s_and_b32 s23, s23, exec_lo
	s_or_b32 s16, s16, s23
	s_or_b32 exec_lo, exec_lo, s22
	s_and_saveexec_b32 s22, s16
	s_cbranch_execnz .LBB6_12845
	s_branch .LBB6_12846
.LBB6_13365:                            ;   in Loop: Header=BB6_5463 Depth=2
	s_or_b32 exec_lo, exec_lo, s18
	buffer_load_dword v4, off, s[0:3], s33 offset:216 ; 4-byte Folded Reload
.LBB6_13366:                            ;   in Loop: Header=BB6_5463 Depth=2
	s_or_b32 exec_lo, exec_lo, s17
	v_lshlrev_b32_e32 v1, 11, v41
	s_mov_b32 s16, 0
                                        ; implicit-def: $vgpr5
                                        ; implicit-def: $vgpr14
	s_waitcnt vmcnt(0)
	v_cmp_ne_u32_e32 vcc_lo, v4, v1
	v_mov_b32_e32 v4, 0
	s_and_saveexec_b32 s18, vcc_lo
	s_cbranch_execz .LBB6_14076
; %bb.13367:                            ;   in Loop: Header=BB6_5463 Depth=2
	buffer_load_dword v8, off, s[0:3], s33 offset:216 ; 4-byte Folded Reload
	v_lshlrev_b32_e32 v4, 5, v40
	v_and_b32_e32 v5, 31, v0
	s_mov_b32 s19, exec_lo
	v_sub_nc_u32_e32 v4, v5, v4
	v_ashrrev_i32_e32 v5, 31, v4
	v_lshrrev_b32_e32 v5, 27, v5
	v_add_nc_u32_e32 v5, v4, v5
	v_and_b32_e32 v10, 0xffffffe0, v5
	v_sub_nc_u32_e32 v22, v4, v10
	v_ashrrev_i32_e32 v10, 5, v5
	v_lshlrev_b32_e32 v11, 4, v22
	s_waitcnt vmcnt(0)
	v_sub_nc_u32_e32 v9, v8, v1
	v_ashrrev_i32_e32 v8, 31, v9
	v_lshrrev_b32_e32 v8, 23, v8
	v_add_nc_u32_e32 v8, v9, v8
	v_and_b32_e32 v4, 0xfffffe00, v8
	v_ashrrev_i32_e32 v12, 9, v8
	v_lshl_add_u32 v8, v10, 9, v11
	v_sub_nc_u32_e32 v5, v9, v4
	v_sub_nc_u32_e32 v24, v9, v8
	v_cmp_lt_i32_e64 s16, 15, v5
	v_add_co_ci_u32_e64 v11, null, 0, v12, s16
	v_sub_nc_u32_e32 v23, v11, v10
	v_cmpx_lt_i32_e32 15, v24
	s_cbranch_execz .LBB6_14075
; %bb.13368:                            ;   in Loop: Header=BB6_5463 Depth=2
	s_trap 2
	ds_read_b64 v[9:10], v0
	v_add_nc_u32_e32 v8, v8, v1
	s_bitcmp1_b32 s72, 0
	s_mov_b32 s22, 0
	s_cselect_b32 s23, -1, 0
	v_ashrrev_i32_e32 v11, 31, v8
	v_add_co_u32 v16, vcc_lo, v8, v101
	v_add_co_ci_u32_e64 v17, null, v11, v102, vcc_lo
	s_waitcnt lgkmcnt(0)
	v_add_co_u32 v18, vcc_lo, v9, v8
	v_add_co_ci_u32_e64 v19, null, v10, v11, vcc_lo
	s_clause 0x1
	buffer_load_dword v9, off, s[0:3], s33 offset:220
	buffer_load_dword v10, off, s[0:3], s33 offset:224
	s_waitcnt vmcnt(1)
	v_add_co_u32 v20, vcc_lo, v8, v9
	s_waitcnt vmcnt(0)
	v_add_co_ci_u32_e64 v21, null, v11, v10, vcc_lo
	s_branch .LBB6_13372
.LBB6_13369:                            ;   in Loop: Header=BB6_13372 Depth=3
	s_or_b32 exec_lo, exec_lo, s17
	v_lshrrev_b32_e32 v10, 20, v10
	v_min_i32_e32 v11, 15, v9
	v_cmp_gt_i32_e32 vcc_lo, 16, v9
	v_and_b32_sdwa v8, v8, v62 dst_sel:DWORD dst_unused:UNUSED_PAD src0_sel:BYTE_3 src1_sel:DWORD
	v_lshlrev_b32_e32 v11, 3, v11
	v_cndmask_b32_e32 v10, 7, v10, vcc_lo
	v_and_b32_e32 v11, 0xf8, v11
	v_and_b32_e32 v15, 7, v10
	v_or_b32_e32 v9, v9, v10
	v_or3_b32 v8, v8, v11, v15
	v_cmp_ne_u32_e32 vcc_lo, 0, v9
	v_lshlrev_b32_e32 v8, 8, v8
	v_cndmask_b32_e32 v9, 0, v8, vcc_lo
.LBB6_13370:                            ;   in Loop: Header=BB6_13372 Depth=3
	s_or_b32 exec_lo, exec_lo, s74
.LBB6_13371:                            ;   in Loop: Header=BB6_13372 Depth=3
	s_or_b32 exec_lo, exec_lo, s73
	v_or_b32_sdwa v8, v13, v30 dst_sel:WORD_1 dst_unused:UNUSED_PAD src0_sel:DWORD src1_sel:DWORD
	v_or_b32_sdwa v10, v12, v27 dst_sel:WORD_1 dst_unused:UNUSED_PAD src0_sel:DWORD src1_sel:DWORD
	;; [unrolled: 1-line block ×4, first 2 shown]
	v_sub_nc_u32_e32 v24, v24, v76
	v_or3_b32 v9, v29, v28, v8
	v_or3_b32 v8, v26, v25, v10
	;; [unrolled: 1-line block ×4, first 2 shown]
	v_add_co_u32 v16, vcc_lo, v16, v76
	v_add_co_ci_u32_e64 v17, null, 0, v17, vcc_lo
	v_add_co_u32 v18, vcc_lo, v18, v76
	global_store_dwordx4 v[20:21], v[8:11], off glc slc
	v_add_co_ci_u32_e64 v19, null, 0, v19, vcc_lo
	v_cmp_gt_i32_e32 vcc_lo, 16, v24
	v_add_co_u32 v20, s17, v20, v76
	v_add_co_ci_u32_e64 v21, null, 0, v21, s17
	v_sub_nc_u32_e32 v23, v23, v47
	s_or_b32 s22, vcc_lo, s22
	s_andn2_b32 exec_lo, exec_lo, s22
	s_cbranch_execz .LBB6_14074
.LBB6_13372:                            ;   Parent Loop BB6_47 Depth=1
                                        ;     Parent Loop BB6_5463 Depth=2
                                        ; =>    This Inner Loop Header: Depth=3
	global_load_dwordx4 v[8:11], v[18:19], off slc
	global_load_dwordx4 v[12:15], v[16:17], off slc
	s_mov_b32 s17, -1
	s_waitcnt vmcnt(1)
	v_and_b32_e32 v25, 7, v8
	v_bfe_u32 v28, v8, 3, 4
	v_lshlrev_b32_e32 v29, 24, v8
	v_ffbh_u32_e32 v26, v25
	v_cmp_eq_u32_e32 vcc_lo, 0, v28
	v_min_u32_e32 v26, 32, v26
	v_subrev_nc_u32_e32 v27, 28, v26
	v_sub_nc_u32_e32 v26, 29, v26
	v_lshlrev_b32_e32 v27, v27, v8
	v_cndmask_b32_e32 v26, v28, v26, vcc_lo
	v_and_b32_e32 v27, 7, v27
	v_lshl_add_u32 v26, v26, 23, 0x3b800000
	v_cndmask_b32_e32 v25, v25, v27, vcc_lo
	v_and_b32_e32 v27, 0x80000000, v29
	s_and_b32 vcc_lo, exec_lo, s23
	v_lshlrev_b32_e32 v25, 20, v25
	v_or3_b32 v25, v27, v26, v25
                                        ; implicit-def: $vgpr26
	s_cbranch_vccz .LBB6_13386
; %bb.13373:                            ;   in Loop: Header=BB6_13372 Depth=3
	s_waitcnt vmcnt(0)
	v_cmp_gt_i16_sdwa s73, v12, v61 src0_sel:BYTE_0 src1_sel:DWORD
	s_mov_b32 s17, 0
	s_and_saveexec_b32 s74, s73
	s_xor_b32 s73, exec_lo, s74
	s_cbranch_execz .LBB6_13946
; %bb.13374:                            ;   in Loop: Header=BB6_13372 Depth=3
	v_cmp_eq_u16_sdwa s75, v12, v62 src0_sel:BYTE_0 src1_sel:DWORD
	s_mov_b32 s17, -1
	s_and_saveexec_b32 s74, s75
; %bb.13375:                            ;   in Loop: Header=BB6_13372 Depth=3
	s_xor_b32 s17, exec_lo, -1
; %bb.13376:                            ;   in Loop: Header=BB6_13372 Depth=3
	s_or_b32 exec_lo, exec_lo, s74
	s_and_b32 s17, s17, exec_lo
	s_or_saveexec_b32 s73, s73
	v_mov_b32_e32 v26, 0x7f800001
	s_xor_b32 exec_lo, exec_lo, s73
	s_cbranch_execnz .LBB6_13947
.LBB6_13377:                            ;   in Loop: Header=BB6_13372 Depth=3
	s_or_b32 exec_lo, exec_lo, s73
	s_and_saveexec_b32 s73, s17
	s_cbranch_execz .LBB6_13379
.LBB6_13378:                            ;   in Loop: Header=BB6_13372 Depth=3
	v_and_b32_e32 v26, 7, v12
	v_bfe_u32 v29, v12, 3, 4
	v_lshlrev_b32_e32 v30, 24, v12
	v_ffbh_u32_e32 v27, v26
	v_cmp_eq_u32_e32 vcc_lo, 0, v29
	v_min_u32_e32 v27, 32, v27
	v_subrev_nc_u32_e32 v28, 28, v27
	v_sub_nc_u32_e32 v27, 29, v27
	v_lshlrev_b32_e32 v28, v28, v12
	v_cndmask_b32_e32 v27, v29, v27, vcc_lo
	v_and_b32_e32 v28, 7, v28
	v_lshl_add_u32 v27, v27, 23, 0x3b800000
	v_cndmask_b32_e32 v26, v26, v28, vcc_lo
	v_and_b32_e32 v28, 0x80000000, v30
	v_lshlrev_b32_e32 v26, 20, v26
	v_or3_b32 v26, v28, v27, v26
.LBB6_13379:                            ;   in Loop: Header=BB6_13372 Depth=3
	s_or_b32 exec_lo, exec_lo, s73
	v_cmp_gt_i16_sdwa s73, v8, v61 src0_sel:BYTE_0 src1_sel:DWORD
	s_mov_b32 s17, 0
	s_and_saveexec_b32 s74, s73
	s_xor_b32 s73, exec_lo, s74
	s_cbranch_execz .LBB6_13948
; %bb.13380:                            ;   in Loop: Header=BB6_13372 Depth=3
	v_cmp_eq_u16_sdwa s75, v8, v62 src0_sel:BYTE_0 src1_sel:DWORD
	s_mov_b32 s17, -1
	s_and_saveexec_b32 s74, s75
; %bb.13381:                            ;   in Loop: Header=BB6_13372 Depth=3
	s_xor_b32 s17, exec_lo, -1
; %bb.13382:                            ;   in Loop: Header=BB6_13372 Depth=3
	s_or_b32 exec_lo, exec_lo, s74
	s_and_b32 s17, s17, exec_lo
	s_or_saveexec_b32 s73, s73
	v_mov_b32_e32 v27, 0x7f800001
	s_xor_b32 exec_lo, exec_lo, s73
	s_cbranch_execnz .LBB6_13949
.LBB6_13383:                            ;   in Loop: Header=BB6_13372 Depth=3
	s_or_b32 exec_lo, exec_lo, s73
	s_and_saveexec_b32 s73, s17
.LBB6_13384:                            ;   in Loop: Header=BB6_13372 Depth=3
	v_mov_b32_e32 v27, v25
.LBB6_13385:                            ;   in Loop: Header=BB6_13372 Depth=3
	s_or_b32 exec_lo, exec_lo, s73
	v_max_f32_e32 v27, v27, v27
	v_max_f32_e32 v26, v26, v26
	s_mov_b32 s17, 0
	v_max_f32_e32 v26, v26, v27
.LBB6_13386:                            ;   in Loop: Header=BB6_13372 Depth=3
	s_and_b32 vcc_lo, exec_lo, s17
	s_cbranch_vccz .LBB6_13400
; %bb.13387:                            ;   in Loop: Header=BB6_13372 Depth=3
	s_waitcnt vmcnt(0)
	v_cmp_gt_i16_sdwa s73, v12, v61 src0_sel:BYTE_0 src1_sel:DWORD
	s_mov_b32 s17, 0
	s_and_saveexec_b32 s74, s73
	s_xor_b32 s73, exec_lo, s74
	s_cbranch_execz .LBB6_13950
; %bb.13388:                            ;   in Loop: Header=BB6_13372 Depth=3
	v_cmp_eq_u16_sdwa s75, v12, v62 src0_sel:BYTE_0 src1_sel:DWORD
	s_mov_b32 s17, -1
	s_and_saveexec_b32 s74, s75
; %bb.13389:                            ;   in Loop: Header=BB6_13372 Depth=3
	s_xor_b32 s17, exec_lo, -1
; %bb.13390:                            ;   in Loop: Header=BB6_13372 Depth=3
	s_or_b32 exec_lo, exec_lo, s74
	s_and_b32 s17, s17, exec_lo
	s_or_saveexec_b32 s73, s73
	v_mov_b32_e32 v26, 0x7f800001
	s_xor_b32 exec_lo, exec_lo, s73
	s_cbranch_execnz .LBB6_13951
.LBB6_13391:                            ;   in Loop: Header=BB6_13372 Depth=3
	s_or_b32 exec_lo, exec_lo, s73
	s_and_saveexec_b32 s73, s17
	s_cbranch_execz .LBB6_13393
.LBB6_13392:                            ;   in Loop: Header=BB6_13372 Depth=3
	v_and_b32_e32 v26, 7, v12
	v_bfe_u32 v29, v12, 3, 4
	v_lshlrev_b32_e32 v30, 24, v12
	v_ffbh_u32_e32 v27, v26
	v_cmp_eq_u32_e32 vcc_lo, 0, v29
	v_min_u32_e32 v27, 32, v27
	v_subrev_nc_u32_e32 v28, 28, v27
	v_sub_nc_u32_e32 v27, 29, v27
	v_lshlrev_b32_e32 v28, v28, v12
	v_cndmask_b32_e32 v27, v29, v27, vcc_lo
	v_and_b32_e32 v28, 7, v28
	v_lshl_add_u32 v27, v27, 23, 0x3b800000
	v_cndmask_b32_e32 v26, v26, v28, vcc_lo
	v_and_b32_e32 v28, 0x80000000, v30
	v_lshlrev_b32_e32 v26, 20, v26
	v_or3_b32 v26, v28, v27, v26
.LBB6_13393:                            ;   in Loop: Header=BB6_13372 Depth=3
	s_or_b32 exec_lo, exec_lo, s73
	v_cmp_gt_i16_sdwa s73, v8, v61 src0_sel:BYTE_0 src1_sel:DWORD
	s_mov_b32 s17, 0
	s_and_saveexec_b32 s74, s73
	s_xor_b32 s73, exec_lo, s74
	s_cbranch_execz .LBB6_13952
; %bb.13394:                            ;   in Loop: Header=BB6_13372 Depth=3
	v_cmp_eq_u16_sdwa s75, v8, v62 src0_sel:BYTE_0 src1_sel:DWORD
	s_mov_b32 s17, -1
	s_and_saveexec_b32 s74, s75
; %bb.13395:                            ;   in Loop: Header=BB6_13372 Depth=3
	s_xor_b32 s17, exec_lo, -1
; %bb.13396:                            ;   in Loop: Header=BB6_13372 Depth=3
	s_or_b32 exec_lo, exec_lo, s74
	s_and_b32 s17, s17, exec_lo
	s_or_saveexec_b32 s73, s73
	v_mov_b32_e32 v27, 0x7f800001
	s_xor_b32 exec_lo, exec_lo, s73
	s_cbranch_execnz .LBB6_13953
.LBB6_13397:                            ;   in Loop: Header=BB6_13372 Depth=3
	s_or_b32 exec_lo, exec_lo, s73
	s_and_saveexec_b32 s73, s17
.LBB6_13398:                            ;   in Loop: Header=BB6_13372 Depth=3
	v_mov_b32_e32 v27, v25
.LBB6_13399:                            ;   in Loop: Header=BB6_13372 Depth=3
	s_or_b32 exec_lo, exec_lo, s73
	v_max_f32_e32 v25, v27, v27
	v_max_f32_e32 v26, v26, v26
	v_min_f32_e32 v26, v26, v25
.LBB6_13400:                            ;   in Loop: Header=BB6_13372 Depth=3
	v_and_b32_e32 v25, 0x7f800000, v26
	v_cmp_ne_u32_e32 vcc_lo, 0x7f800000, v25
	v_mov_b32_e32 v25, 0x80
	s_and_saveexec_b32 s73, vcc_lo
	s_cbranch_execz .LBB6_13408
; %bb.13401:                            ;   in Loop: Header=BB6_13372 Depth=3
	v_mov_b32_e32 v25, 0
	s_mov_b32 s74, exec_lo
	v_cmpx_ne_u32_e32 0, v26
	s_cbranch_execz .LBB6_13407
; %bb.13402:                            ;   in Loop: Header=BB6_13372 Depth=3
	v_bfe_u32 v25, v26, 23, 8
	v_and_b32_e32 v27, 0x7fffff, v26
	v_sub_nc_u32_e32 v28, 0x78, v25
	v_cmp_gt_u32_e32 vcc_lo, 0x79, v25
	v_or_b32_e32 v29, 0x800000, v27
	v_cndmask_b32_e32 v28, 0, v28, vcc_lo
	v_cmp_eq_u32_e32 vcc_lo, 0, v25
	v_add_nc_u32_e32 v25, 0xffffff89, v25
	v_cndmask_b32_e64 v28, v28, 0x77, vcc_lo
	v_cndmask_b32_e32 v27, v29, v27, vcc_lo
	v_cndmask_b32_e64 v25, v25, 0xffffff8a, vcc_lo
	v_lshl_add_u32 v29, 0x100000, v28, -1
	v_lshrrev_b32_e32 v30, v28, v27
	v_lshlrev_b32_e64 v32, v28, 0x80000
	v_add_nc_u32_e32 v28, v28, v25
	v_and_b32_e32 v27, v29, v27
	v_bfe_u32 v31, v30, 20, 1
	v_cmp_eq_u32_e64 s17, v27, v32
	v_add_nc_u32_e32 v29, -1, v31
	v_cndmask_b32_e64 v27, 0, v29, s17
	v_lshrrev_b32_e32 v29, 23, v30
	s_mov_b32 s17, exec_lo
	v_add_nc_u32_e32 v27, v27, v30
	v_xor_b32_e32 v29, 1, v29
	v_and_b32_e32 v25, 0xfffff, v27
	v_add_nc_u32_e32 v27, v25, v30
                                        ; implicit-def: $vgpr25
	v_cmpx_ne_u32_e64 v28, v29
	s_xor_b32 s17, exec_lo, s17
; %bb.13403:                            ;   in Loop: Header=BB6_13372 Depth=3
	v_cmp_lt_u32_e32 vcc_lo, 0xffffff, v27
	v_sub_nc_u32_e32 v25, v28, v29
	v_cndmask_b32_e64 v28, 0, 1, vcc_lo
	v_add_co_ci_u32_e64 v25, null, 0, v25, vcc_lo
	v_lshrrev_b32_e32 v27, v28, v27
; %bb.13404:                            ;   in Loop: Header=BB6_13372 Depth=3
	s_andn2_saveexec_b32 s17, s17
; %bb.13405:                            ;   in Loop: Header=BB6_13372 Depth=3
	v_bfe_u32 v25, v27, 23, 1
; %bb.13406:                            ;   in Loop: Header=BB6_13372 Depth=3
	s_or_b32 exec_lo, exec_lo, s17
	v_lshrrev_b32_e32 v27, 20, v27
	v_min_i32_e32 v28, 15, v25
	v_cmp_gt_i32_e32 vcc_lo, 16, v25
	v_and_b32_sdwa v26, v26, v62 dst_sel:DWORD dst_unused:UNUSED_PAD src0_sel:BYTE_3 src1_sel:DWORD
	v_lshlrev_b32_e32 v28, 3, v28
	v_cndmask_b32_e32 v27, 7, v27, vcc_lo
	v_and_b32_e32 v28, 0xf8, v28
	v_and_b32_e32 v29, 7, v27
	v_or_b32_e32 v25, v25, v27
	v_or3_b32 v26, v28, v26, v29
	v_cmp_ne_u32_e32 vcc_lo, 0, v25
	v_cndmask_b32_e32 v25, 0, v26, vcc_lo
.LBB6_13407:                            ;   in Loop: Header=BB6_13372 Depth=3
	s_or_b32 exec_lo, exec_lo, s74
.LBB6_13408:                            ;   in Loop: Header=BB6_13372 Depth=3
	s_or_b32 exec_lo, exec_lo, s73
	v_and_b32_sdwa v26, v63, v8 dst_sel:DWORD dst_unused:UNUSED_PAD src0_sel:DWORD src1_sel:BYTE_1
	s_mov_b32 s17, -1
	v_and_b32_e32 v27, 7, v26
	v_bfe_u32 v30, v26, 3, 4
	v_ffbh_u32_e32 v28, v27
	v_cmp_eq_u32_e32 vcc_lo, 0, v30
	v_min_u32_e32 v28, 32, v28
	v_subrev_nc_u32_e32 v29, 28, v28
	v_sub_nc_u32_e32 v28, 29, v28
	v_lshlrev_b32_e32 v26, v29, v26
	v_lshlrev_b32_sdwa v29, v73, v8 dst_sel:DWORD dst_unused:UNUSED_PAD src0_sel:DWORD src1_sel:BYTE_1
	v_cndmask_b32_e32 v28, v30, v28, vcc_lo
	v_and_b32_e32 v26, 7, v26
	v_lshl_add_u32 v28, v28, 23, 0x3b800000
	v_cndmask_b32_e32 v26, v27, v26, vcc_lo
	v_and_b32_e32 v27, 0x80000000, v29
	s_and_b32 vcc_lo, exec_lo, s23
	v_lshlrev_b32_e32 v26, 20, v26
	v_or3_b32 v26, v27, v28, v26
                                        ; implicit-def: $vgpr27
	s_cbranch_vccz .LBB6_13422
; %bb.13409:                            ;   in Loop: Header=BB6_13372 Depth=3
	s_waitcnt vmcnt(0)
	v_cmp_gt_i16_sdwa s73, v12, v61 src0_sel:BYTE_1 src1_sel:DWORD
	s_mov_b32 s17, 0
	s_and_saveexec_b32 s74, s73
	s_xor_b32 s73, exec_lo, s74
	s_cbranch_execz .LBB6_13954
; %bb.13410:                            ;   in Loop: Header=BB6_13372 Depth=3
	v_cmp_eq_u16_sdwa s75, v12, v62 src0_sel:BYTE_1 src1_sel:DWORD
	s_mov_b32 s17, -1
	s_and_saveexec_b32 s74, s75
; %bb.13411:                            ;   in Loop: Header=BB6_13372 Depth=3
	s_xor_b32 s17, exec_lo, -1
; %bb.13412:                            ;   in Loop: Header=BB6_13372 Depth=3
	s_or_b32 exec_lo, exec_lo, s74
	s_and_b32 s17, s17, exec_lo
	s_or_saveexec_b32 s73, s73
	v_mov_b32_e32 v27, 0x7f800001
	s_xor_b32 exec_lo, exec_lo, s73
	s_cbranch_execnz .LBB6_13955
.LBB6_13413:                            ;   in Loop: Header=BB6_13372 Depth=3
	s_or_b32 exec_lo, exec_lo, s73
	s_and_saveexec_b32 s73, s17
	s_cbranch_execz .LBB6_13415
.LBB6_13414:                            ;   in Loop: Header=BB6_13372 Depth=3
	v_and_b32_sdwa v27, v63, v12 dst_sel:DWORD dst_unused:UNUSED_PAD src0_sel:DWORD src1_sel:BYTE_1
	v_and_b32_e32 v28, 7, v27
	v_bfe_u32 v31, v27, 3, 4
	v_ffbh_u32_e32 v29, v28
	v_cmp_eq_u32_e32 vcc_lo, 0, v31
	v_min_u32_e32 v29, 32, v29
	v_subrev_nc_u32_e32 v30, 28, v29
	v_sub_nc_u32_e32 v29, 29, v29
	v_lshlrev_b32_e32 v27, v30, v27
	v_lshlrev_b32_e32 v30, 16, v12
	v_cndmask_b32_e32 v29, v31, v29, vcc_lo
	v_and_b32_e32 v27, 7, v27
	v_lshl_add_u32 v29, v29, 23, 0x3b800000
	v_cndmask_b32_e32 v27, v28, v27, vcc_lo
	v_and_b32_e32 v28, 0x80000000, v30
	v_lshlrev_b32_e32 v27, 20, v27
	v_or3_b32 v27, v28, v29, v27
.LBB6_13415:                            ;   in Loop: Header=BB6_13372 Depth=3
	s_or_b32 exec_lo, exec_lo, s73
	v_cmp_gt_i16_sdwa s73, v8, v61 src0_sel:BYTE_1 src1_sel:DWORD
	s_mov_b32 s17, 0
	s_and_saveexec_b32 s74, s73
	s_xor_b32 s73, exec_lo, s74
	s_cbranch_execz .LBB6_13956
; %bb.13416:                            ;   in Loop: Header=BB6_13372 Depth=3
	v_cmp_eq_u16_sdwa s75, v8, v62 src0_sel:BYTE_1 src1_sel:DWORD
	s_mov_b32 s17, -1
	s_and_saveexec_b32 s74, s75
; %bb.13417:                            ;   in Loop: Header=BB6_13372 Depth=3
	s_xor_b32 s17, exec_lo, -1
; %bb.13418:                            ;   in Loop: Header=BB6_13372 Depth=3
	s_or_b32 exec_lo, exec_lo, s74
	s_and_b32 s17, s17, exec_lo
	s_or_saveexec_b32 s73, s73
	v_mov_b32_e32 v28, 0x7f800001
	s_xor_b32 exec_lo, exec_lo, s73
	s_cbranch_execnz .LBB6_13957
.LBB6_13419:                            ;   in Loop: Header=BB6_13372 Depth=3
	s_or_b32 exec_lo, exec_lo, s73
	s_and_saveexec_b32 s73, s17
.LBB6_13420:                            ;   in Loop: Header=BB6_13372 Depth=3
	v_mov_b32_e32 v28, v26
.LBB6_13421:                            ;   in Loop: Header=BB6_13372 Depth=3
	s_or_b32 exec_lo, exec_lo, s73
	v_max_f32_e32 v28, v28, v28
	v_max_f32_e32 v27, v27, v27
	s_mov_b32 s17, 0
	v_max_f32_e32 v27, v27, v28
.LBB6_13422:                            ;   in Loop: Header=BB6_13372 Depth=3
	s_and_b32 vcc_lo, exec_lo, s17
	s_cbranch_vccz .LBB6_13436
; %bb.13423:                            ;   in Loop: Header=BB6_13372 Depth=3
	s_waitcnt vmcnt(0)
	v_cmp_gt_i16_sdwa s73, v12, v61 src0_sel:BYTE_1 src1_sel:DWORD
	s_mov_b32 s17, 0
	s_and_saveexec_b32 s74, s73
	s_xor_b32 s73, exec_lo, s74
	s_cbranch_execz .LBB6_13958
; %bb.13424:                            ;   in Loop: Header=BB6_13372 Depth=3
	v_cmp_eq_u16_sdwa s75, v12, v62 src0_sel:BYTE_1 src1_sel:DWORD
	s_mov_b32 s17, -1
	s_and_saveexec_b32 s74, s75
; %bb.13425:                            ;   in Loop: Header=BB6_13372 Depth=3
	s_xor_b32 s17, exec_lo, -1
; %bb.13426:                            ;   in Loop: Header=BB6_13372 Depth=3
	s_or_b32 exec_lo, exec_lo, s74
	s_and_b32 s17, s17, exec_lo
	s_or_saveexec_b32 s73, s73
	v_mov_b32_e32 v27, 0x7f800001
	s_xor_b32 exec_lo, exec_lo, s73
	s_cbranch_execnz .LBB6_13959
.LBB6_13427:                            ;   in Loop: Header=BB6_13372 Depth=3
	s_or_b32 exec_lo, exec_lo, s73
	s_and_saveexec_b32 s73, s17
	s_cbranch_execz .LBB6_13429
.LBB6_13428:                            ;   in Loop: Header=BB6_13372 Depth=3
	v_and_b32_sdwa v27, v63, v12 dst_sel:DWORD dst_unused:UNUSED_PAD src0_sel:DWORD src1_sel:BYTE_1
	v_and_b32_e32 v28, 7, v27
	v_bfe_u32 v31, v27, 3, 4
	v_ffbh_u32_e32 v29, v28
	v_cmp_eq_u32_e32 vcc_lo, 0, v31
	v_min_u32_e32 v29, 32, v29
	v_subrev_nc_u32_e32 v30, 28, v29
	v_sub_nc_u32_e32 v29, 29, v29
	v_lshlrev_b32_e32 v27, v30, v27
	v_lshlrev_b32_e32 v30, 16, v12
	v_cndmask_b32_e32 v29, v31, v29, vcc_lo
	v_and_b32_e32 v27, 7, v27
	v_lshl_add_u32 v29, v29, 23, 0x3b800000
	v_cndmask_b32_e32 v27, v28, v27, vcc_lo
	v_and_b32_e32 v28, 0x80000000, v30
	v_lshlrev_b32_e32 v27, 20, v27
	v_or3_b32 v27, v28, v29, v27
.LBB6_13429:                            ;   in Loop: Header=BB6_13372 Depth=3
	s_or_b32 exec_lo, exec_lo, s73
	v_cmp_gt_i16_sdwa s73, v8, v61 src0_sel:BYTE_1 src1_sel:DWORD
	s_mov_b32 s17, 0
	s_and_saveexec_b32 s74, s73
	s_xor_b32 s73, exec_lo, s74
	s_cbranch_execz .LBB6_13960
; %bb.13430:                            ;   in Loop: Header=BB6_13372 Depth=3
	v_cmp_eq_u16_sdwa s75, v8, v62 src0_sel:BYTE_1 src1_sel:DWORD
	s_mov_b32 s17, -1
	s_and_saveexec_b32 s74, s75
; %bb.13431:                            ;   in Loop: Header=BB6_13372 Depth=3
	s_xor_b32 s17, exec_lo, -1
; %bb.13432:                            ;   in Loop: Header=BB6_13372 Depth=3
	s_or_b32 exec_lo, exec_lo, s74
	s_and_b32 s17, s17, exec_lo
	s_or_saveexec_b32 s73, s73
	v_mov_b32_e32 v28, 0x7f800001
	s_xor_b32 exec_lo, exec_lo, s73
	s_cbranch_execnz .LBB6_13961
.LBB6_13433:                            ;   in Loop: Header=BB6_13372 Depth=3
	s_or_b32 exec_lo, exec_lo, s73
	s_and_saveexec_b32 s73, s17
.LBB6_13434:                            ;   in Loop: Header=BB6_13372 Depth=3
	v_mov_b32_e32 v28, v26
.LBB6_13435:                            ;   in Loop: Header=BB6_13372 Depth=3
	s_or_b32 exec_lo, exec_lo, s73
	v_max_f32_e32 v26, v28, v28
	v_max_f32_e32 v27, v27, v27
	v_min_f32_e32 v27, v27, v26
.LBB6_13436:                            ;   in Loop: Header=BB6_13372 Depth=3
	v_and_b32_e32 v26, 0x7f800000, v27
	v_cmp_ne_u32_e32 vcc_lo, 0x7f800000, v26
	v_mov_b32_e32 v26, 0x8000
	s_and_saveexec_b32 s73, vcc_lo
	s_cbranch_execz .LBB6_13444
; %bb.13437:                            ;   in Loop: Header=BB6_13372 Depth=3
	v_mov_b32_e32 v26, 0
	s_mov_b32 s74, exec_lo
	v_cmpx_ne_u32_e32 0, v27
	s_cbranch_execz .LBB6_13443
; %bb.13438:                            ;   in Loop: Header=BB6_13372 Depth=3
	v_bfe_u32 v26, v27, 23, 8
	v_and_b32_e32 v28, 0x7fffff, v27
	v_sub_nc_u32_e32 v29, 0x78, v26
	v_cmp_gt_u32_e32 vcc_lo, 0x79, v26
	v_or_b32_e32 v30, 0x800000, v28
	v_cndmask_b32_e32 v29, 0, v29, vcc_lo
	v_cmp_eq_u32_e32 vcc_lo, 0, v26
	v_add_nc_u32_e32 v26, 0xffffff89, v26
	v_cndmask_b32_e64 v29, v29, 0x77, vcc_lo
	v_cndmask_b32_e32 v28, v30, v28, vcc_lo
	v_cndmask_b32_e64 v26, v26, 0xffffff8a, vcc_lo
	v_lshl_add_u32 v30, 0x100000, v29, -1
	v_lshrrev_b32_e32 v31, v29, v28
	v_lshlrev_b32_e64 v33, v29, 0x80000
	v_add_nc_u32_e32 v29, v29, v26
	v_and_b32_e32 v28, v30, v28
	v_bfe_u32 v32, v31, 20, 1
	v_cmp_eq_u32_e64 s17, v28, v33
	v_add_nc_u32_e32 v30, -1, v32
	v_cndmask_b32_e64 v28, 0, v30, s17
	v_lshrrev_b32_e32 v30, 23, v31
	s_mov_b32 s17, exec_lo
	v_add_nc_u32_e32 v28, v28, v31
	v_xor_b32_e32 v30, 1, v30
	v_and_b32_e32 v26, 0xfffff, v28
	v_add_nc_u32_e32 v28, v26, v31
                                        ; implicit-def: $vgpr26
	v_cmpx_ne_u32_e64 v29, v30
	s_xor_b32 s17, exec_lo, s17
; %bb.13439:                            ;   in Loop: Header=BB6_13372 Depth=3
	v_cmp_lt_u32_e32 vcc_lo, 0xffffff, v28
	v_sub_nc_u32_e32 v26, v29, v30
	v_cndmask_b32_e64 v29, 0, 1, vcc_lo
	v_add_co_ci_u32_e64 v26, null, 0, v26, vcc_lo
	v_lshrrev_b32_e32 v28, v29, v28
; %bb.13440:                            ;   in Loop: Header=BB6_13372 Depth=3
	s_andn2_saveexec_b32 s17, s17
; %bb.13441:                            ;   in Loop: Header=BB6_13372 Depth=3
	v_bfe_u32 v26, v28, 23, 1
; %bb.13442:                            ;   in Loop: Header=BB6_13372 Depth=3
	s_or_b32 exec_lo, exec_lo, s17
	v_lshrrev_b32_e32 v28, 20, v28
	v_min_i32_e32 v29, 15, v26
	v_cmp_gt_i32_e32 vcc_lo, 16, v26
	v_and_b32_sdwa v27, v27, v62 dst_sel:DWORD dst_unused:UNUSED_PAD src0_sel:BYTE_3 src1_sel:DWORD
	v_lshlrev_b32_e32 v29, 3, v29
	v_cndmask_b32_e32 v28, 7, v28, vcc_lo
	v_and_b32_e32 v29, 0xf8, v29
	v_and_b32_e32 v30, 7, v28
	v_or_b32_e32 v26, v26, v28
	v_or3_b32 v27, v27, v29, v30
	v_cmp_ne_u32_e32 vcc_lo, 0, v26
	v_lshlrev_b32_e32 v27, 8, v27
	v_cndmask_b32_e32 v26, 0, v27, vcc_lo
.LBB6_13443:                            ;   in Loop: Header=BB6_13372 Depth=3
	s_or_b32 exec_lo, exec_lo, s74
.LBB6_13444:                            ;   in Loop: Header=BB6_13372 Depth=3
	s_or_b32 exec_lo, exec_lo, s73
	v_bfe_u32 v27, v8, 16, 3
	v_bfe_u32 v30, v8, 19, 4
	v_lshlrev_b32_e32 v31, 8, v8
	s_mov_b32 s17, -1
	v_ffbh_u32_e32 v28, v27
	v_cmp_eq_u32_e32 vcc_lo, 0, v30
	v_min_u32_e32 v28, 32, v28
	v_subrev_nc_u32_e32 v29, 28, v28
	v_sub_nc_u32_e32 v28, 29, v28
	v_lshlrev_b32_sdwa v29, v29, v8 dst_sel:DWORD dst_unused:UNUSED_PAD src0_sel:DWORD src1_sel:WORD_1
	v_cndmask_b32_e32 v28, v30, v28, vcc_lo
	v_and_b32_e32 v29, 7, v29
	v_lshl_add_u32 v28, v28, 23, 0x3b800000
	v_cndmask_b32_e32 v27, v27, v29, vcc_lo
	v_and_b32_e32 v29, 0x80000000, v31
	s_and_b32 vcc_lo, exec_lo, s23
	v_lshlrev_b32_e32 v27, 20, v27
	v_or3_b32 v27, v29, v28, v27
                                        ; implicit-def: $vgpr28
	s_cbranch_vccz .LBB6_13458
; %bb.13445:                            ;   in Loop: Header=BB6_13372 Depth=3
	s_waitcnt vmcnt(0)
	v_and_b32_sdwa v29, v12, v72 dst_sel:DWORD dst_unused:UNUSED_PAD src0_sel:WORD_1 src1_sel:DWORD
	s_mov_b32 s17, 0
	s_mov_b32 s73, exec_lo
	v_cmpx_lt_i16_e32 0x7f, v29
	s_xor_b32 s73, exec_lo, s73
	s_cbranch_execz .LBB6_13962
; %bb.13446:                            ;   in Loop: Header=BB6_13372 Depth=3
	s_mov_b32 s17, -1
	s_mov_b32 s74, exec_lo
	v_cmpx_eq_u16_e32 0x80, v29
; %bb.13447:                            ;   in Loop: Header=BB6_13372 Depth=3
	s_xor_b32 s17, exec_lo, -1
; %bb.13448:                            ;   in Loop: Header=BB6_13372 Depth=3
	s_or_b32 exec_lo, exec_lo, s74
	s_and_b32 s17, s17, exec_lo
                                        ; implicit-def: $vgpr29
	s_or_saveexec_b32 s73, s73
	v_mov_b32_e32 v28, 0x7f800001
	s_xor_b32 exec_lo, exec_lo, s73
	s_cbranch_execnz .LBB6_13963
.LBB6_13449:                            ;   in Loop: Header=BB6_13372 Depth=3
	s_or_b32 exec_lo, exec_lo, s73
	s_and_saveexec_b32 s73, s17
	s_cbranch_execz .LBB6_13451
.LBB6_13450:                            ;   in Loop: Header=BB6_13372 Depth=3
	v_bfe_u32 v28, v12, 16, 3
	v_bfe_u32 v31, v12, 19, 4
	v_lshlrev_b32_sdwa v32, v73, v12 dst_sel:DWORD dst_unused:UNUSED_PAD src0_sel:DWORD src1_sel:WORD_1
	v_ffbh_u32_e32 v29, v28
	v_cmp_eq_u32_e32 vcc_lo, 0, v31
	v_min_u32_e32 v29, 32, v29
	v_subrev_nc_u32_e32 v30, 28, v29
	v_sub_nc_u32_e32 v29, 29, v29
	v_lshlrev_b32_sdwa v30, v30, v12 dst_sel:DWORD dst_unused:UNUSED_PAD src0_sel:DWORD src1_sel:WORD_1
	v_cndmask_b32_e32 v29, v31, v29, vcc_lo
	v_and_b32_e32 v30, 7, v30
	v_lshl_add_u32 v29, v29, 23, 0x3b800000
	v_cndmask_b32_e32 v28, v28, v30, vcc_lo
	v_and_b32_e32 v30, 0x80000000, v32
	v_lshlrev_b32_e32 v28, 20, v28
	v_or3_b32 v28, v30, v29, v28
.LBB6_13451:                            ;   in Loop: Header=BB6_13372 Depth=3
	s_or_b32 exec_lo, exec_lo, s73
	v_and_b32_sdwa v30, v8, v72 dst_sel:DWORD dst_unused:UNUSED_PAD src0_sel:WORD_1 src1_sel:DWORD
	s_mov_b32 s17, 0
	s_mov_b32 s73, exec_lo
	v_cmpx_lt_i16_e32 0x7f, v30
	s_xor_b32 s73, exec_lo, s73
	s_cbranch_execz .LBB6_13964
; %bb.13452:                            ;   in Loop: Header=BB6_13372 Depth=3
	s_mov_b32 s17, -1
	s_mov_b32 s74, exec_lo
	v_cmpx_eq_u16_e32 0x80, v30
; %bb.13453:                            ;   in Loop: Header=BB6_13372 Depth=3
	s_xor_b32 s17, exec_lo, -1
; %bb.13454:                            ;   in Loop: Header=BB6_13372 Depth=3
	s_or_b32 exec_lo, exec_lo, s74
	s_and_b32 s17, s17, exec_lo
                                        ; implicit-def: $vgpr30
	s_or_saveexec_b32 s73, s73
	v_mov_b32_e32 v29, 0x7f800001
	s_xor_b32 exec_lo, exec_lo, s73
	s_cbranch_execnz .LBB6_13965
.LBB6_13455:                            ;   in Loop: Header=BB6_13372 Depth=3
	s_or_b32 exec_lo, exec_lo, s73
	s_and_saveexec_b32 s73, s17
.LBB6_13456:                            ;   in Loop: Header=BB6_13372 Depth=3
	v_mov_b32_e32 v29, v27
.LBB6_13457:                            ;   in Loop: Header=BB6_13372 Depth=3
	s_or_b32 exec_lo, exec_lo, s73
	v_max_f32_e32 v29, v29, v29
	v_max_f32_e32 v28, v28, v28
	s_mov_b32 s17, 0
	v_max_f32_e32 v28, v28, v29
.LBB6_13458:                            ;   in Loop: Header=BB6_13372 Depth=3
	s_and_b32 vcc_lo, exec_lo, s17
	s_cbranch_vccz .LBB6_13472
; %bb.13459:                            ;   in Loop: Header=BB6_13372 Depth=3
	s_waitcnt vmcnt(0)
	v_and_b32_sdwa v29, v12, v72 dst_sel:DWORD dst_unused:UNUSED_PAD src0_sel:WORD_1 src1_sel:DWORD
	s_mov_b32 s17, 0
	s_mov_b32 s73, exec_lo
	v_cmpx_lt_i16_e32 0x7f, v29
	s_xor_b32 s73, exec_lo, s73
	s_cbranch_execz .LBB6_13966
; %bb.13460:                            ;   in Loop: Header=BB6_13372 Depth=3
	s_mov_b32 s17, -1
	s_mov_b32 s74, exec_lo
	v_cmpx_eq_u16_e32 0x80, v29
; %bb.13461:                            ;   in Loop: Header=BB6_13372 Depth=3
	s_xor_b32 s17, exec_lo, -1
; %bb.13462:                            ;   in Loop: Header=BB6_13372 Depth=3
	s_or_b32 exec_lo, exec_lo, s74
	s_and_b32 s17, s17, exec_lo
                                        ; implicit-def: $vgpr29
	s_or_saveexec_b32 s73, s73
	v_mov_b32_e32 v28, 0x7f800001
	s_xor_b32 exec_lo, exec_lo, s73
	s_cbranch_execnz .LBB6_13967
.LBB6_13463:                            ;   in Loop: Header=BB6_13372 Depth=3
	s_or_b32 exec_lo, exec_lo, s73
	s_and_saveexec_b32 s73, s17
	s_cbranch_execz .LBB6_13465
.LBB6_13464:                            ;   in Loop: Header=BB6_13372 Depth=3
	v_bfe_u32 v28, v12, 16, 3
	v_bfe_u32 v31, v12, 19, 4
	v_lshlrev_b32_sdwa v32, v73, v12 dst_sel:DWORD dst_unused:UNUSED_PAD src0_sel:DWORD src1_sel:WORD_1
	v_ffbh_u32_e32 v29, v28
	v_cmp_eq_u32_e32 vcc_lo, 0, v31
	v_min_u32_e32 v29, 32, v29
	v_subrev_nc_u32_e32 v30, 28, v29
	v_sub_nc_u32_e32 v29, 29, v29
	v_lshlrev_b32_sdwa v30, v30, v12 dst_sel:DWORD dst_unused:UNUSED_PAD src0_sel:DWORD src1_sel:WORD_1
	v_cndmask_b32_e32 v29, v31, v29, vcc_lo
	v_and_b32_e32 v30, 7, v30
	v_lshl_add_u32 v29, v29, 23, 0x3b800000
	v_cndmask_b32_e32 v28, v28, v30, vcc_lo
	v_and_b32_e32 v30, 0x80000000, v32
	v_lshlrev_b32_e32 v28, 20, v28
	v_or3_b32 v28, v30, v29, v28
.LBB6_13465:                            ;   in Loop: Header=BB6_13372 Depth=3
	s_or_b32 exec_lo, exec_lo, s73
	v_and_b32_sdwa v30, v8, v72 dst_sel:DWORD dst_unused:UNUSED_PAD src0_sel:WORD_1 src1_sel:DWORD
	s_mov_b32 s17, 0
	s_mov_b32 s73, exec_lo
	v_cmpx_lt_i16_e32 0x7f, v30
	s_xor_b32 s73, exec_lo, s73
	s_cbranch_execz .LBB6_13968
; %bb.13466:                            ;   in Loop: Header=BB6_13372 Depth=3
	s_mov_b32 s17, -1
	s_mov_b32 s74, exec_lo
	v_cmpx_eq_u16_e32 0x80, v30
; %bb.13467:                            ;   in Loop: Header=BB6_13372 Depth=3
	s_xor_b32 s17, exec_lo, -1
; %bb.13468:                            ;   in Loop: Header=BB6_13372 Depth=3
	s_or_b32 exec_lo, exec_lo, s74
	s_and_b32 s17, s17, exec_lo
                                        ; implicit-def: $vgpr30
	s_or_saveexec_b32 s73, s73
	v_mov_b32_e32 v29, 0x7f800001
	s_xor_b32 exec_lo, exec_lo, s73
	s_cbranch_execnz .LBB6_13969
.LBB6_13469:                            ;   in Loop: Header=BB6_13372 Depth=3
	s_or_b32 exec_lo, exec_lo, s73
	s_and_saveexec_b32 s73, s17
.LBB6_13470:                            ;   in Loop: Header=BB6_13372 Depth=3
	v_mov_b32_e32 v29, v27
.LBB6_13471:                            ;   in Loop: Header=BB6_13372 Depth=3
	s_or_b32 exec_lo, exec_lo, s73
	v_max_f32_e32 v27, v29, v29
	v_max_f32_e32 v28, v28, v28
	v_min_f32_e32 v28, v28, v27
.LBB6_13472:                            ;   in Loop: Header=BB6_13372 Depth=3
	v_and_b32_e32 v27, 0x7f800000, v28
	v_cmp_ne_u32_e32 vcc_lo, 0x7f800000, v27
	v_mov_b32_e32 v27, 0x80
	s_and_saveexec_b32 s73, vcc_lo
	s_cbranch_execz .LBB6_13480
; %bb.13473:                            ;   in Loop: Header=BB6_13372 Depth=3
	v_mov_b32_e32 v27, 0
	s_mov_b32 s74, exec_lo
	v_cmpx_ne_u32_e32 0, v28
	s_cbranch_execz .LBB6_13479
; %bb.13474:                            ;   in Loop: Header=BB6_13372 Depth=3
	v_bfe_u32 v27, v28, 23, 8
	v_and_b32_e32 v29, 0x7fffff, v28
	v_sub_nc_u32_e32 v30, 0x78, v27
	v_cmp_gt_u32_e32 vcc_lo, 0x79, v27
	v_or_b32_e32 v31, 0x800000, v29
	v_cndmask_b32_e32 v30, 0, v30, vcc_lo
	v_cmp_eq_u32_e32 vcc_lo, 0, v27
	v_add_nc_u32_e32 v27, 0xffffff89, v27
	v_cndmask_b32_e64 v30, v30, 0x77, vcc_lo
	v_cndmask_b32_e32 v29, v31, v29, vcc_lo
	v_cndmask_b32_e64 v27, v27, 0xffffff8a, vcc_lo
	v_lshl_add_u32 v31, 0x100000, v30, -1
	v_lshrrev_b32_e32 v32, v30, v29
	v_lshlrev_b32_e64 v34, v30, 0x80000
	v_add_nc_u32_e32 v30, v30, v27
	v_and_b32_e32 v29, v31, v29
	v_bfe_u32 v33, v32, 20, 1
	v_cmp_eq_u32_e64 s17, v29, v34
	v_add_nc_u32_e32 v31, -1, v33
	v_cndmask_b32_e64 v29, 0, v31, s17
	v_lshrrev_b32_e32 v31, 23, v32
	s_mov_b32 s17, exec_lo
	v_add_nc_u32_e32 v29, v29, v32
	v_xor_b32_e32 v31, 1, v31
	v_and_b32_e32 v27, 0xfffff, v29
	v_add_nc_u32_e32 v29, v27, v32
                                        ; implicit-def: $vgpr27
	v_cmpx_ne_u32_e64 v30, v31
	s_xor_b32 s17, exec_lo, s17
; %bb.13475:                            ;   in Loop: Header=BB6_13372 Depth=3
	v_cmp_lt_u32_e32 vcc_lo, 0xffffff, v29
	v_sub_nc_u32_e32 v27, v30, v31
	v_cndmask_b32_e64 v30, 0, 1, vcc_lo
	v_add_co_ci_u32_e64 v27, null, 0, v27, vcc_lo
	v_lshrrev_b32_e32 v29, v30, v29
; %bb.13476:                            ;   in Loop: Header=BB6_13372 Depth=3
	s_andn2_saveexec_b32 s17, s17
; %bb.13477:                            ;   in Loop: Header=BB6_13372 Depth=3
	v_bfe_u32 v27, v29, 23, 1
; %bb.13478:                            ;   in Loop: Header=BB6_13372 Depth=3
	s_or_b32 exec_lo, exec_lo, s17
	v_lshrrev_b32_e32 v29, 20, v29
	v_min_i32_e32 v30, 15, v27
	v_cmp_gt_i32_e32 vcc_lo, 16, v27
	v_and_b32_sdwa v28, v28, v62 dst_sel:DWORD dst_unused:UNUSED_PAD src0_sel:BYTE_3 src1_sel:DWORD
	v_lshlrev_b32_e32 v30, 3, v30
	v_cndmask_b32_e32 v29, 7, v29, vcc_lo
	v_and_b32_e32 v30, 0xf8, v30
	v_and_b32_e32 v31, 7, v29
	v_or_b32_e32 v27, v27, v29
	v_or3_b32 v28, v30, v28, v31
	v_cmp_ne_u32_e32 vcc_lo, 0, v27
	v_cndmask_b32_e32 v27, 0, v28, vcc_lo
.LBB6_13479:                            ;   in Loop: Header=BB6_13372 Depth=3
	s_or_b32 exec_lo, exec_lo, s74
.LBB6_13480:                            ;   in Loop: Header=BB6_13372 Depth=3
	s_or_b32 exec_lo, exec_lo, s73
	v_bfe_u32 v28, v8, 24, 3
	v_bfe_u32 v31, v8, 27, 4
	s_mov_b32 s17, -1
	v_ffbh_u32_e32 v29, v28
	v_cmp_eq_u32_e32 vcc_lo, 0, v31
	v_min_u32_e32 v29, 32, v29
	v_subrev_nc_u32_e32 v30, 28, v29
	v_sub_nc_u32_e32 v29, 29, v29
	v_lshlrev_b32_sdwa v30, v30, v8 dst_sel:DWORD dst_unused:UNUSED_PAD src0_sel:DWORD src1_sel:BYTE_3
	v_cndmask_b32_e32 v29, v31, v29, vcc_lo
	v_and_b32_e32 v30, 7, v30
	v_lshl_add_u32 v29, v29, 23, 0x3b800000
	v_cndmask_b32_e32 v28, v28, v30, vcc_lo
	v_and_b32_e32 v30, 0x80000000, v8
	s_and_b32 vcc_lo, exec_lo, s23
	v_lshlrev_b32_e32 v28, 20, v28
	v_or3_b32 v28, v30, v29, v28
                                        ; implicit-def: $vgpr29
	s_cbranch_vccz .LBB6_13494
; %bb.13481:                            ;   in Loop: Header=BB6_13372 Depth=3
	s_waitcnt vmcnt(0)
	v_cmp_gt_i16_sdwa s73, v12, v61 src0_sel:BYTE_3 src1_sel:DWORD
	s_mov_b32 s17, 0
	s_and_saveexec_b32 s74, s73
	s_xor_b32 s73, exec_lo, s74
	s_cbranch_execz .LBB6_13970
; %bb.13482:                            ;   in Loop: Header=BB6_13372 Depth=3
	v_cmp_eq_u16_sdwa s75, v12, v62 src0_sel:BYTE_3 src1_sel:DWORD
	s_mov_b32 s17, -1
	s_and_saveexec_b32 s74, s75
; %bb.13483:                            ;   in Loop: Header=BB6_13372 Depth=3
	s_xor_b32 s17, exec_lo, -1
; %bb.13484:                            ;   in Loop: Header=BB6_13372 Depth=3
	s_or_b32 exec_lo, exec_lo, s74
	s_and_b32 s17, s17, exec_lo
	s_or_saveexec_b32 s73, s73
	v_mov_b32_e32 v29, 0x7f800001
	s_xor_b32 exec_lo, exec_lo, s73
	s_cbranch_execnz .LBB6_13971
.LBB6_13485:                            ;   in Loop: Header=BB6_13372 Depth=3
	s_or_b32 exec_lo, exec_lo, s73
	s_and_saveexec_b32 s73, s17
	s_cbranch_execz .LBB6_13487
.LBB6_13486:                            ;   in Loop: Header=BB6_13372 Depth=3
	v_bfe_u32 v29, v12, 24, 3
	v_bfe_u32 v32, v12, 27, 4
	v_ffbh_u32_e32 v30, v29
	v_cmp_eq_u32_e32 vcc_lo, 0, v32
	v_min_u32_e32 v30, 32, v30
	v_subrev_nc_u32_e32 v31, 28, v30
	v_sub_nc_u32_e32 v30, 29, v30
	v_lshlrev_b32_sdwa v31, v31, v12 dst_sel:DWORD dst_unused:UNUSED_PAD src0_sel:DWORD src1_sel:BYTE_3
	v_cndmask_b32_e32 v30, v32, v30, vcc_lo
	v_and_b32_e32 v31, 7, v31
	v_lshl_add_u32 v30, v30, 23, 0x3b800000
	v_cndmask_b32_e32 v29, v29, v31, vcc_lo
	v_and_b32_e32 v31, 0x80000000, v12
	v_lshlrev_b32_e32 v29, 20, v29
	v_or3_b32 v29, v31, v30, v29
.LBB6_13487:                            ;   in Loop: Header=BB6_13372 Depth=3
	s_or_b32 exec_lo, exec_lo, s73
	v_cmp_gt_i16_sdwa s73, v8, v61 src0_sel:BYTE_3 src1_sel:DWORD
	s_mov_b32 s17, 0
	s_and_saveexec_b32 s74, s73
	s_xor_b32 s73, exec_lo, s74
	s_cbranch_execz .LBB6_13972
; %bb.13488:                            ;   in Loop: Header=BB6_13372 Depth=3
	v_cmp_eq_u16_sdwa s75, v8, v62 src0_sel:BYTE_3 src1_sel:DWORD
	s_mov_b32 s17, -1
	s_and_saveexec_b32 s74, s75
; %bb.13489:                            ;   in Loop: Header=BB6_13372 Depth=3
	s_xor_b32 s17, exec_lo, -1
; %bb.13490:                            ;   in Loop: Header=BB6_13372 Depth=3
	s_or_b32 exec_lo, exec_lo, s74
	s_and_b32 s17, s17, exec_lo
	s_or_saveexec_b32 s73, s73
	v_mov_b32_e32 v30, 0x7f800001
	s_xor_b32 exec_lo, exec_lo, s73
	s_cbranch_execnz .LBB6_13973
.LBB6_13491:                            ;   in Loop: Header=BB6_13372 Depth=3
	s_or_b32 exec_lo, exec_lo, s73
	s_and_saveexec_b32 s73, s17
.LBB6_13492:                            ;   in Loop: Header=BB6_13372 Depth=3
	v_mov_b32_e32 v30, v28
.LBB6_13493:                            ;   in Loop: Header=BB6_13372 Depth=3
	s_or_b32 exec_lo, exec_lo, s73
	v_max_f32_e32 v30, v30, v30
	v_max_f32_e32 v29, v29, v29
	s_mov_b32 s17, 0
	v_max_f32_e32 v29, v29, v30
.LBB6_13494:                            ;   in Loop: Header=BB6_13372 Depth=3
	s_and_b32 vcc_lo, exec_lo, s17
	s_cbranch_vccz .LBB6_13508
; %bb.13495:                            ;   in Loop: Header=BB6_13372 Depth=3
	s_waitcnt vmcnt(0)
	v_cmp_gt_i16_sdwa s73, v12, v61 src0_sel:BYTE_3 src1_sel:DWORD
	s_mov_b32 s17, 0
	s_and_saveexec_b32 s74, s73
	s_xor_b32 s73, exec_lo, s74
	s_cbranch_execz .LBB6_13974
; %bb.13496:                            ;   in Loop: Header=BB6_13372 Depth=3
	v_cmp_eq_u16_sdwa s75, v12, v62 src0_sel:BYTE_3 src1_sel:DWORD
	s_mov_b32 s17, -1
	s_and_saveexec_b32 s74, s75
; %bb.13497:                            ;   in Loop: Header=BB6_13372 Depth=3
	s_xor_b32 s17, exec_lo, -1
; %bb.13498:                            ;   in Loop: Header=BB6_13372 Depth=3
	s_or_b32 exec_lo, exec_lo, s74
	s_and_b32 s17, s17, exec_lo
	s_or_saveexec_b32 s73, s73
	v_mov_b32_e32 v29, 0x7f800001
	s_xor_b32 exec_lo, exec_lo, s73
	s_cbranch_execnz .LBB6_13975
.LBB6_13499:                            ;   in Loop: Header=BB6_13372 Depth=3
	s_or_b32 exec_lo, exec_lo, s73
	s_and_saveexec_b32 s73, s17
	s_cbranch_execz .LBB6_13501
.LBB6_13500:                            ;   in Loop: Header=BB6_13372 Depth=3
	v_bfe_u32 v29, v12, 24, 3
	v_bfe_u32 v32, v12, 27, 4
	v_ffbh_u32_e32 v30, v29
	v_cmp_eq_u32_e32 vcc_lo, 0, v32
	v_min_u32_e32 v30, 32, v30
	v_subrev_nc_u32_e32 v31, 28, v30
	v_sub_nc_u32_e32 v30, 29, v30
	v_lshlrev_b32_sdwa v31, v31, v12 dst_sel:DWORD dst_unused:UNUSED_PAD src0_sel:DWORD src1_sel:BYTE_3
	v_cndmask_b32_e32 v30, v32, v30, vcc_lo
	v_and_b32_e32 v12, 0x80000000, v12
	v_and_b32_e32 v31, 7, v31
	v_lshl_add_u32 v30, v30, 23, 0x3b800000
	v_cndmask_b32_e32 v29, v29, v31, vcc_lo
	v_lshlrev_b32_e32 v29, 20, v29
	v_or3_b32 v29, v12, v30, v29
.LBB6_13501:                            ;   in Loop: Header=BB6_13372 Depth=3
	s_or_b32 exec_lo, exec_lo, s73
	v_cmp_gt_i16_sdwa s73, v8, v61 src0_sel:BYTE_3 src1_sel:DWORD
	s_mov_b32 s17, 0
	s_and_saveexec_b32 s74, s73
	s_xor_b32 s73, exec_lo, s74
	s_cbranch_execz .LBB6_13976
; %bb.13502:                            ;   in Loop: Header=BB6_13372 Depth=3
	v_cmp_eq_u16_sdwa s75, v8, v62 src0_sel:BYTE_3 src1_sel:DWORD
	s_mov_b32 s17, -1
	s_and_saveexec_b32 s74, s75
; %bb.13503:                            ;   in Loop: Header=BB6_13372 Depth=3
	s_xor_b32 s17, exec_lo, -1
; %bb.13504:                            ;   in Loop: Header=BB6_13372 Depth=3
	s_or_b32 exec_lo, exec_lo, s74
	s_and_b32 s17, s17, exec_lo
	s_or_saveexec_b32 s73, s73
	v_mov_b32_e32 v12, 0x7f800001
	s_xor_b32 exec_lo, exec_lo, s73
	s_cbranch_execnz .LBB6_13977
.LBB6_13505:                            ;   in Loop: Header=BB6_13372 Depth=3
	s_or_b32 exec_lo, exec_lo, s73
	s_and_saveexec_b32 s73, s17
.LBB6_13506:                            ;   in Loop: Header=BB6_13372 Depth=3
	v_mov_b32_e32 v12, v28
.LBB6_13507:                            ;   in Loop: Header=BB6_13372 Depth=3
	s_or_b32 exec_lo, exec_lo, s73
	v_max_f32_e32 v8, v12, v12
	v_max_f32_e32 v12, v29, v29
	v_min_f32_e32 v29, v12, v8
.LBB6_13508:                            ;   in Loop: Header=BB6_13372 Depth=3
	v_and_b32_e32 v8, 0x7f800000, v29
	s_waitcnt vmcnt(0)
	v_mov_b32_e32 v12, 0x8000
	s_mov_b32 s73, exec_lo
	v_cmpx_ne_u32_e32 0x7f800000, v8
	s_cbranch_execz .LBB6_13516
; %bb.13509:                            ;   in Loop: Header=BB6_13372 Depth=3
	v_mov_b32_e32 v12, 0
	s_mov_b32 s74, exec_lo
	v_cmpx_ne_u32_e32 0, v29
	s_cbranch_execz .LBB6_13515
; %bb.13510:                            ;   in Loop: Header=BB6_13372 Depth=3
	v_bfe_u32 v8, v29, 23, 8
	v_and_b32_e32 v12, 0x7fffff, v29
	v_sub_nc_u32_e32 v28, 0x78, v8
	v_cmp_gt_u32_e32 vcc_lo, 0x79, v8
	v_or_b32_e32 v30, 0x800000, v12
	v_cndmask_b32_e32 v28, 0, v28, vcc_lo
	v_cmp_eq_u32_e32 vcc_lo, 0, v8
	v_add_nc_u32_e32 v8, 0xffffff89, v8
	v_cndmask_b32_e64 v28, v28, 0x77, vcc_lo
	v_cndmask_b32_e32 v12, v30, v12, vcc_lo
	v_cndmask_b32_e64 v8, v8, 0xffffff8a, vcc_lo
	v_lshl_add_u32 v30, 0x100000, v28, -1
	v_lshrrev_b32_e32 v31, v28, v12
	v_lshlrev_b32_e64 v33, v28, 0x80000
	v_add_nc_u32_e32 v28, v28, v8
	v_and_b32_e32 v12, v30, v12
	v_bfe_u32 v32, v31, 20, 1
	v_cmp_eq_u32_e64 s17, v12, v33
	v_add_nc_u32_e32 v30, -1, v32
	v_cndmask_b32_e64 v12, 0, v30, s17
	v_lshrrev_b32_e32 v30, 23, v31
	s_mov_b32 s17, exec_lo
	v_add_nc_u32_e32 v12, v12, v31
	v_xor_b32_e32 v30, 1, v30
	v_and_b32_e32 v8, 0xfffff, v12
	v_add_nc_u32_e32 v12, v8, v31
                                        ; implicit-def: $vgpr8
	v_cmpx_ne_u32_e64 v28, v30
	s_xor_b32 s17, exec_lo, s17
; %bb.13511:                            ;   in Loop: Header=BB6_13372 Depth=3
	v_cmp_lt_u32_e32 vcc_lo, 0xffffff, v12
	v_sub_nc_u32_e32 v8, v28, v30
	v_cndmask_b32_e64 v28, 0, 1, vcc_lo
	v_add_co_ci_u32_e64 v8, null, 0, v8, vcc_lo
	v_lshrrev_b32_e32 v12, v28, v12
; %bb.13512:                            ;   in Loop: Header=BB6_13372 Depth=3
	s_andn2_saveexec_b32 s17, s17
; %bb.13513:                            ;   in Loop: Header=BB6_13372 Depth=3
	v_bfe_u32 v8, v12, 23, 1
; %bb.13514:                            ;   in Loop: Header=BB6_13372 Depth=3
	s_or_b32 exec_lo, exec_lo, s17
	v_lshrrev_b32_e32 v12, 20, v12
	v_min_i32_e32 v28, 15, v8
	v_cmp_gt_i32_e32 vcc_lo, 16, v8
	v_and_b32_sdwa v29, v29, v62 dst_sel:DWORD dst_unused:UNUSED_PAD src0_sel:BYTE_3 src1_sel:DWORD
	v_lshlrev_b32_e32 v28, 3, v28
	v_cndmask_b32_e32 v12, 7, v12, vcc_lo
	v_and_b32_e32 v28, 0xf8, v28
	v_and_b32_e32 v30, 7, v12
	v_or_b32_e32 v8, v8, v12
	v_or3_b32 v28, v29, v28, v30
	v_cmp_ne_u32_e32 vcc_lo, 0, v8
	v_lshlrev_b32_e32 v12, 8, v28
	v_cndmask_b32_e32 v12, 0, v12, vcc_lo
.LBB6_13515:                            ;   in Loop: Header=BB6_13372 Depth=3
	s_or_b32 exec_lo, exec_lo, s74
.LBB6_13516:                            ;   in Loop: Header=BB6_13372 Depth=3
	s_or_b32 exec_lo, exec_lo, s73
	v_and_b32_e32 v8, 7, v9
	v_bfe_u32 v30, v9, 3, 4
	v_lshlrev_b32_e32 v31, 24, v9
	s_mov_b32 s17, -1
	v_ffbh_u32_e32 v28, v8
	v_cmp_eq_u32_e32 vcc_lo, 0, v30
	v_min_u32_e32 v28, 32, v28
	v_subrev_nc_u32_e32 v29, 28, v28
	v_sub_nc_u32_e32 v28, 29, v28
	v_lshlrev_b32_e32 v29, v29, v9
	v_cndmask_b32_e32 v28, v30, v28, vcc_lo
	v_and_b32_e32 v29, 7, v29
	v_lshl_add_u32 v28, v28, 23, 0x3b800000
	v_cndmask_b32_e32 v8, v8, v29, vcc_lo
	v_and_b32_e32 v29, 0x80000000, v31
	s_and_b32 vcc_lo, exec_lo, s23
	v_lshlrev_b32_e32 v8, 20, v8
	v_or3_b32 v8, v29, v28, v8
                                        ; implicit-def: $vgpr29
	s_cbranch_vccz .LBB6_13530
; %bb.13517:                            ;   in Loop: Header=BB6_13372 Depth=3
	v_cmp_gt_i16_sdwa s73, v13, v61 src0_sel:BYTE_0 src1_sel:DWORD
	s_mov_b32 s17, 0
	s_and_saveexec_b32 s74, s73
	s_xor_b32 s73, exec_lo, s74
	s_cbranch_execz .LBB6_13978
; %bb.13518:                            ;   in Loop: Header=BB6_13372 Depth=3
	v_cmp_eq_u16_sdwa s75, v13, v62 src0_sel:BYTE_0 src1_sel:DWORD
	s_mov_b32 s17, -1
	s_and_saveexec_b32 s74, s75
; %bb.13519:                            ;   in Loop: Header=BB6_13372 Depth=3
	s_xor_b32 s17, exec_lo, -1
; %bb.13520:                            ;   in Loop: Header=BB6_13372 Depth=3
	s_or_b32 exec_lo, exec_lo, s74
	s_and_b32 s17, s17, exec_lo
	s_or_saveexec_b32 s73, s73
	v_mov_b32_e32 v28, 0x7f800001
	s_xor_b32 exec_lo, exec_lo, s73
	s_cbranch_execnz .LBB6_13979
.LBB6_13521:                            ;   in Loop: Header=BB6_13372 Depth=3
	s_or_b32 exec_lo, exec_lo, s73
	s_and_saveexec_b32 s73, s17
	s_cbranch_execz .LBB6_13523
.LBB6_13522:                            ;   in Loop: Header=BB6_13372 Depth=3
	v_and_b32_e32 v28, 7, v13
	v_bfe_u32 v31, v13, 3, 4
	v_lshlrev_b32_e32 v32, 24, v13
	v_ffbh_u32_e32 v29, v28
	v_cmp_eq_u32_e32 vcc_lo, 0, v31
	v_min_u32_e32 v29, 32, v29
	v_subrev_nc_u32_e32 v30, 28, v29
	v_sub_nc_u32_e32 v29, 29, v29
	v_lshlrev_b32_e32 v30, v30, v13
	v_cndmask_b32_e32 v29, v31, v29, vcc_lo
	v_and_b32_e32 v30, 7, v30
	v_lshl_add_u32 v29, v29, 23, 0x3b800000
	v_cndmask_b32_e32 v28, v28, v30, vcc_lo
	v_and_b32_e32 v30, 0x80000000, v32
	v_lshlrev_b32_e32 v28, 20, v28
	v_or3_b32 v28, v30, v29, v28
.LBB6_13523:                            ;   in Loop: Header=BB6_13372 Depth=3
	s_or_b32 exec_lo, exec_lo, s73
	v_cmp_gt_i16_sdwa s73, v9, v61 src0_sel:BYTE_0 src1_sel:DWORD
	s_mov_b32 s17, 0
	s_and_saveexec_b32 s74, s73
	s_xor_b32 s73, exec_lo, s74
	s_cbranch_execz .LBB6_13980
; %bb.13524:                            ;   in Loop: Header=BB6_13372 Depth=3
	v_cmp_eq_u16_sdwa s75, v9, v62 src0_sel:BYTE_0 src1_sel:DWORD
	s_mov_b32 s17, -1
	s_and_saveexec_b32 s74, s75
; %bb.13525:                            ;   in Loop: Header=BB6_13372 Depth=3
	s_xor_b32 s17, exec_lo, -1
; %bb.13526:                            ;   in Loop: Header=BB6_13372 Depth=3
	s_or_b32 exec_lo, exec_lo, s74
	s_and_b32 s17, s17, exec_lo
	s_or_saveexec_b32 s73, s73
	v_mov_b32_e32 v29, 0x7f800001
	s_xor_b32 exec_lo, exec_lo, s73
	s_cbranch_execnz .LBB6_13981
.LBB6_13527:                            ;   in Loop: Header=BB6_13372 Depth=3
	s_or_b32 exec_lo, exec_lo, s73
	s_and_saveexec_b32 s73, s17
.LBB6_13528:                            ;   in Loop: Header=BB6_13372 Depth=3
	v_mov_b32_e32 v29, v8
.LBB6_13529:                            ;   in Loop: Header=BB6_13372 Depth=3
	s_or_b32 exec_lo, exec_lo, s73
	v_max_f32_e32 v29, v29, v29
	v_max_f32_e32 v28, v28, v28
	s_mov_b32 s17, 0
	v_max_f32_e32 v29, v28, v29
.LBB6_13530:                            ;   in Loop: Header=BB6_13372 Depth=3
	s_and_b32 vcc_lo, exec_lo, s17
	s_cbranch_vccz .LBB6_13544
; %bb.13531:                            ;   in Loop: Header=BB6_13372 Depth=3
	v_cmp_gt_i16_sdwa s73, v13, v61 src0_sel:BYTE_0 src1_sel:DWORD
	s_mov_b32 s17, 0
	s_and_saveexec_b32 s74, s73
	s_xor_b32 s73, exec_lo, s74
	s_cbranch_execz .LBB6_13982
; %bb.13532:                            ;   in Loop: Header=BB6_13372 Depth=3
	v_cmp_eq_u16_sdwa s75, v13, v62 src0_sel:BYTE_0 src1_sel:DWORD
	s_mov_b32 s17, -1
	s_and_saveexec_b32 s74, s75
; %bb.13533:                            ;   in Loop: Header=BB6_13372 Depth=3
	s_xor_b32 s17, exec_lo, -1
; %bb.13534:                            ;   in Loop: Header=BB6_13372 Depth=3
	s_or_b32 exec_lo, exec_lo, s74
	s_and_b32 s17, s17, exec_lo
	s_or_saveexec_b32 s73, s73
	v_mov_b32_e32 v28, 0x7f800001
	s_xor_b32 exec_lo, exec_lo, s73
	s_cbranch_execnz .LBB6_13983
.LBB6_13535:                            ;   in Loop: Header=BB6_13372 Depth=3
	s_or_b32 exec_lo, exec_lo, s73
	s_and_saveexec_b32 s73, s17
	s_cbranch_execz .LBB6_13537
.LBB6_13536:                            ;   in Loop: Header=BB6_13372 Depth=3
	v_and_b32_e32 v28, 7, v13
	v_bfe_u32 v31, v13, 3, 4
	v_lshlrev_b32_e32 v32, 24, v13
	v_ffbh_u32_e32 v29, v28
	v_cmp_eq_u32_e32 vcc_lo, 0, v31
	v_min_u32_e32 v29, 32, v29
	v_subrev_nc_u32_e32 v30, 28, v29
	v_sub_nc_u32_e32 v29, 29, v29
	v_lshlrev_b32_e32 v30, v30, v13
	v_cndmask_b32_e32 v29, v31, v29, vcc_lo
	v_and_b32_e32 v30, 7, v30
	v_lshl_add_u32 v29, v29, 23, 0x3b800000
	v_cndmask_b32_e32 v28, v28, v30, vcc_lo
	v_and_b32_e32 v30, 0x80000000, v32
	v_lshlrev_b32_e32 v28, 20, v28
	v_or3_b32 v28, v30, v29, v28
.LBB6_13537:                            ;   in Loop: Header=BB6_13372 Depth=3
	s_or_b32 exec_lo, exec_lo, s73
	v_cmp_gt_i16_sdwa s73, v9, v61 src0_sel:BYTE_0 src1_sel:DWORD
	s_mov_b32 s17, 0
	s_and_saveexec_b32 s74, s73
	s_xor_b32 s73, exec_lo, s74
	s_cbranch_execz .LBB6_13984
; %bb.13538:                            ;   in Loop: Header=BB6_13372 Depth=3
	v_cmp_eq_u16_sdwa s75, v9, v62 src0_sel:BYTE_0 src1_sel:DWORD
	s_mov_b32 s17, -1
	s_and_saveexec_b32 s74, s75
; %bb.13539:                            ;   in Loop: Header=BB6_13372 Depth=3
	s_xor_b32 s17, exec_lo, -1
; %bb.13540:                            ;   in Loop: Header=BB6_13372 Depth=3
	s_or_b32 exec_lo, exec_lo, s74
	s_and_b32 s17, s17, exec_lo
	s_or_saveexec_b32 s73, s73
	v_mov_b32_e32 v29, 0x7f800001
	s_xor_b32 exec_lo, exec_lo, s73
	s_cbranch_execnz .LBB6_13985
.LBB6_13541:                            ;   in Loop: Header=BB6_13372 Depth=3
	s_or_b32 exec_lo, exec_lo, s73
	s_and_saveexec_b32 s73, s17
.LBB6_13542:                            ;   in Loop: Header=BB6_13372 Depth=3
	v_mov_b32_e32 v29, v8
.LBB6_13543:                            ;   in Loop: Header=BB6_13372 Depth=3
	s_or_b32 exec_lo, exec_lo, s73
	v_max_f32_e32 v8, v29, v29
	v_max_f32_e32 v28, v28, v28
	v_min_f32_e32 v29, v28, v8
.LBB6_13544:                            ;   in Loop: Header=BB6_13372 Depth=3
	v_and_b32_e32 v8, 0x7f800000, v29
	v_mov_b32_e32 v28, 0x80
	s_mov_b32 s73, exec_lo
	v_cmpx_ne_u32_e32 0x7f800000, v8
	s_cbranch_execz .LBB6_13552
; %bb.13545:                            ;   in Loop: Header=BB6_13372 Depth=3
	v_mov_b32_e32 v28, 0
	s_mov_b32 s74, exec_lo
	v_cmpx_ne_u32_e32 0, v29
	s_cbranch_execz .LBB6_13551
; %bb.13546:                            ;   in Loop: Header=BB6_13372 Depth=3
	v_bfe_u32 v8, v29, 23, 8
	v_and_b32_e32 v28, 0x7fffff, v29
	v_sub_nc_u32_e32 v30, 0x78, v8
	v_cmp_gt_u32_e32 vcc_lo, 0x79, v8
	v_or_b32_e32 v31, 0x800000, v28
	v_cndmask_b32_e32 v30, 0, v30, vcc_lo
	v_cmp_eq_u32_e32 vcc_lo, 0, v8
	v_add_nc_u32_e32 v8, 0xffffff89, v8
	v_cndmask_b32_e64 v30, v30, 0x77, vcc_lo
	v_cndmask_b32_e32 v28, v31, v28, vcc_lo
	v_cndmask_b32_e64 v8, v8, 0xffffff8a, vcc_lo
	v_lshl_add_u32 v31, 0x100000, v30, -1
	v_lshrrev_b32_e32 v32, v30, v28
	v_lshlrev_b32_e64 v34, v30, 0x80000
	v_add_nc_u32_e32 v30, v30, v8
	v_and_b32_e32 v28, v31, v28
	v_bfe_u32 v33, v32, 20, 1
	v_cmp_eq_u32_e64 s17, v28, v34
	v_add_nc_u32_e32 v31, -1, v33
	v_cndmask_b32_e64 v28, 0, v31, s17
	v_lshrrev_b32_e32 v31, 23, v32
	s_mov_b32 s17, exec_lo
	v_add_nc_u32_e32 v28, v28, v32
	v_xor_b32_e32 v31, 1, v31
	v_and_b32_e32 v8, 0xfffff, v28
	v_add_nc_u32_e32 v28, v8, v32
                                        ; implicit-def: $vgpr8
	v_cmpx_ne_u32_e64 v30, v31
	s_xor_b32 s17, exec_lo, s17
; %bb.13547:                            ;   in Loop: Header=BB6_13372 Depth=3
	v_cmp_lt_u32_e32 vcc_lo, 0xffffff, v28
	v_sub_nc_u32_e32 v8, v30, v31
	v_cndmask_b32_e64 v30, 0, 1, vcc_lo
	v_add_co_ci_u32_e64 v8, null, 0, v8, vcc_lo
	v_lshrrev_b32_e32 v28, v30, v28
; %bb.13548:                            ;   in Loop: Header=BB6_13372 Depth=3
	s_andn2_saveexec_b32 s17, s17
; %bb.13549:                            ;   in Loop: Header=BB6_13372 Depth=3
	v_bfe_u32 v8, v28, 23, 1
; %bb.13550:                            ;   in Loop: Header=BB6_13372 Depth=3
	s_or_b32 exec_lo, exec_lo, s17
	v_lshrrev_b32_e32 v28, 20, v28
	v_min_i32_e32 v30, 15, v8
	v_cmp_gt_i32_e32 vcc_lo, 16, v8
	v_and_b32_sdwa v29, v29, v62 dst_sel:DWORD dst_unused:UNUSED_PAD src0_sel:BYTE_3 src1_sel:DWORD
	v_lshlrev_b32_e32 v30, 3, v30
	v_cndmask_b32_e32 v28, 7, v28, vcc_lo
	v_and_b32_e32 v30, 0xf8, v30
	v_and_b32_e32 v31, 7, v28
	v_or_b32_e32 v8, v8, v28
	v_or3_b32 v28, v30, v29, v31
	v_cmp_ne_u32_e32 vcc_lo, 0, v8
	v_cndmask_b32_e32 v28, 0, v28, vcc_lo
.LBB6_13551:                            ;   in Loop: Header=BB6_13372 Depth=3
	s_or_b32 exec_lo, exec_lo, s74
.LBB6_13552:                            ;   in Loop: Header=BB6_13372 Depth=3
	s_or_b32 exec_lo, exec_lo, s73
	v_and_b32_sdwa v8, v63, v9 dst_sel:DWORD dst_unused:UNUSED_PAD src0_sel:DWORD src1_sel:BYTE_1
	s_mov_b32 s17, -1
	v_and_b32_e32 v29, 7, v8
	v_bfe_u32 v32, v8, 3, 4
	v_ffbh_u32_e32 v30, v29
	v_cmp_eq_u32_e32 vcc_lo, 0, v32
	v_min_u32_e32 v30, 32, v30
	v_subrev_nc_u32_e32 v31, 28, v30
	v_sub_nc_u32_e32 v30, 29, v30
	v_lshlrev_b32_e32 v8, v31, v8
	v_lshlrev_b32_sdwa v31, v73, v9 dst_sel:DWORD dst_unused:UNUSED_PAD src0_sel:DWORD src1_sel:BYTE_1
	v_cndmask_b32_e32 v30, v32, v30, vcc_lo
	v_and_b32_e32 v8, 7, v8
	v_lshl_add_u32 v30, v30, 23, 0x3b800000
	v_cndmask_b32_e32 v8, v29, v8, vcc_lo
	v_and_b32_e32 v29, 0x80000000, v31
	s_and_b32 vcc_lo, exec_lo, s23
	v_lshlrev_b32_e32 v8, 20, v8
	v_or3_b32 v8, v29, v30, v8
                                        ; implicit-def: $vgpr30
	s_cbranch_vccz .LBB6_13566
; %bb.13553:                            ;   in Loop: Header=BB6_13372 Depth=3
	v_cmp_gt_i16_sdwa s73, v13, v61 src0_sel:BYTE_1 src1_sel:DWORD
	s_mov_b32 s17, 0
	s_and_saveexec_b32 s74, s73
	s_xor_b32 s73, exec_lo, s74
	s_cbranch_execz .LBB6_13986
; %bb.13554:                            ;   in Loop: Header=BB6_13372 Depth=3
	v_cmp_eq_u16_sdwa s75, v13, v62 src0_sel:BYTE_1 src1_sel:DWORD
	s_mov_b32 s17, -1
	s_and_saveexec_b32 s74, s75
; %bb.13555:                            ;   in Loop: Header=BB6_13372 Depth=3
	s_xor_b32 s17, exec_lo, -1
; %bb.13556:                            ;   in Loop: Header=BB6_13372 Depth=3
	s_or_b32 exec_lo, exec_lo, s74
	s_and_b32 s17, s17, exec_lo
	s_or_saveexec_b32 s73, s73
	v_mov_b32_e32 v29, 0x7f800001
	s_xor_b32 exec_lo, exec_lo, s73
	s_cbranch_execnz .LBB6_13987
.LBB6_13557:                            ;   in Loop: Header=BB6_13372 Depth=3
	s_or_b32 exec_lo, exec_lo, s73
	s_and_saveexec_b32 s73, s17
	s_cbranch_execz .LBB6_13559
.LBB6_13558:                            ;   in Loop: Header=BB6_13372 Depth=3
	v_and_b32_sdwa v29, v63, v13 dst_sel:DWORD dst_unused:UNUSED_PAD src0_sel:DWORD src1_sel:BYTE_1
	v_and_b32_e32 v30, 7, v29
	v_bfe_u32 v33, v29, 3, 4
	v_ffbh_u32_e32 v31, v30
	v_cmp_eq_u32_e32 vcc_lo, 0, v33
	v_min_u32_e32 v31, 32, v31
	v_subrev_nc_u32_e32 v32, 28, v31
	v_sub_nc_u32_e32 v31, 29, v31
	v_lshlrev_b32_e32 v29, v32, v29
	v_lshlrev_b32_e32 v32, 16, v13
	v_cndmask_b32_e32 v31, v33, v31, vcc_lo
	v_and_b32_e32 v29, 7, v29
	v_lshl_add_u32 v31, v31, 23, 0x3b800000
	v_cndmask_b32_e32 v29, v30, v29, vcc_lo
	v_and_b32_e32 v30, 0x80000000, v32
	v_lshlrev_b32_e32 v29, 20, v29
	v_or3_b32 v29, v30, v31, v29
.LBB6_13559:                            ;   in Loop: Header=BB6_13372 Depth=3
	s_or_b32 exec_lo, exec_lo, s73
	v_cmp_gt_i16_sdwa s73, v9, v61 src0_sel:BYTE_1 src1_sel:DWORD
	s_mov_b32 s17, 0
	s_and_saveexec_b32 s74, s73
	s_xor_b32 s73, exec_lo, s74
	s_cbranch_execz .LBB6_13988
; %bb.13560:                            ;   in Loop: Header=BB6_13372 Depth=3
	v_cmp_eq_u16_sdwa s75, v9, v62 src0_sel:BYTE_1 src1_sel:DWORD
	s_mov_b32 s17, -1
	s_and_saveexec_b32 s74, s75
; %bb.13561:                            ;   in Loop: Header=BB6_13372 Depth=3
	s_xor_b32 s17, exec_lo, -1
; %bb.13562:                            ;   in Loop: Header=BB6_13372 Depth=3
	s_or_b32 exec_lo, exec_lo, s74
	s_and_b32 s17, s17, exec_lo
	s_or_saveexec_b32 s73, s73
	v_mov_b32_e32 v30, 0x7f800001
	s_xor_b32 exec_lo, exec_lo, s73
	s_cbranch_execnz .LBB6_13989
.LBB6_13563:                            ;   in Loop: Header=BB6_13372 Depth=3
	s_or_b32 exec_lo, exec_lo, s73
	s_and_saveexec_b32 s73, s17
.LBB6_13564:                            ;   in Loop: Header=BB6_13372 Depth=3
	v_mov_b32_e32 v30, v8
.LBB6_13565:                            ;   in Loop: Header=BB6_13372 Depth=3
	s_or_b32 exec_lo, exec_lo, s73
	v_max_f32_e32 v30, v30, v30
	v_max_f32_e32 v29, v29, v29
	s_mov_b32 s17, 0
	v_max_f32_e32 v30, v29, v30
.LBB6_13566:                            ;   in Loop: Header=BB6_13372 Depth=3
	s_and_b32 vcc_lo, exec_lo, s17
	s_cbranch_vccz .LBB6_13580
; %bb.13567:                            ;   in Loop: Header=BB6_13372 Depth=3
	v_cmp_gt_i16_sdwa s73, v13, v61 src0_sel:BYTE_1 src1_sel:DWORD
	s_mov_b32 s17, 0
	s_and_saveexec_b32 s74, s73
	s_xor_b32 s73, exec_lo, s74
	s_cbranch_execz .LBB6_13990
; %bb.13568:                            ;   in Loop: Header=BB6_13372 Depth=3
	v_cmp_eq_u16_sdwa s75, v13, v62 src0_sel:BYTE_1 src1_sel:DWORD
	s_mov_b32 s17, -1
	s_and_saveexec_b32 s74, s75
; %bb.13569:                            ;   in Loop: Header=BB6_13372 Depth=3
	s_xor_b32 s17, exec_lo, -1
; %bb.13570:                            ;   in Loop: Header=BB6_13372 Depth=3
	s_or_b32 exec_lo, exec_lo, s74
	s_and_b32 s17, s17, exec_lo
	s_or_saveexec_b32 s73, s73
	v_mov_b32_e32 v29, 0x7f800001
	s_xor_b32 exec_lo, exec_lo, s73
	s_cbranch_execnz .LBB6_13991
.LBB6_13571:                            ;   in Loop: Header=BB6_13372 Depth=3
	s_or_b32 exec_lo, exec_lo, s73
	s_and_saveexec_b32 s73, s17
	s_cbranch_execz .LBB6_13573
.LBB6_13572:                            ;   in Loop: Header=BB6_13372 Depth=3
	v_and_b32_sdwa v29, v63, v13 dst_sel:DWORD dst_unused:UNUSED_PAD src0_sel:DWORD src1_sel:BYTE_1
	v_and_b32_e32 v30, 7, v29
	v_bfe_u32 v33, v29, 3, 4
	v_ffbh_u32_e32 v31, v30
	v_cmp_eq_u32_e32 vcc_lo, 0, v33
	v_min_u32_e32 v31, 32, v31
	v_subrev_nc_u32_e32 v32, 28, v31
	v_sub_nc_u32_e32 v31, 29, v31
	v_lshlrev_b32_e32 v29, v32, v29
	v_lshlrev_b32_e32 v32, 16, v13
	v_cndmask_b32_e32 v31, v33, v31, vcc_lo
	v_and_b32_e32 v29, 7, v29
	v_lshl_add_u32 v31, v31, 23, 0x3b800000
	v_cndmask_b32_e32 v29, v30, v29, vcc_lo
	v_and_b32_e32 v30, 0x80000000, v32
	v_lshlrev_b32_e32 v29, 20, v29
	v_or3_b32 v29, v30, v31, v29
.LBB6_13573:                            ;   in Loop: Header=BB6_13372 Depth=3
	s_or_b32 exec_lo, exec_lo, s73
	v_cmp_gt_i16_sdwa s73, v9, v61 src0_sel:BYTE_1 src1_sel:DWORD
	s_mov_b32 s17, 0
	s_and_saveexec_b32 s74, s73
	s_xor_b32 s73, exec_lo, s74
	s_cbranch_execz .LBB6_13992
; %bb.13574:                            ;   in Loop: Header=BB6_13372 Depth=3
	v_cmp_eq_u16_sdwa s75, v9, v62 src0_sel:BYTE_1 src1_sel:DWORD
	s_mov_b32 s17, -1
	s_and_saveexec_b32 s74, s75
; %bb.13575:                            ;   in Loop: Header=BB6_13372 Depth=3
	s_xor_b32 s17, exec_lo, -1
; %bb.13576:                            ;   in Loop: Header=BB6_13372 Depth=3
	s_or_b32 exec_lo, exec_lo, s74
	s_and_b32 s17, s17, exec_lo
	s_or_saveexec_b32 s73, s73
	v_mov_b32_e32 v30, 0x7f800001
	s_xor_b32 exec_lo, exec_lo, s73
	s_cbranch_execnz .LBB6_13993
.LBB6_13577:                            ;   in Loop: Header=BB6_13372 Depth=3
	s_or_b32 exec_lo, exec_lo, s73
	s_and_saveexec_b32 s73, s17
.LBB6_13578:                            ;   in Loop: Header=BB6_13372 Depth=3
	v_mov_b32_e32 v30, v8
.LBB6_13579:                            ;   in Loop: Header=BB6_13372 Depth=3
	s_or_b32 exec_lo, exec_lo, s73
	v_max_f32_e32 v8, v30, v30
	v_max_f32_e32 v29, v29, v29
	v_min_f32_e32 v30, v29, v8
.LBB6_13580:                            ;   in Loop: Header=BB6_13372 Depth=3
	v_and_b32_e32 v8, 0x7f800000, v30
	v_mov_b32_e32 v29, 0x8000
	s_mov_b32 s73, exec_lo
	v_cmpx_ne_u32_e32 0x7f800000, v8
	s_cbranch_execz .LBB6_13588
; %bb.13581:                            ;   in Loop: Header=BB6_13372 Depth=3
	v_mov_b32_e32 v29, 0
	s_mov_b32 s74, exec_lo
	v_cmpx_ne_u32_e32 0, v30
	s_cbranch_execz .LBB6_13587
; %bb.13582:                            ;   in Loop: Header=BB6_13372 Depth=3
	v_bfe_u32 v8, v30, 23, 8
	v_and_b32_e32 v29, 0x7fffff, v30
	v_sub_nc_u32_e32 v31, 0x78, v8
	v_cmp_gt_u32_e32 vcc_lo, 0x79, v8
	v_or_b32_e32 v32, 0x800000, v29
	v_cndmask_b32_e32 v31, 0, v31, vcc_lo
	v_cmp_eq_u32_e32 vcc_lo, 0, v8
	v_add_nc_u32_e32 v8, 0xffffff89, v8
	v_cndmask_b32_e64 v31, v31, 0x77, vcc_lo
	v_cndmask_b32_e32 v29, v32, v29, vcc_lo
	v_cndmask_b32_e64 v8, v8, 0xffffff8a, vcc_lo
	v_lshl_add_u32 v32, 0x100000, v31, -1
	v_lshrrev_b32_e32 v33, v31, v29
	v_lshlrev_b32_e64 v35, v31, 0x80000
	v_add_nc_u32_e32 v31, v31, v8
	v_and_b32_e32 v29, v32, v29
	v_bfe_u32 v34, v33, 20, 1
	v_cmp_eq_u32_e64 s17, v29, v35
	v_add_nc_u32_e32 v32, -1, v34
	v_cndmask_b32_e64 v29, 0, v32, s17
	v_lshrrev_b32_e32 v32, 23, v33
	s_mov_b32 s17, exec_lo
	v_add_nc_u32_e32 v29, v29, v33
	v_xor_b32_e32 v32, 1, v32
	v_and_b32_e32 v8, 0xfffff, v29
	v_add_nc_u32_e32 v29, v8, v33
                                        ; implicit-def: $vgpr8
	v_cmpx_ne_u32_e64 v31, v32
	s_xor_b32 s17, exec_lo, s17
; %bb.13583:                            ;   in Loop: Header=BB6_13372 Depth=3
	v_cmp_lt_u32_e32 vcc_lo, 0xffffff, v29
	v_sub_nc_u32_e32 v8, v31, v32
	v_cndmask_b32_e64 v31, 0, 1, vcc_lo
	v_add_co_ci_u32_e64 v8, null, 0, v8, vcc_lo
	v_lshrrev_b32_e32 v29, v31, v29
; %bb.13584:                            ;   in Loop: Header=BB6_13372 Depth=3
	s_andn2_saveexec_b32 s17, s17
; %bb.13585:                            ;   in Loop: Header=BB6_13372 Depth=3
	v_bfe_u32 v8, v29, 23, 1
; %bb.13586:                            ;   in Loop: Header=BB6_13372 Depth=3
	s_or_b32 exec_lo, exec_lo, s17
	v_lshrrev_b32_e32 v29, 20, v29
	v_min_i32_e32 v31, 15, v8
	v_cmp_gt_i32_e32 vcc_lo, 16, v8
	v_and_b32_sdwa v30, v30, v62 dst_sel:DWORD dst_unused:UNUSED_PAD src0_sel:BYTE_3 src1_sel:DWORD
	v_lshlrev_b32_e32 v31, 3, v31
	v_cndmask_b32_e32 v29, 7, v29, vcc_lo
	v_and_b32_e32 v31, 0xf8, v31
	v_and_b32_e32 v32, 7, v29
	v_or_b32_e32 v8, v8, v29
	v_or3_b32 v30, v30, v31, v32
	v_cmp_ne_u32_e32 vcc_lo, 0, v8
	v_lshlrev_b32_e32 v29, 8, v30
	v_cndmask_b32_e32 v29, 0, v29, vcc_lo
.LBB6_13587:                            ;   in Loop: Header=BB6_13372 Depth=3
	s_or_b32 exec_lo, exec_lo, s74
.LBB6_13588:                            ;   in Loop: Header=BB6_13372 Depth=3
	s_or_b32 exec_lo, exec_lo, s73
	v_bfe_u32 v8, v9, 16, 3
	v_bfe_u32 v32, v9, 19, 4
	v_lshlrev_b32_e32 v33, 8, v9
	s_mov_b32 s17, -1
	v_ffbh_u32_e32 v30, v8
	v_cmp_eq_u32_e32 vcc_lo, 0, v32
	v_min_u32_e32 v30, 32, v30
	v_subrev_nc_u32_e32 v31, 28, v30
	v_sub_nc_u32_e32 v30, 29, v30
	v_lshlrev_b32_sdwa v31, v31, v9 dst_sel:DWORD dst_unused:UNUSED_PAD src0_sel:DWORD src1_sel:WORD_1
	v_cndmask_b32_e32 v30, v32, v30, vcc_lo
	v_and_b32_e32 v31, 7, v31
	v_lshl_add_u32 v30, v30, 23, 0x3b800000
	v_cndmask_b32_e32 v8, v8, v31, vcc_lo
	v_and_b32_e32 v31, 0x80000000, v33
	s_and_b32 vcc_lo, exec_lo, s23
	v_lshlrev_b32_e32 v8, 20, v8
	v_or3_b32 v8, v31, v30, v8
                                        ; implicit-def: $vgpr31
	s_cbranch_vccz .LBB6_13602
; %bb.13589:                            ;   in Loop: Header=BB6_13372 Depth=3
	v_and_b32_sdwa v31, v13, v72 dst_sel:DWORD dst_unused:UNUSED_PAD src0_sel:WORD_1 src1_sel:DWORD
	s_mov_b32 s17, 0
	s_mov_b32 s73, exec_lo
	v_cmpx_lt_i16_e32 0x7f, v31
	s_xor_b32 s73, exec_lo, s73
	s_cbranch_execz .LBB6_13994
; %bb.13590:                            ;   in Loop: Header=BB6_13372 Depth=3
	s_mov_b32 s17, -1
	s_mov_b32 s74, exec_lo
	v_cmpx_eq_u16_e32 0x80, v31
; %bb.13591:                            ;   in Loop: Header=BB6_13372 Depth=3
	s_xor_b32 s17, exec_lo, -1
; %bb.13592:                            ;   in Loop: Header=BB6_13372 Depth=3
	s_or_b32 exec_lo, exec_lo, s74
	s_and_b32 s17, s17, exec_lo
                                        ; implicit-def: $vgpr31
	s_or_saveexec_b32 s73, s73
	v_mov_b32_e32 v30, 0x7f800001
	s_xor_b32 exec_lo, exec_lo, s73
	s_cbranch_execnz .LBB6_13995
.LBB6_13593:                            ;   in Loop: Header=BB6_13372 Depth=3
	s_or_b32 exec_lo, exec_lo, s73
	s_and_saveexec_b32 s73, s17
	s_cbranch_execz .LBB6_13595
.LBB6_13594:                            ;   in Loop: Header=BB6_13372 Depth=3
	v_bfe_u32 v30, v13, 16, 3
	v_bfe_u32 v33, v13, 19, 4
	v_lshlrev_b32_sdwa v34, v73, v13 dst_sel:DWORD dst_unused:UNUSED_PAD src0_sel:DWORD src1_sel:WORD_1
	v_ffbh_u32_e32 v31, v30
	v_cmp_eq_u32_e32 vcc_lo, 0, v33
	v_min_u32_e32 v31, 32, v31
	v_subrev_nc_u32_e32 v32, 28, v31
	v_sub_nc_u32_e32 v31, 29, v31
	v_lshlrev_b32_sdwa v32, v32, v13 dst_sel:DWORD dst_unused:UNUSED_PAD src0_sel:DWORD src1_sel:WORD_1
	v_cndmask_b32_e32 v31, v33, v31, vcc_lo
	v_and_b32_e32 v32, 7, v32
	v_lshl_add_u32 v31, v31, 23, 0x3b800000
	v_cndmask_b32_e32 v30, v30, v32, vcc_lo
	v_and_b32_e32 v32, 0x80000000, v34
	v_lshlrev_b32_e32 v30, 20, v30
	v_or3_b32 v30, v32, v31, v30
.LBB6_13595:                            ;   in Loop: Header=BB6_13372 Depth=3
	s_or_b32 exec_lo, exec_lo, s73
	v_and_b32_sdwa v32, v9, v72 dst_sel:DWORD dst_unused:UNUSED_PAD src0_sel:WORD_1 src1_sel:DWORD
	s_mov_b32 s17, 0
	s_mov_b32 s73, exec_lo
	v_cmpx_lt_i16_e32 0x7f, v32
	s_xor_b32 s73, exec_lo, s73
	s_cbranch_execz .LBB6_13996
; %bb.13596:                            ;   in Loop: Header=BB6_13372 Depth=3
	s_mov_b32 s17, -1
	s_mov_b32 s74, exec_lo
	v_cmpx_eq_u16_e32 0x80, v32
; %bb.13597:                            ;   in Loop: Header=BB6_13372 Depth=3
	s_xor_b32 s17, exec_lo, -1
; %bb.13598:                            ;   in Loop: Header=BB6_13372 Depth=3
	s_or_b32 exec_lo, exec_lo, s74
	s_and_b32 s17, s17, exec_lo
                                        ; implicit-def: $vgpr32
	s_or_saveexec_b32 s73, s73
	v_mov_b32_e32 v31, 0x7f800001
	s_xor_b32 exec_lo, exec_lo, s73
	s_cbranch_execnz .LBB6_13997
.LBB6_13599:                            ;   in Loop: Header=BB6_13372 Depth=3
	s_or_b32 exec_lo, exec_lo, s73
	s_and_saveexec_b32 s73, s17
.LBB6_13600:                            ;   in Loop: Header=BB6_13372 Depth=3
	v_mov_b32_e32 v31, v8
.LBB6_13601:                            ;   in Loop: Header=BB6_13372 Depth=3
	s_or_b32 exec_lo, exec_lo, s73
	v_max_f32_e32 v31, v31, v31
	v_max_f32_e32 v30, v30, v30
	s_mov_b32 s17, 0
	v_max_f32_e32 v31, v30, v31
.LBB6_13602:                            ;   in Loop: Header=BB6_13372 Depth=3
	s_and_b32 vcc_lo, exec_lo, s17
	s_cbranch_vccz .LBB6_13616
; %bb.13603:                            ;   in Loop: Header=BB6_13372 Depth=3
	v_and_b32_sdwa v31, v13, v72 dst_sel:DWORD dst_unused:UNUSED_PAD src0_sel:WORD_1 src1_sel:DWORD
	s_mov_b32 s17, 0
	s_mov_b32 s73, exec_lo
	v_cmpx_lt_i16_e32 0x7f, v31
	s_xor_b32 s73, exec_lo, s73
	s_cbranch_execz .LBB6_13998
; %bb.13604:                            ;   in Loop: Header=BB6_13372 Depth=3
	s_mov_b32 s17, -1
	s_mov_b32 s74, exec_lo
	v_cmpx_eq_u16_e32 0x80, v31
; %bb.13605:                            ;   in Loop: Header=BB6_13372 Depth=3
	s_xor_b32 s17, exec_lo, -1
; %bb.13606:                            ;   in Loop: Header=BB6_13372 Depth=3
	s_or_b32 exec_lo, exec_lo, s74
	s_and_b32 s17, s17, exec_lo
                                        ; implicit-def: $vgpr31
	s_or_saveexec_b32 s73, s73
	v_mov_b32_e32 v30, 0x7f800001
	s_xor_b32 exec_lo, exec_lo, s73
	s_cbranch_execnz .LBB6_13999
.LBB6_13607:                            ;   in Loop: Header=BB6_13372 Depth=3
	s_or_b32 exec_lo, exec_lo, s73
	s_and_saveexec_b32 s73, s17
	s_cbranch_execz .LBB6_13609
.LBB6_13608:                            ;   in Loop: Header=BB6_13372 Depth=3
	v_bfe_u32 v30, v13, 16, 3
	v_bfe_u32 v33, v13, 19, 4
	v_lshlrev_b32_sdwa v34, v73, v13 dst_sel:DWORD dst_unused:UNUSED_PAD src0_sel:DWORD src1_sel:WORD_1
	v_ffbh_u32_e32 v31, v30
	v_cmp_eq_u32_e32 vcc_lo, 0, v33
	v_min_u32_e32 v31, 32, v31
	v_subrev_nc_u32_e32 v32, 28, v31
	v_sub_nc_u32_e32 v31, 29, v31
	v_lshlrev_b32_sdwa v32, v32, v13 dst_sel:DWORD dst_unused:UNUSED_PAD src0_sel:DWORD src1_sel:WORD_1
	v_cndmask_b32_e32 v31, v33, v31, vcc_lo
	v_and_b32_e32 v32, 7, v32
	v_lshl_add_u32 v31, v31, 23, 0x3b800000
	v_cndmask_b32_e32 v30, v30, v32, vcc_lo
	v_and_b32_e32 v32, 0x80000000, v34
	v_lshlrev_b32_e32 v30, 20, v30
	v_or3_b32 v30, v32, v31, v30
.LBB6_13609:                            ;   in Loop: Header=BB6_13372 Depth=3
	s_or_b32 exec_lo, exec_lo, s73
	v_and_b32_sdwa v32, v9, v72 dst_sel:DWORD dst_unused:UNUSED_PAD src0_sel:WORD_1 src1_sel:DWORD
	s_mov_b32 s17, 0
	s_mov_b32 s73, exec_lo
	v_cmpx_lt_i16_e32 0x7f, v32
	s_xor_b32 s73, exec_lo, s73
	s_cbranch_execz .LBB6_14000
; %bb.13610:                            ;   in Loop: Header=BB6_13372 Depth=3
	s_mov_b32 s17, -1
	s_mov_b32 s74, exec_lo
	v_cmpx_eq_u16_e32 0x80, v32
; %bb.13611:                            ;   in Loop: Header=BB6_13372 Depth=3
	s_xor_b32 s17, exec_lo, -1
; %bb.13612:                            ;   in Loop: Header=BB6_13372 Depth=3
	s_or_b32 exec_lo, exec_lo, s74
	s_and_b32 s17, s17, exec_lo
                                        ; implicit-def: $vgpr32
	s_or_saveexec_b32 s73, s73
	v_mov_b32_e32 v31, 0x7f800001
	s_xor_b32 exec_lo, exec_lo, s73
	s_cbranch_execnz .LBB6_14001
.LBB6_13613:                            ;   in Loop: Header=BB6_13372 Depth=3
	s_or_b32 exec_lo, exec_lo, s73
	s_and_saveexec_b32 s73, s17
.LBB6_13614:                            ;   in Loop: Header=BB6_13372 Depth=3
	v_mov_b32_e32 v31, v8
.LBB6_13615:                            ;   in Loop: Header=BB6_13372 Depth=3
	s_or_b32 exec_lo, exec_lo, s73
	v_max_f32_e32 v8, v31, v31
	v_max_f32_e32 v30, v30, v30
	v_min_f32_e32 v31, v30, v8
.LBB6_13616:                            ;   in Loop: Header=BB6_13372 Depth=3
	v_and_b32_e32 v8, 0x7f800000, v31
	v_mov_b32_e32 v30, 0x80
	s_mov_b32 s73, exec_lo
	v_cmpx_ne_u32_e32 0x7f800000, v8
	s_cbranch_execz .LBB6_13624
; %bb.13617:                            ;   in Loop: Header=BB6_13372 Depth=3
	v_mov_b32_e32 v30, 0
	s_mov_b32 s74, exec_lo
	v_cmpx_ne_u32_e32 0, v31
	s_cbranch_execz .LBB6_13623
; %bb.13618:                            ;   in Loop: Header=BB6_13372 Depth=3
	v_bfe_u32 v8, v31, 23, 8
	v_and_b32_e32 v30, 0x7fffff, v31
	v_sub_nc_u32_e32 v32, 0x78, v8
	v_cmp_gt_u32_e32 vcc_lo, 0x79, v8
	v_or_b32_e32 v33, 0x800000, v30
	v_cndmask_b32_e32 v32, 0, v32, vcc_lo
	v_cmp_eq_u32_e32 vcc_lo, 0, v8
	v_add_nc_u32_e32 v8, 0xffffff89, v8
	v_cndmask_b32_e64 v32, v32, 0x77, vcc_lo
	v_cndmask_b32_e32 v30, v33, v30, vcc_lo
	v_cndmask_b32_e64 v8, v8, 0xffffff8a, vcc_lo
	v_lshl_add_u32 v33, 0x100000, v32, -1
	v_lshrrev_b32_e32 v34, v32, v30
	v_lshlrev_b32_e64 v36, v32, 0x80000
	v_add_nc_u32_e32 v32, v32, v8
	v_and_b32_e32 v30, v33, v30
	v_bfe_u32 v35, v34, 20, 1
	v_cmp_eq_u32_e64 s17, v30, v36
	v_add_nc_u32_e32 v33, -1, v35
	v_cndmask_b32_e64 v30, 0, v33, s17
	v_lshrrev_b32_e32 v33, 23, v34
	s_mov_b32 s17, exec_lo
	v_add_nc_u32_e32 v30, v30, v34
	v_xor_b32_e32 v33, 1, v33
	v_and_b32_e32 v8, 0xfffff, v30
	v_add_nc_u32_e32 v30, v8, v34
                                        ; implicit-def: $vgpr8
	v_cmpx_ne_u32_e64 v32, v33
	s_xor_b32 s17, exec_lo, s17
; %bb.13619:                            ;   in Loop: Header=BB6_13372 Depth=3
	v_cmp_lt_u32_e32 vcc_lo, 0xffffff, v30
	v_sub_nc_u32_e32 v8, v32, v33
	v_cndmask_b32_e64 v32, 0, 1, vcc_lo
	v_add_co_ci_u32_e64 v8, null, 0, v8, vcc_lo
	v_lshrrev_b32_e32 v30, v32, v30
; %bb.13620:                            ;   in Loop: Header=BB6_13372 Depth=3
	s_andn2_saveexec_b32 s17, s17
; %bb.13621:                            ;   in Loop: Header=BB6_13372 Depth=3
	v_bfe_u32 v8, v30, 23, 1
; %bb.13622:                            ;   in Loop: Header=BB6_13372 Depth=3
	s_or_b32 exec_lo, exec_lo, s17
	v_lshrrev_b32_e32 v30, 20, v30
	v_min_i32_e32 v32, 15, v8
	v_cmp_gt_i32_e32 vcc_lo, 16, v8
	v_and_b32_sdwa v31, v31, v62 dst_sel:DWORD dst_unused:UNUSED_PAD src0_sel:BYTE_3 src1_sel:DWORD
	v_lshlrev_b32_e32 v32, 3, v32
	v_cndmask_b32_e32 v30, 7, v30, vcc_lo
	v_and_b32_e32 v32, 0xf8, v32
	v_and_b32_e32 v33, 7, v30
	v_or_b32_e32 v8, v8, v30
	v_or3_b32 v30, v32, v31, v33
	v_cmp_ne_u32_e32 vcc_lo, 0, v8
	v_cndmask_b32_e32 v30, 0, v30, vcc_lo
.LBB6_13623:                            ;   in Loop: Header=BB6_13372 Depth=3
	s_or_b32 exec_lo, exec_lo, s74
.LBB6_13624:                            ;   in Loop: Header=BB6_13372 Depth=3
	s_or_b32 exec_lo, exec_lo, s73
	v_bfe_u32 v8, v9, 24, 3
	v_bfe_u32 v33, v9, 27, 4
	s_mov_b32 s17, -1
	v_ffbh_u32_e32 v31, v8
	v_cmp_eq_u32_e32 vcc_lo, 0, v33
	v_min_u32_e32 v31, 32, v31
	v_subrev_nc_u32_e32 v32, 28, v31
	v_sub_nc_u32_e32 v31, 29, v31
	v_lshlrev_b32_sdwa v32, v32, v9 dst_sel:DWORD dst_unused:UNUSED_PAD src0_sel:DWORD src1_sel:BYTE_3
	v_cndmask_b32_e32 v31, v33, v31, vcc_lo
	v_and_b32_e32 v32, 7, v32
	v_lshl_add_u32 v31, v31, 23, 0x3b800000
	v_cndmask_b32_e32 v8, v8, v32, vcc_lo
	v_and_b32_e32 v32, 0x80000000, v9
	s_and_b32 vcc_lo, exec_lo, s23
	v_lshlrev_b32_e32 v8, 20, v8
	v_or3_b32 v8, v32, v31, v8
                                        ; implicit-def: $vgpr31
	s_cbranch_vccz .LBB6_13638
; %bb.13625:                            ;   in Loop: Header=BB6_13372 Depth=3
	v_cmp_gt_i16_sdwa s73, v13, v61 src0_sel:BYTE_3 src1_sel:DWORD
	s_mov_b32 s17, 0
	s_and_saveexec_b32 s74, s73
	s_xor_b32 s73, exec_lo, s74
	s_cbranch_execz .LBB6_14002
; %bb.13626:                            ;   in Loop: Header=BB6_13372 Depth=3
	v_cmp_eq_u16_sdwa s75, v13, v62 src0_sel:BYTE_3 src1_sel:DWORD
	s_mov_b32 s17, -1
	s_and_saveexec_b32 s74, s75
; %bb.13627:                            ;   in Loop: Header=BB6_13372 Depth=3
	s_xor_b32 s17, exec_lo, -1
; %bb.13628:                            ;   in Loop: Header=BB6_13372 Depth=3
	s_or_b32 exec_lo, exec_lo, s74
	s_and_b32 s17, s17, exec_lo
	s_or_saveexec_b32 s73, s73
	v_mov_b32_e32 v31, 0x7f800001
	s_xor_b32 exec_lo, exec_lo, s73
	s_cbranch_execnz .LBB6_14003
.LBB6_13629:                            ;   in Loop: Header=BB6_13372 Depth=3
	s_or_b32 exec_lo, exec_lo, s73
	s_and_saveexec_b32 s73, s17
	s_cbranch_execz .LBB6_13631
.LBB6_13630:                            ;   in Loop: Header=BB6_13372 Depth=3
	v_bfe_u32 v31, v13, 24, 3
	v_bfe_u32 v34, v13, 27, 4
	v_ffbh_u32_e32 v32, v31
	v_cmp_eq_u32_e32 vcc_lo, 0, v34
	v_min_u32_e32 v32, 32, v32
	v_subrev_nc_u32_e32 v33, 28, v32
	v_sub_nc_u32_e32 v32, 29, v32
	v_lshlrev_b32_sdwa v33, v33, v13 dst_sel:DWORD dst_unused:UNUSED_PAD src0_sel:DWORD src1_sel:BYTE_3
	v_cndmask_b32_e32 v32, v34, v32, vcc_lo
	v_and_b32_e32 v33, 7, v33
	v_lshl_add_u32 v32, v32, 23, 0x3b800000
	v_cndmask_b32_e32 v31, v31, v33, vcc_lo
	v_and_b32_e32 v33, 0x80000000, v13
	v_lshlrev_b32_e32 v31, 20, v31
	v_or3_b32 v31, v33, v32, v31
.LBB6_13631:                            ;   in Loop: Header=BB6_13372 Depth=3
	s_or_b32 exec_lo, exec_lo, s73
	v_cmp_gt_i16_sdwa s73, v9, v61 src0_sel:BYTE_3 src1_sel:DWORD
	s_mov_b32 s17, 0
	s_and_saveexec_b32 s74, s73
	s_xor_b32 s73, exec_lo, s74
	s_cbranch_execz .LBB6_14004
; %bb.13632:                            ;   in Loop: Header=BB6_13372 Depth=3
	v_cmp_eq_u16_sdwa s75, v9, v62 src0_sel:BYTE_3 src1_sel:DWORD
	s_mov_b32 s17, -1
	s_and_saveexec_b32 s74, s75
; %bb.13633:                            ;   in Loop: Header=BB6_13372 Depth=3
	s_xor_b32 s17, exec_lo, -1
; %bb.13634:                            ;   in Loop: Header=BB6_13372 Depth=3
	s_or_b32 exec_lo, exec_lo, s74
	s_and_b32 s17, s17, exec_lo
	s_or_saveexec_b32 s73, s73
	v_mov_b32_e32 v32, 0x7f800001
	s_xor_b32 exec_lo, exec_lo, s73
	s_cbranch_execnz .LBB6_14005
.LBB6_13635:                            ;   in Loop: Header=BB6_13372 Depth=3
	s_or_b32 exec_lo, exec_lo, s73
	s_and_saveexec_b32 s73, s17
.LBB6_13636:                            ;   in Loop: Header=BB6_13372 Depth=3
	v_mov_b32_e32 v32, v8
.LBB6_13637:                            ;   in Loop: Header=BB6_13372 Depth=3
	s_or_b32 exec_lo, exec_lo, s73
	v_max_f32_e32 v32, v32, v32
	v_max_f32_e32 v31, v31, v31
	s_mov_b32 s17, 0
	v_max_f32_e32 v31, v31, v32
.LBB6_13638:                            ;   in Loop: Header=BB6_13372 Depth=3
	s_and_b32 vcc_lo, exec_lo, s17
	s_cbranch_vccz .LBB6_13652
; %bb.13639:                            ;   in Loop: Header=BB6_13372 Depth=3
	v_cmp_gt_i16_sdwa s73, v13, v61 src0_sel:BYTE_3 src1_sel:DWORD
	s_mov_b32 s17, 0
	s_and_saveexec_b32 s74, s73
	s_xor_b32 s73, exec_lo, s74
	s_cbranch_execz .LBB6_14006
; %bb.13640:                            ;   in Loop: Header=BB6_13372 Depth=3
	v_cmp_eq_u16_sdwa s75, v13, v62 src0_sel:BYTE_3 src1_sel:DWORD
	s_mov_b32 s17, -1
	s_and_saveexec_b32 s74, s75
; %bb.13641:                            ;   in Loop: Header=BB6_13372 Depth=3
	s_xor_b32 s17, exec_lo, -1
; %bb.13642:                            ;   in Loop: Header=BB6_13372 Depth=3
	s_or_b32 exec_lo, exec_lo, s74
	s_and_b32 s17, s17, exec_lo
	s_or_saveexec_b32 s73, s73
	v_mov_b32_e32 v31, 0x7f800001
	s_xor_b32 exec_lo, exec_lo, s73
	s_cbranch_execnz .LBB6_14007
.LBB6_13643:                            ;   in Loop: Header=BB6_13372 Depth=3
	s_or_b32 exec_lo, exec_lo, s73
	s_and_saveexec_b32 s73, s17
	s_cbranch_execz .LBB6_13645
.LBB6_13644:                            ;   in Loop: Header=BB6_13372 Depth=3
	v_bfe_u32 v31, v13, 24, 3
	v_bfe_u32 v34, v13, 27, 4
	v_ffbh_u32_e32 v32, v31
	v_cmp_eq_u32_e32 vcc_lo, 0, v34
	v_min_u32_e32 v32, 32, v32
	v_subrev_nc_u32_e32 v33, 28, v32
	v_sub_nc_u32_e32 v32, 29, v32
	v_lshlrev_b32_sdwa v33, v33, v13 dst_sel:DWORD dst_unused:UNUSED_PAD src0_sel:DWORD src1_sel:BYTE_3
	v_cndmask_b32_e32 v32, v34, v32, vcc_lo
	v_and_b32_e32 v13, 0x80000000, v13
	v_and_b32_e32 v33, 7, v33
	v_lshl_add_u32 v32, v32, 23, 0x3b800000
	v_cndmask_b32_e32 v31, v31, v33, vcc_lo
	v_lshlrev_b32_e32 v31, 20, v31
	v_or3_b32 v31, v13, v32, v31
.LBB6_13645:                            ;   in Loop: Header=BB6_13372 Depth=3
	s_or_b32 exec_lo, exec_lo, s73
	v_cmp_gt_i16_sdwa s73, v9, v61 src0_sel:BYTE_3 src1_sel:DWORD
	s_mov_b32 s17, 0
	s_and_saveexec_b32 s74, s73
	s_xor_b32 s73, exec_lo, s74
	s_cbranch_execz .LBB6_14008
; %bb.13646:                            ;   in Loop: Header=BB6_13372 Depth=3
	v_cmp_eq_u16_sdwa s75, v9, v62 src0_sel:BYTE_3 src1_sel:DWORD
	s_mov_b32 s17, -1
	s_and_saveexec_b32 s74, s75
; %bb.13647:                            ;   in Loop: Header=BB6_13372 Depth=3
	s_xor_b32 s17, exec_lo, -1
; %bb.13648:                            ;   in Loop: Header=BB6_13372 Depth=3
	s_or_b32 exec_lo, exec_lo, s74
	s_and_b32 s17, s17, exec_lo
	s_or_saveexec_b32 s73, s73
	v_mov_b32_e32 v13, 0x7f800001
	s_xor_b32 exec_lo, exec_lo, s73
	s_cbranch_execnz .LBB6_14009
.LBB6_13649:                            ;   in Loop: Header=BB6_13372 Depth=3
	s_or_b32 exec_lo, exec_lo, s73
	s_and_saveexec_b32 s73, s17
.LBB6_13650:                            ;   in Loop: Header=BB6_13372 Depth=3
	v_mov_b32_e32 v13, v8
.LBB6_13651:                            ;   in Loop: Header=BB6_13372 Depth=3
	s_or_b32 exec_lo, exec_lo, s73
	v_max_f32_e32 v8, v13, v13
	v_max_f32_e32 v9, v31, v31
	v_min_f32_e32 v31, v9, v8
.LBB6_13652:                            ;   in Loop: Header=BB6_13372 Depth=3
	v_and_b32_e32 v8, 0x7f800000, v31
	v_mov_b32_e32 v13, 0x8000
	s_mov_b32 s73, exec_lo
	v_cmpx_ne_u32_e32 0x7f800000, v8
	s_cbranch_execz .LBB6_13660
; %bb.13653:                            ;   in Loop: Header=BB6_13372 Depth=3
	v_mov_b32_e32 v13, 0
	s_mov_b32 s74, exec_lo
	v_cmpx_ne_u32_e32 0, v31
	s_cbranch_execz .LBB6_13659
; %bb.13654:                            ;   in Loop: Header=BB6_13372 Depth=3
	v_bfe_u32 v8, v31, 23, 8
	v_and_b32_e32 v9, 0x7fffff, v31
	v_sub_nc_u32_e32 v13, 0x78, v8
	v_cmp_gt_u32_e32 vcc_lo, 0x79, v8
	v_or_b32_e32 v32, 0x800000, v9
	v_cndmask_b32_e32 v13, 0, v13, vcc_lo
	v_cmp_eq_u32_e32 vcc_lo, 0, v8
	v_add_nc_u32_e32 v8, 0xffffff89, v8
	v_cndmask_b32_e64 v13, v13, 0x77, vcc_lo
	v_cndmask_b32_e32 v9, v32, v9, vcc_lo
	v_cndmask_b32_e64 v8, v8, 0xffffff8a, vcc_lo
	v_lshl_add_u32 v32, 0x100000, v13, -1
	v_lshrrev_b32_e32 v33, v13, v9
	v_lshlrev_b32_e64 v35, v13, 0x80000
	v_add_nc_u32_e32 v13, v13, v8
	v_and_b32_e32 v9, v32, v9
	v_bfe_u32 v34, v33, 20, 1
	v_cmp_eq_u32_e64 s17, v9, v35
	v_add_nc_u32_e32 v32, -1, v34
	v_cndmask_b32_e64 v9, 0, v32, s17
	v_lshrrev_b32_e32 v32, 23, v33
	s_mov_b32 s17, exec_lo
	v_add_nc_u32_e32 v9, v9, v33
	v_xor_b32_e32 v32, 1, v32
	v_and_b32_e32 v8, 0xfffff, v9
	v_add_nc_u32_e32 v9, v8, v33
                                        ; implicit-def: $vgpr8
	v_cmpx_ne_u32_e64 v13, v32
	s_xor_b32 s17, exec_lo, s17
; %bb.13655:                            ;   in Loop: Header=BB6_13372 Depth=3
	v_cmp_lt_u32_e32 vcc_lo, 0xffffff, v9
	v_sub_nc_u32_e32 v8, v13, v32
	v_cndmask_b32_e64 v13, 0, 1, vcc_lo
	v_add_co_ci_u32_e64 v8, null, 0, v8, vcc_lo
	v_lshrrev_b32_e32 v9, v13, v9
; %bb.13656:                            ;   in Loop: Header=BB6_13372 Depth=3
	s_andn2_saveexec_b32 s17, s17
; %bb.13657:                            ;   in Loop: Header=BB6_13372 Depth=3
	v_bfe_u32 v8, v9, 23, 1
; %bb.13658:                            ;   in Loop: Header=BB6_13372 Depth=3
	s_or_b32 exec_lo, exec_lo, s17
	v_lshrrev_b32_e32 v9, 20, v9
	v_min_i32_e32 v13, 15, v8
	v_cmp_gt_i32_e32 vcc_lo, 16, v8
	v_and_b32_sdwa v31, v31, v62 dst_sel:DWORD dst_unused:UNUSED_PAD src0_sel:BYTE_3 src1_sel:DWORD
	v_lshlrev_b32_e32 v13, 3, v13
	v_cndmask_b32_e32 v9, 7, v9, vcc_lo
	v_and_b32_e32 v13, 0xf8, v13
	v_and_b32_e32 v32, 7, v9
	v_or_b32_e32 v8, v8, v9
	v_or3_b32 v13, v31, v13, v32
	v_cmp_ne_u32_e32 vcc_lo, 0, v8
	v_lshlrev_b32_e32 v9, 8, v13
	v_cndmask_b32_e32 v13, 0, v9, vcc_lo
.LBB6_13659:                            ;   in Loop: Header=BB6_13372 Depth=3
	s_or_b32 exec_lo, exec_lo, s74
.LBB6_13660:                            ;   in Loop: Header=BB6_13372 Depth=3
	s_or_b32 exec_lo, exec_lo, s73
	v_and_b32_e32 v8, 7, v10
	v_bfe_u32 v32, v10, 3, 4
	v_lshlrev_b32_e32 v33, 24, v10
	s_mov_b32 s17, -1
	v_ffbh_u32_e32 v9, v8
	v_cmp_eq_u32_e32 vcc_lo, 0, v32
	v_min_u32_e32 v9, 32, v9
	v_subrev_nc_u32_e32 v31, 28, v9
	v_sub_nc_u32_e32 v9, 29, v9
	v_lshlrev_b32_e32 v31, v31, v10
	v_cndmask_b32_e32 v9, v32, v9, vcc_lo
	v_and_b32_e32 v31, 7, v31
	v_lshl_add_u32 v9, v9, 23, 0x3b800000
	v_cndmask_b32_e32 v8, v8, v31, vcc_lo
	v_and_b32_e32 v31, 0x80000000, v33
	s_and_b32 vcc_lo, exec_lo, s23
	v_lshlrev_b32_e32 v8, 20, v8
	v_or3_b32 v8, v31, v9, v8
                                        ; implicit-def: $vgpr9
	s_cbranch_vccz .LBB6_13674
; %bb.13661:                            ;   in Loop: Header=BB6_13372 Depth=3
	v_cmp_gt_i16_sdwa s73, v14, v61 src0_sel:BYTE_0 src1_sel:DWORD
	s_mov_b32 s17, 0
	s_and_saveexec_b32 s74, s73
	s_xor_b32 s73, exec_lo, s74
	s_cbranch_execz .LBB6_14010
; %bb.13662:                            ;   in Loop: Header=BB6_13372 Depth=3
	v_cmp_eq_u16_sdwa s75, v14, v62 src0_sel:BYTE_0 src1_sel:DWORD
	s_mov_b32 s17, -1
	s_and_saveexec_b32 s74, s75
; %bb.13663:                            ;   in Loop: Header=BB6_13372 Depth=3
	s_xor_b32 s17, exec_lo, -1
; %bb.13664:                            ;   in Loop: Header=BB6_13372 Depth=3
	s_or_b32 exec_lo, exec_lo, s74
	s_and_b32 s17, s17, exec_lo
	s_or_saveexec_b32 s73, s73
	v_mov_b32_e32 v9, 0x7f800001
	s_xor_b32 exec_lo, exec_lo, s73
	s_cbranch_execnz .LBB6_14011
.LBB6_13665:                            ;   in Loop: Header=BB6_13372 Depth=3
	s_or_b32 exec_lo, exec_lo, s73
	s_and_saveexec_b32 s73, s17
	s_cbranch_execz .LBB6_13667
.LBB6_13666:                            ;   in Loop: Header=BB6_13372 Depth=3
	v_and_b32_e32 v9, 7, v14
	v_bfe_u32 v33, v14, 3, 4
	v_lshlrev_b32_e32 v34, 24, v14
	v_ffbh_u32_e32 v31, v9
	v_cmp_eq_u32_e32 vcc_lo, 0, v33
	v_min_u32_e32 v31, 32, v31
	v_subrev_nc_u32_e32 v32, 28, v31
	v_sub_nc_u32_e32 v31, 29, v31
	v_lshlrev_b32_e32 v32, v32, v14
	v_cndmask_b32_e32 v31, v33, v31, vcc_lo
	v_and_b32_e32 v32, 7, v32
	v_lshl_add_u32 v31, v31, 23, 0x3b800000
	v_cndmask_b32_e32 v9, v9, v32, vcc_lo
	v_and_b32_e32 v32, 0x80000000, v34
	v_lshlrev_b32_e32 v9, 20, v9
	v_or3_b32 v9, v32, v31, v9
.LBB6_13667:                            ;   in Loop: Header=BB6_13372 Depth=3
	s_or_b32 exec_lo, exec_lo, s73
	v_cmp_gt_i16_sdwa s73, v10, v61 src0_sel:BYTE_0 src1_sel:DWORD
	s_mov_b32 s17, 0
	s_and_saveexec_b32 s74, s73
	s_xor_b32 s73, exec_lo, s74
	s_cbranch_execz .LBB6_14012
; %bb.13668:                            ;   in Loop: Header=BB6_13372 Depth=3
	v_cmp_eq_u16_sdwa s75, v10, v62 src0_sel:BYTE_0 src1_sel:DWORD
	s_mov_b32 s17, -1
	s_and_saveexec_b32 s74, s75
; %bb.13669:                            ;   in Loop: Header=BB6_13372 Depth=3
	s_xor_b32 s17, exec_lo, -1
; %bb.13670:                            ;   in Loop: Header=BB6_13372 Depth=3
	s_or_b32 exec_lo, exec_lo, s74
	s_and_b32 s17, s17, exec_lo
	s_or_saveexec_b32 s73, s73
	v_mov_b32_e32 v31, 0x7f800001
	s_xor_b32 exec_lo, exec_lo, s73
	s_cbranch_execnz .LBB6_14013
.LBB6_13671:                            ;   in Loop: Header=BB6_13372 Depth=3
	s_or_b32 exec_lo, exec_lo, s73
	s_and_saveexec_b32 s73, s17
.LBB6_13672:                            ;   in Loop: Header=BB6_13372 Depth=3
	v_mov_b32_e32 v31, v8
.LBB6_13673:                            ;   in Loop: Header=BB6_13372 Depth=3
	s_or_b32 exec_lo, exec_lo, s73
	v_max_f32_e32 v31, v31, v31
	v_max_f32_e32 v9, v9, v9
	s_mov_b32 s17, 0
	v_max_f32_e32 v9, v9, v31
.LBB6_13674:                            ;   in Loop: Header=BB6_13372 Depth=3
	s_and_b32 vcc_lo, exec_lo, s17
	s_cbranch_vccz .LBB6_13688
; %bb.13675:                            ;   in Loop: Header=BB6_13372 Depth=3
	v_cmp_gt_i16_sdwa s73, v14, v61 src0_sel:BYTE_0 src1_sel:DWORD
	s_mov_b32 s17, 0
	s_and_saveexec_b32 s74, s73
	s_xor_b32 s73, exec_lo, s74
	s_cbranch_execz .LBB6_14014
; %bb.13676:                            ;   in Loop: Header=BB6_13372 Depth=3
	v_cmp_eq_u16_sdwa s75, v14, v62 src0_sel:BYTE_0 src1_sel:DWORD
	s_mov_b32 s17, -1
	s_and_saveexec_b32 s74, s75
; %bb.13677:                            ;   in Loop: Header=BB6_13372 Depth=3
	s_xor_b32 s17, exec_lo, -1
; %bb.13678:                            ;   in Loop: Header=BB6_13372 Depth=3
	s_or_b32 exec_lo, exec_lo, s74
	s_and_b32 s17, s17, exec_lo
	s_or_saveexec_b32 s73, s73
	v_mov_b32_e32 v9, 0x7f800001
	s_xor_b32 exec_lo, exec_lo, s73
	s_cbranch_execnz .LBB6_14015
.LBB6_13679:                            ;   in Loop: Header=BB6_13372 Depth=3
	s_or_b32 exec_lo, exec_lo, s73
	s_and_saveexec_b32 s73, s17
	s_cbranch_execz .LBB6_13681
.LBB6_13680:                            ;   in Loop: Header=BB6_13372 Depth=3
	v_and_b32_e32 v9, 7, v14
	v_bfe_u32 v33, v14, 3, 4
	v_lshlrev_b32_e32 v34, 24, v14
	v_ffbh_u32_e32 v31, v9
	v_cmp_eq_u32_e32 vcc_lo, 0, v33
	v_min_u32_e32 v31, 32, v31
	v_subrev_nc_u32_e32 v32, 28, v31
	v_sub_nc_u32_e32 v31, 29, v31
	v_lshlrev_b32_e32 v32, v32, v14
	v_cndmask_b32_e32 v31, v33, v31, vcc_lo
	v_and_b32_e32 v32, 7, v32
	v_lshl_add_u32 v31, v31, 23, 0x3b800000
	v_cndmask_b32_e32 v9, v9, v32, vcc_lo
	v_and_b32_e32 v32, 0x80000000, v34
	v_lshlrev_b32_e32 v9, 20, v9
	v_or3_b32 v9, v32, v31, v9
.LBB6_13681:                            ;   in Loop: Header=BB6_13372 Depth=3
	s_or_b32 exec_lo, exec_lo, s73
	v_cmp_gt_i16_sdwa s73, v10, v61 src0_sel:BYTE_0 src1_sel:DWORD
	s_mov_b32 s17, 0
	s_and_saveexec_b32 s74, s73
	s_xor_b32 s73, exec_lo, s74
	s_cbranch_execz .LBB6_14016
; %bb.13682:                            ;   in Loop: Header=BB6_13372 Depth=3
	v_cmp_eq_u16_sdwa s75, v10, v62 src0_sel:BYTE_0 src1_sel:DWORD
	s_mov_b32 s17, -1
	s_and_saveexec_b32 s74, s75
; %bb.13683:                            ;   in Loop: Header=BB6_13372 Depth=3
	s_xor_b32 s17, exec_lo, -1
; %bb.13684:                            ;   in Loop: Header=BB6_13372 Depth=3
	s_or_b32 exec_lo, exec_lo, s74
	s_and_b32 s17, s17, exec_lo
	s_or_saveexec_b32 s73, s73
	v_mov_b32_e32 v31, 0x7f800001
	s_xor_b32 exec_lo, exec_lo, s73
	s_cbranch_execnz .LBB6_14017
.LBB6_13685:                            ;   in Loop: Header=BB6_13372 Depth=3
	s_or_b32 exec_lo, exec_lo, s73
	s_and_saveexec_b32 s73, s17
.LBB6_13686:                            ;   in Loop: Header=BB6_13372 Depth=3
	v_mov_b32_e32 v31, v8
.LBB6_13687:                            ;   in Loop: Header=BB6_13372 Depth=3
	s_or_b32 exec_lo, exec_lo, s73
	v_max_f32_e32 v8, v31, v31
	v_max_f32_e32 v9, v9, v9
	v_min_f32_e32 v9, v9, v8
.LBB6_13688:                            ;   in Loop: Header=BB6_13372 Depth=3
	v_and_b32_e32 v8, 0x7f800000, v9
	v_mov_b32_e32 v31, 0x80
	s_mov_b32 s73, exec_lo
	v_cmpx_ne_u32_e32 0x7f800000, v8
	s_cbranch_execz .LBB6_13696
; %bb.13689:                            ;   in Loop: Header=BB6_13372 Depth=3
	v_mov_b32_e32 v31, 0
	s_mov_b32 s74, exec_lo
	v_cmpx_ne_u32_e32 0, v9
	s_cbranch_execz .LBB6_13695
; %bb.13690:                            ;   in Loop: Header=BB6_13372 Depth=3
	v_bfe_u32 v8, v9, 23, 8
	v_and_b32_e32 v31, 0x7fffff, v9
	v_sub_nc_u32_e32 v32, 0x78, v8
	v_cmp_gt_u32_e32 vcc_lo, 0x79, v8
	v_or_b32_e32 v33, 0x800000, v31
	v_cndmask_b32_e32 v32, 0, v32, vcc_lo
	v_cmp_eq_u32_e32 vcc_lo, 0, v8
	v_add_nc_u32_e32 v8, 0xffffff89, v8
	v_cndmask_b32_e64 v32, v32, 0x77, vcc_lo
	v_cndmask_b32_e32 v31, v33, v31, vcc_lo
	v_cndmask_b32_e64 v8, v8, 0xffffff8a, vcc_lo
	v_lshl_add_u32 v33, 0x100000, v32, -1
	v_lshrrev_b32_e32 v34, v32, v31
	v_lshlrev_b32_e64 v36, v32, 0x80000
	v_add_nc_u32_e32 v32, v32, v8
	v_and_b32_e32 v31, v33, v31
	v_bfe_u32 v35, v34, 20, 1
	v_cmp_eq_u32_e64 s17, v31, v36
	v_add_nc_u32_e32 v33, -1, v35
	v_cndmask_b32_e64 v31, 0, v33, s17
	v_lshrrev_b32_e32 v33, 23, v34
	s_mov_b32 s17, exec_lo
	v_add_nc_u32_e32 v31, v31, v34
	v_xor_b32_e32 v33, 1, v33
	v_and_b32_e32 v8, 0xfffff, v31
	v_add_nc_u32_e32 v31, v8, v34
                                        ; implicit-def: $vgpr8
	v_cmpx_ne_u32_e64 v32, v33
	s_xor_b32 s17, exec_lo, s17
; %bb.13691:                            ;   in Loop: Header=BB6_13372 Depth=3
	v_cmp_lt_u32_e32 vcc_lo, 0xffffff, v31
	v_sub_nc_u32_e32 v8, v32, v33
	v_cndmask_b32_e64 v32, 0, 1, vcc_lo
	v_add_co_ci_u32_e64 v8, null, 0, v8, vcc_lo
	v_lshrrev_b32_e32 v31, v32, v31
; %bb.13692:                            ;   in Loop: Header=BB6_13372 Depth=3
	s_andn2_saveexec_b32 s17, s17
; %bb.13693:                            ;   in Loop: Header=BB6_13372 Depth=3
	v_bfe_u32 v8, v31, 23, 1
; %bb.13694:                            ;   in Loop: Header=BB6_13372 Depth=3
	s_or_b32 exec_lo, exec_lo, s17
	v_lshrrev_b32_e32 v31, 20, v31
	v_min_i32_e32 v32, 15, v8
	v_cmp_gt_i32_e32 vcc_lo, 16, v8
	v_and_b32_sdwa v9, v9, v62 dst_sel:DWORD dst_unused:UNUSED_PAD src0_sel:BYTE_3 src1_sel:DWORD
	v_lshlrev_b32_e32 v32, 3, v32
	v_cndmask_b32_e32 v31, 7, v31, vcc_lo
	v_and_b32_e32 v32, 0xf8, v32
	v_and_b32_e32 v33, 7, v31
	v_or_b32_e32 v8, v8, v31
	v_or3_b32 v9, v32, v9, v33
	v_cmp_ne_u32_e32 vcc_lo, 0, v8
	v_cndmask_b32_e32 v31, 0, v9, vcc_lo
.LBB6_13695:                            ;   in Loop: Header=BB6_13372 Depth=3
	s_or_b32 exec_lo, exec_lo, s74
.LBB6_13696:                            ;   in Loop: Header=BB6_13372 Depth=3
	s_or_b32 exec_lo, exec_lo, s73
	v_and_b32_sdwa v8, v63, v10 dst_sel:DWORD dst_unused:UNUSED_PAD src0_sel:DWORD src1_sel:BYTE_1
	s_mov_b32 s17, -1
	v_and_b32_e32 v9, 7, v8
	v_bfe_u32 v34, v8, 3, 4
	v_ffbh_u32_e32 v32, v9
	v_cmp_eq_u32_e32 vcc_lo, 0, v34
	v_min_u32_e32 v32, 32, v32
	v_subrev_nc_u32_e32 v33, 28, v32
	v_sub_nc_u32_e32 v32, 29, v32
	v_lshlrev_b32_e32 v8, v33, v8
	v_lshlrev_b32_sdwa v33, v73, v10 dst_sel:DWORD dst_unused:UNUSED_PAD src0_sel:DWORD src1_sel:BYTE_1
	v_cndmask_b32_e32 v32, v34, v32, vcc_lo
	v_and_b32_e32 v8, 7, v8
	v_lshl_add_u32 v32, v32, 23, 0x3b800000
	v_cndmask_b32_e32 v8, v9, v8, vcc_lo
	v_and_b32_e32 v9, 0x80000000, v33
	s_and_b32 vcc_lo, exec_lo, s23
	v_lshlrev_b32_e32 v8, 20, v8
	v_or3_b32 v8, v9, v32, v8
                                        ; implicit-def: $vgpr9
	s_cbranch_vccz .LBB6_13710
; %bb.13697:                            ;   in Loop: Header=BB6_13372 Depth=3
	v_cmp_gt_i16_sdwa s73, v14, v61 src0_sel:BYTE_1 src1_sel:DWORD
	s_mov_b32 s17, 0
	s_and_saveexec_b32 s74, s73
	s_xor_b32 s73, exec_lo, s74
	s_cbranch_execz .LBB6_14018
; %bb.13698:                            ;   in Loop: Header=BB6_13372 Depth=3
	v_cmp_eq_u16_sdwa s75, v14, v62 src0_sel:BYTE_1 src1_sel:DWORD
	s_mov_b32 s17, -1
	s_and_saveexec_b32 s74, s75
; %bb.13699:                            ;   in Loop: Header=BB6_13372 Depth=3
	s_xor_b32 s17, exec_lo, -1
; %bb.13700:                            ;   in Loop: Header=BB6_13372 Depth=3
	s_or_b32 exec_lo, exec_lo, s74
	s_and_b32 s17, s17, exec_lo
	s_or_saveexec_b32 s73, s73
	v_mov_b32_e32 v9, 0x7f800001
	s_xor_b32 exec_lo, exec_lo, s73
	s_cbranch_execnz .LBB6_14019
.LBB6_13701:                            ;   in Loop: Header=BB6_13372 Depth=3
	s_or_b32 exec_lo, exec_lo, s73
	s_and_saveexec_b32 s73, s17
	s_cbranch_execz .LBB6_13703
.LBB6_13702:                            ;   in Loop: Header=BB6_13372 Depth=3
	v_and_b32_sdwa v9, v63, v14 dst_sel:DWORD dst_unused:UNUSED_PAD src0_sel:DWORD src1_sel:BYTE_1
	v_and_b32_e32 v32, 7, v9
	v_bfe_u32 v35, v9, 3, 4
	v_ffbh_u32_e32 v33, v32
	v_cmp_eq_u32_e32 vcc_lo, 0, v35
	v_min_u32_e32 v33, 32, v33
	v_subrev_nc_u32_e32 v34, 28, v33
	v_sub_nc_u32_e32 v33, 29, v33
	v_lshlrev_b32_e32 v9, v34, v9
	v_lshlrev_b32_e32 v34, 16, v14
	v_cndmask_b32_e32 v33, v35, v33, vcc_lo
	v_and_b32_e32 v9, 7, v9
	v_lshl_add_u32 v33, v33, 23, 0x3b800000
	v_cndmask_b32_e32 v9, v32, v9, vcc_lo
	v_and_b32_e32 v32, 0x80000000, v34
	v_lshlrev_b32_e32 v9, 20, v9
	v_or3_b32 v9, v32, v33, v9
.LBB6_13703:                            ;   in Loop: Header=BB6_13372 Depth=3
	s_or_b32 exec_lo, exec_lo, s73
	v_cmp_gt_i16_sdwa s73, v10, v61 src0_sel:BYTE_1 src1_sel:DWORD
	s_mov_b32 s17, 0
	s_and_saveexec_b32 s74, s73
	s_xor_b32 s73, exec_lo, s74
	s_cbranch_execz .LBB6_14020
; %bb.13704:                            ;   in Loop: Header=BB6_13372 Depth=3
	v_cmp_eq_u16_sdwa s75, v10, v62 src0_sel:BYTE_1 src1_sel:DWORD
	s_mov_b32 s17, -1
	s_and_saveexec_b32 s74, s75
; %bb.13705:                            ;   in Loop: Header=BB6_13372 Depth=3
	s_xor_b32 s17, exec_lo, -1
; %bb.13706:                            ;   in Loop: Header=BB6_13372 Depth=3
	s_or_b32 exec_lo, exec_lo, s74
	s_and_b32 s17, s17, exec_lo
	s_or_saveexec_b32 s73, s73
	v_mov_b32_e32 v32, 0x7f800001
	s_xor_b32 exec_lo, exec_lo, s73
	s_cbranch_execnz .LBB6_14021
.LBB6_13707:                            ;   in Loop: Header=BB6_13372 Depth=3
	s_or_b32 exec_lo, exec_lo, s73
	s_and_saveexec_b32 s73, s17
.LBB6_13708:                            ;   in Loop: Header=BB6_13372 Depth=3
	v_mov_b32_e32 v32, v8
.LBB6_13709:                            ;   in Loop: Header=BB6_13372 Depth=3
	s_or_b32 exec_lo, exec_lo, s73
	v_max_f32_e32 v32, v32, v32
	v_max_f32_e32 v9, v9, v9
	s_mov_b32 s17, 0
	v_max_f32_e32 v9, v9, v32
.LBB6_13710:                            ;   in Loop: Header=BB6_13372 Depth=3
	s_and_b32 vcc_lo, exec_lo, s17
	s_cbranch_vccz .LBB6_13724
; %bb.13711:                            ;   in Loop: Header=BB6_13372 Depth=3
	v_cmp_gt_i16_sdwa s73, v14, v61 src0_sel:BYTE_1 src1_sel:DWORD
	s_mov_b32 s17, 0
	s_and_saveexec_b32 s74, s73
	s_xor_b32 s73, exec_lo, s74
	s_cbranch_execz .LBB6_14022
; %bb.13712:                            ;   in Loop: Header=BB6_13372 Depth=3
	v_cmp_eq_u16_sdwa s75, v14, v62 src0_sel:BYTE_1 src1_sel:DWORD
	s_mov_b32 s17, -1
	s_and_saveexec_b32 s74, s75
; %bb.13713:                            ;   in Loop: Header=BB6_13372 Depth=3
	s_xor_b32 s17, exec_lo, -1
; %bb.13714:                            ;   in Loop: Header=BB6_13372 Depth=3
	s_or_b32 exec_lo, exec_lo, s74
	s_and_b32 s17, s17, exec_lo
	s_or_saveexec_b32 s73, s73
	v_mov_b32_e32 v9, 0x7f800001
	s_xor_b32 exec_lo, exec_lo, s73
	s_cbranch_execnz .LBB6_14023
.LBB6_13715:                            ;   in Loop: Header=BB6_13372 Depth=3
	s_or_b32 exec_lo, exec_lo, s73
	s_and_saveexec_b32 s73, s17
	s_cbranch_execz .LBB6_13717
.LBB6_13716:                            ;   in Loop: Header=BB6_13372 Depth=3
	v_and_b32_sdwa v9, v63, v14 dst_sel:DWORD dst_unused:UNUSED_PAD src0_sel:DWORD src1_sel:BYTE_1
	v_and_b32_e32 v32, 7, v9
	v_bfe_u32 v35, v9, 3, 4
	v_ffbh_u32_e32 v33, v32
	v_cmp_eq_u32_e32 vcc_lo, 0, v35
	v_min_u32_e32 v33, 32, v33
	v_subrev_nc_u32_e32 v34, 28, v33
	v_sub_nc_u32_e32 v33, 29, v33
	v_lshlrev_b32_e32 v9, v34, v9
	v_lshlrev_b32_e32 v34, 16, v14
	v_cndmask_b32_e32 v33, v35, v33, vcc_lo
	v_and_b32_e32 v9, 7, v9
	v_lshl_add_u32 v33, v33, 23, 0x3b800000
	v_cndmask_b32_e32 v9, v32, v9, vcc_lo
	v_and_b32_e32 v32, 0x80000000, v34
	v_lshlrev_b32_e32 v9, 20, v9
	v_or3_b32 v9, v32, v33, v9
.LBB6_13717:                            ;   in Loop: Header=BB6_13372 Depth=3
	s_or_b32 exec_lo, exec_lo, s73
	v_cmp_gt_i16_sdwa s73, v10, v61 src0_sel:BYTE_1 src1_sel:DWORD
	s_mov_b32 s17, 0
	s_and_saveexec_b32 s74, s73
	s_xor_b32 s73, exec_lo, s74
	s_cbranch_execz .LBB6_14024
; %bb.13718:                            ;   in Loop: Header=BB6_13372 Depth=3
	v_cmp_eq_u16_sdwa s75, v10, v62 src0_sel:BYTE_1 src1_sel:DWORD
	s_mov_b32 s17, -1
	s_and_saveexec_b32 s74, s75
; %bb.13719:                            ;   in Loop: Header=BB6_13372 Depth=3
	s_xor_b32 s17, exec_lo, -1
; %bb.13720:                            ;   in Loop: Header=BB6_13372 Depth=3
	s_or_b32 exec_lo, exec_lo, s74
	s_and_b32 s17, s17, exec_lo
	s_or_saveexec_b32 s73, s73
	v_mov_b32_e32 v32, 0x7f800001
	s_xor_b32 exec_lo, exec_lo, s73
	s_cbranch_execnz .LBB6_14025
.LBB6_13721:                            ;   in Loop: Header=BB6_13372 Depth=3
	s_or_b32 exec_lo, exec_lo, s73
	s_and_saveexec_b32 s73, s17
.LBB6_13722:                            ;   in Loop: Header=BB6_13372 Depth=3
	v_mov_b32_e32 v32, v8
.LBB6_13723:                            ;   in Loop: Header=BB6_13372 Depth=3
	s_or_b32 exec_lo, exec_lo, s73
	v_max_f32_e32 v8, v32, v32
	v_max_f32_e32 v9, v9, v9
	v_min_f32_e32 v9, v9, v8
.LBB6_13724:                            ;   in Loop: Header=BB6_13372 Depth=3
	v_and_b32_e32 v8, 0x7f800000, v9
	v_mov_b32_e32 v32, 0x8000
	s_mov_b32 s73, exec_lo
	v_cmpx_ne_u32_e32 0x7f800000, v8
	s_cbranch_execz .LBB6_13732
; %bb.13725:                            ;   in Loop: Header=BB6_13372 Depth=3
	v_mov_b32_e32 v32, 0
	s_mov_b32 s74, exec_lo
	v_cmpx_ne_u32_e32 0, v9
	s_cbranch_execz .LBB6_13731
; %bb.13726:                            ;   in Loop: Header=BB6_13372 Depth=3
	v_bfe_u32 v8, v9, 23, 8
	v_and_b32_e32 v32, 0x7fffff, v9
	v_sub_nc_u32_e32 v33, 0x78, v8
	v_cmp_gt_u32_e32 vcc_lo, 0x79, v8
	v_or_b32_e32 v34, 0x800000, v32
	v_cndmask_b32_e32 v33, 0, v33, vcc_lo
	v_cmp_eq_u32_e32 vcc_lo, 0, v8
	v_add_nc_u32_e32 v8, 0xffffff89, v8
	v_cndmask_b32_e64 v33, v33, 0x77, vcc_lo
	v_cndmask_b32_e32 v32, v34, v32, vcc_lo
	v_cndmask_b32_e64 v8, v8, 0xffffff8a, vcc_lo
	v_lshl_add_u32 v34, 0x100000, v33, -1
	v_lshrrev_b32_e32 v35, v33, v32
	v_lshlrev_b32_e64 v37, v33, 0x80000
	v_add_nc_u32_e32 v33, v33, v8
	v_and_b32_e32 v32, v34, v32
	v_bfe_u32 v36, v35, 20, 1
	v_cmp_eq_u32_e64 s17, v32, v37
	v_add_nc_u32_e32 v34, -1, v36
	v_cndmask_b32_e64 v32, 0, v34, s17
	v_lshrrev_b32_e32 v34, 23, v35
	s_mov_b32 s17, exec_lo
	v_add_nc_u32_e32 v32, v32, v35
	v_xor_b32_e32 v34, 1, v34
	v_and_b32_e32 v8, 0xfffff, v32
	v_add_nc_u32_e32 v32, v8, v35
                                        ; implicit-def: $vgpr8
	v_cmpx_ne_u32_e64 v33, v34
	s_xor_b32 s17, exec_lo, s17
; %bb.13727:                            ;   in Loop: Header=BB6_13372 Depth=3
	v_cmp_lt_u32_e32 vcc_lo, 0xffffff, v32
	v_sub_nc_u32_e32 v8, v33, v34
	v_cndmask_b32_e64 v33, 0, 1, vcc_lo
	v_add_co_ci_u32_e64 v8, null, 0, v8, vcc_lo
	v_lshrrev_b32_e32 v32, v33, v32
; %bb.13728:                            ;   in Loop: Header=BB6_13372 Depth=3
	s_andn2_saveexec_b32 s17, s17
; %bb.13729:                            ;   in Loop: Header=BB6_13372 Depth=3
	v_bfe_u32 v8, v32, 23, 1
; %bb.13730:                            ;   in Loop: Header=BB6_13372 Depth=3
	s_or_b32 exec_lo, exec_lo, s17
	v_lshrrev_b32_e32 v32, 20, v32
	v_min_i32_e32 v33, 15, v8
	v_cmp_gt_i32_e32 vcc_lo, 16, v8
	v_and_b32_sdwa v9, v9, v62 dst_sel:DWORD dst_unused:UNUSED_PAD src0_sel:BYTE_3 src1_sel:DWORD
	v_lshlrev_b32_e32 v33, 3, v33
	v_cndmask_b32_e32 v32, 7, v32, vcc_lo
	v_and_b32_e32 v33, 0xf8, v33
	v_and_b32_e32 v34, 7, v32
	v_or_b32_e32 v8, v8, v32
	v_or3_b32 v9, v9, v33, v34
	v_cmp_ne_u32_e32 vcc_lo, 0, v8
	v_lshlrev_b32_e32 v9, 8, v9
	v_cndmask_b32_e32 v32, 0, v9, vcc_lo
.LBB6_13731:                            ;   in Loop: Header=BB6_13372 Depth=3
	s_or_b32 exec_lo, exec_lo, s74
.LBB6_13732:                            ;   in Loop: Header=BB6_13372 Depth=3
	s_or_b32 exec_lo, exec_lo, s73
	v_bfe_u32 v8, v10, 16, 3
	v_bfe_u32 v34, v10, 19, 4
	v_lshlrev_b32_e32 v35, 8, v10
	s_mov_b32 s17, -1
	v_ffbh_u32_e32 v9, v8
	v_cmp_eq_u32_e32 vcc_lo, 0, v34
	v_min_u32_e32 v9, 32, v9
	v_subrev_nc_u32_e32 v33, 28, v9
	v_sub_nc_u32_e32 v9, 29, v9
	v_lshlrev_b32_sdwa v33, v33, v10 dst_sel:DWORD dst_unused:UNUSED_PAD src0_sel:DWORD src1_sel:WORD_1
	v_cndmask_b32_e32 v9, v34, v9, vcc_lo
	v_and_b32_e32 v33, 7, v33
	v_lshl_add_u32 v9, v9, 23, 0x3b800000
	v_cndmask_b32_e32 v8, v8, v33, vcc_lo
	v_and_b32_e32 v33, 0x80000000, v35
	s_and_b32 vcc_lo, exec_lo, s23
	v_lshlrev_b32_e32 v8, 20, v8
	v_or3_b32 v8, v33, v9, v8
                                        ; implicit-def: $vgpr9
	s_cbranch_vccz .LBB6_13746
; %bb.13733:                            ;   in Loop: Header=BB6_13372 Depth=3
	v_and_b32_sdwa v33, v14, v72 dst_sel:DWORD dst_unused:UNUSED_PAD src0_sel:WORD_1 src1_sel:DWORD
	s_mov_b32 s17, 0
	s_mov_b32 s73, exec_lo
	v_cmpx_lt_i16_e32 0x7f, v33
	s_xor_b32 s73, exec_lo, s73
	s_cbranch_execz .LBB6_14026
; %bb.13734:                            ;   in Loop: Header=BB6_13372 Depth=3
	s_mov_b32 s17, -1
	s_mov_b32 s74, exec_lo
	v_cmpx_eq_u16_e32 0x80, v33
; %bb.13735:                            ;   in Loop: Header=BB6_13372 Depth=3
	s_xor_b32 s17, exec_lo, -1
; %bb.13736:                            ;   in Loop: Header=BB6_13372 Depth=3
	s_or_b32 exec_lo, exec_lo, s74
	s_and_b32 s17, s17, exec_lo
                                        ; implicit-def: $vgpr33
	s_or_saveexec_b32 s73, s73
	v_mov_b32_e32 v9, 0x7f800001
	s_xor_b32 exec_lo, exec_lo, s73
	s_cbranch_execnz .LBB6_14027
.LBB6_13737:                            ;   in Loop: Header=BB6_13372 Depth=3
	s_or_b32 exec_lo, exec_lo, s73
	s_and_saveexec_b32 s73, s17
	s_cbranch_execz .LBB6_13739
.LBB6_13738:                            ;   in Loop: Header=BB6_13372 Depth=3
	v_bfe_u32 v9, v14, 16, 3
	v_bfe_u32 v35, v14, 19, 4
	v_lshlrev_b32_sdwa v36, v73, v14 dst_sel:DWORD dst_unused:UNUSED_PAD src0_sel:DWORD src1_sel:WORD_1
	v_ffbh_u32_e32 v33, v9
	v_cmp_eq_u32_e32 vcc_lo, 0, v35
	v_min_u32_e32 v33, 32, v33
	v_subrev_nc_u32_e32 v34, 28, v33
	v_sub_nc_u32_e32 v33, 29, v33
	v_lshlrev_b32_sdwa v34, v34, v14 dst_sel:DWORD dst_unused:UNUSED_PAD src0_sel:DWORD src1_sel:WORD_1
	v_cndmask_b32_e32 v33, v35, v33, vcc_lo
	v_and_b32_e32 v34, 7, v34
	v_lshl_add_u32 v33, v33, 23, 0x3b800000
	v_cndmask_b32_e32 v9, v9, v34, vcc_lo
	v_and_b32_e32 v34, 0x80000000, v36
	v_lshlrev_b32_e32 v9, 20, v9
	v_or3_b32 v9, v34, v33, v9
.LBB6_13739:                            ;   in Loop: Header=BB6_13372 Depth=3
	s_or_b32 exec_lo, exec_lo, s73
	v_and_b32_sdwa v34, v10, v72 dst_sel:DWORD dst_unused:UNUSED_PAD src0_sel:WORD_1 src1_sel:DWORD
	s_mov_b32 s17, 0
	s_mov_b32 s73, exec_lo
	v_cmpx_lt_i16_e32 0x7f, v34
	s_xor_b32 s73, exec_lo, s73
	s_cbranch_execz .LBB6_14028
; %bb.13740:                            ;   in Loop: Header=BB6_13372 Depth=3
	s_mov_b32 s17, -1
	s_mov_b32 s74, exec_lo
	v_cmpx_eq_u16_e32 0x80, v34
; %bb.13741:                            ;   in Loop: Header=BB6_13372 Depth=3
	s_xor_b32 s17, exec_lo, -1
; %bb.13742:                            ;   in Loop: Header=BB6_13372 Depth=3
	s_or_b32 exec_lo, exec_lo, s74
	s_and_b32 s17, s17, exec_lo
                                        ; implicit-def: $vgpr34
	s_or_saveexec_b32 s73, s73
	v_mov_b32_e32 v33, 0x7f800001
	s_xor_b32 exec_lo, exec_lo, s73
	s_cbranch_execnz .LBB6_14029
.LBB6_13743:                            ;   in Loop: Header=BB6_13372 Depth=3
	s_or_b32 exec_lo, exec_lo, s73
	s_and_saveexec_b32 s73, s17
.LBB6_13744:                            ;   in Loop: Header=BB6_13372 Depth=3
	v_mov_b32_e32 v33, v8
.LBB6_13745:                            ;   in Loop: Header=BB6_13372 Depth=3
	s_or_b32 exec_lo, exec_lo, s73
	v_max_f32_e32 v33, v33, v33
	v_max_f32_e32 v9, v9, v9
	s_mov_b32 s17, 0
	v_max_f32_e32 v9, v9, v33
.LBB6_13746:                            ;   in Loop: Header=BB6_13372 Depth=3
	s_and_b32 vcc_lo, exec_lo, s17
	s_cbranch_vccz .LBB6_13760
; %bb.13747:                            ;   in Loop: Header=BB6_13372 Depth=3
	v_and_b32_sdwa v33, v14, v72 dst_sel:DWORD dst_unused:UNUSED_PAD src0_sel:WORD_1 src1_sel:DWORD
	s_mov_b32 s17, 0
	s_mov_b32 s73, exec_lo
	v_cmpx_lt_i16_e32 0x7f, v33
	s_xor_b32 s73, exec_lo, s73
	s_cbranch_execz .LBB6_14030
; %bb.13748:                            ;   in Loop: Header=BB6_13372 Depth=3
	s_mov_b32 s17, -1
	s_mov_b32 s74, exec_lo
	v_cmpx_eq_u16_e32 0x80, v33
; %bb.13749:                            ;   in Loop: Header=BB6_13372 Depth=3
	s_xor_b32 s17, exec_lo, -1
; %bb.13750:                            ;   in Loop: Header=BB6_13372 Depth=3
	s_or_b32 exec_lo, exec_lo, s74
	s_and_b32 s17, s17, exec_lo
                                        ; implicit-def: $vgpr33
	s_or_saveexec_b32 s73, s73
	v_mov_b32_e32 v9, 0x7f800001
	s_xor_b32 exec_lo, exec_lo, s73
	s_cbranch_execnz .LBB6_14031
.LBB6_13751:                            ;   in Loop: Header=BB6_13372 Depth=3
	s_or_b32 exec_lo, exec_lo, s73
	s_and_saveexec_b32 s73, s17
	s_cbranch_execz .LBB6_13753
.LBB6_13752:                            ;   in Loop: Header=BB6_13372 Depth=3
	v_bfe_u32 v9, v14, 16, 3
	v_bfe_u32 v35, v14, 19, 4
	v_lshlrev_b32_sdwa v36, v73, v14 dst_sel:DWORD dst_unused:UNUSED_PAD src0_sel:DWORD src1_sel:WORD_1
	v_ffbh_u32_e32 v33, v9
	v_cmp_eq_u32_e32 vcc_lo, 0, v35
	v_min_u32_e32 v33, 32, v33
	v_subrev_nc_u32_e32 v34, 28, v33
	v_sub_nc_u32_e32 v33, 29, v33
	v_lshlrev_b32_sdwa v34, v34, v14 dst_sel:DWORD dst_unused:UNUSED_PAD src0_sel:DWORD src1_sel:WORD_1
	v_cndmask_b32_e32 v33, v35, v33, vcc_lo
	v_and_b32_e32 v34, 7, v34
	v_lshl_add_u32 v33, v33, 23, 0x3b800000
	v_cndmask_b32_e32 v9, v9, v34, vcc_lo
	v_and_b32_e32 v34, 0x80000000, v36
	v_lshlrev_b32_e32 v9, 20, v9
	v_or3_b32 v9, v34, v33, v9
.LBB6_13753:                            ;   in Loop: Header=BB6_13372 Depth=3
	s_or_b32 exec_lo, exec_lo, s73
	v_and_b32_sdwa v34, v10, v72 dst_sel:DWORD dst_unused:UNUSED_PAD src0_sel:WORD_1 src1_sel:DWORD
	s_mov_b32 s17, 0
	s_mov_b32 s73, exec_lo
	v_cmpx_lt_i16_e32 0x7f, v34
	s_xor_b32 s73, exec_lo, s73
	s_cbranch_execz .LBB6_14032
; %bb.13754:                            ;   in Loop: Header=BB6_13372 Depth=3
	s_mov_b32 s17, -1
	s_mov_b32 s74, exec_lo
	v_cmpx_eq_u16_e32 0x80, v34
; %bb.13755:                            ;   in Loop: Header=BB6_13372 Depth=3
	s_xor_b32 s17, exec_lo, -1
; %bb.13756:                            ;   in Loop: Header=BB6_13372 Depth=3
	s_or_b32 exec_lo, exec_lo, s74
	s_and_b32 s17, s17, exec_lo
                                        ; implicit-def: $vgpr34
	s_or_saveexec_b32 s73, s73
	v_mov_b32_e32 v33, 0x7f800001
	s_xor_b32 exec_lo, exec_lo, s73
	s_cbranch_execnz .LBB6_14033
.LBB6_13757:                            ;   in Loop: Header=BB6_13372 Depth=3
	s_or_b32 exec_lo, exec_lo, s73
	s_and_saveexec_b32 s73, s17
.LBB6_13758:                            ;   in Loop: Header=BB6_13372 Depth=3
	v_mov_b32_e32 v33, v8
.LBB6_13759:                            ;   in Loop: Header=BB6_13372 Depth=3
	s_or_b32 exec_lo, exec_lo, s73
	v_max_f32_e32 v8, v33, v33
	v_max_f32_e32 v9, v9, v9
	v_min_f32_e32 v9, v9, v8
.LBB6_13760:                            ;   in Loop: Header=BB6_13372 Depth=3
	v_and_b32_e32 v8, 0x7f800000, v9
	v_mov_b32_e32 v33, 0x80
	s_mov_b32 s73, exec_lo
	v_cmpx_ne_u32_e32 0x7f800000, v8
	s_cbranch_execz .LBB6_13768
; %bb.13761:                            ;   in Loop: Header=BB6_13372 Depth=3
	v_mov_b32_e32 v33, 0
	s_mov_b32 s74, exec_lo
	v_cmpx_ne_u32_e32 0, v9
	s_cbranch_execz .LBB6_13767
; %bb.13762:                            ;   in Loop: Header=BB6_13372 Depth=3
	v_bfe_u32 v8, v9, 23, 8
	v_and_b32_e32 v33, 0x7fffff, v9
	v_sub_nc_u32_e32 v34, 0x78, v8
	v_cmp_gt_u32_e32 vcc_lo, 0x79, v8
	v_or_b32_e32 v35, 0x800000, v33
	v_cndmask_b32_e32 v34, 0, v34, vcc_lo
	v_cmp_eq_u32_e32 vcc_lo, 0, v8
	v_add_nc_u32_e32 v8, 0xffffff89, v8
	v_cndmask_b32_e64 v34, v34, 0x77, vcc_lo
	v_cndmask_b32_e32 v33, v35, v33, vcc_lo
	v_cndmask_b32_e64 v8, v8, 0xffffff8a, vcc_lo
	v_lshl_add_u32 v35, 0x100000, v34, -1
	v_lshrrev_b32_e32 v36, v34, v33
	v_lshlrev_b32_e64 v38, v34, 0x80000
	v_add_nc_u32_e32 v34, v34, v8
	v_and_b32_e32 v33, v35, v33
	v_bfe_u32 v37, v36, 20, 1
	v_cmp_eq_u32_e64 s17, v33, v38
	v_add_nc_u32_e32 v35, -1, v37
	v_cndmask_b32_e64 v33, 0, v35, s17
	v_lshrrev_b32_e32 v35, 23, v36
	s_mov_b32 s17, exec_lo
	v_add_nc_u32_e32 v33, v33, v36
	v_xor_b32_e32 v35, 1, v35
	v_and_b32_e32 v8, 0xfffff, v33
	v_add_nc_u32_e32 v33, v8, v36
                                        ; implicit-def: $vgpr8
	v_cmpx_ne_u32_e64 v34, v35
	s_xor_b32 s17, exec_lo, s17
; %bb.13763:                            ;   in Loop: Header=BB6_13372 Depth=3
	v_cmp_lt_u32_e32 vcc_lo, 0xffffff, v33
	v_sub_nc_u32_e32 v8, v34, v35
	v_cndmask_b32_e64 v34, 0, 1, vcc_lo
	v_add_co_ci_u32_e64 v8, null, 0, v8, vcc_lo
	v_lshrrev_b32_e32 v33, v34, v33
; %bb.13764:                            ;   in Loop: Header=BB6_13372 Depth=3
	s_andn2_saveexec_b32 s17, s17
; %bb.13765:                            ;   in Loop: Header=BB6_13372 Depth=3
	v_bfe_u32 v8, v33, 23, 1
; %bb.13766:                            ;   in Loop: Header=BB6_13372 Depth=3
	s_or_b32 exec_lo, exec_lo, s17
	v_lshrrev_b32_e32 v33, 20, v33
	v_min_i32_e32 v34, 15, v8
	v_cmp_gt_i32_e32 vcc_lo, 16, v8
	v_and_b32_sdwa v9, v9, v62 dst_sel:DWORD dst_unused:UNUSED_PAD src0_sel:BYTE_3 src1_sel:DWORD
	v_lshlrev_b32_e32 v34, 3, v34
	v_cndmask_b32_e32 v33, 7, v33, vcc_lo
	v_and_b32_e32 v34, 0xf8, v34
	v_and_b32_e32 v35, 7, v33
	v_or_b32_e32 v8, v8, v33
	v_or3_b32 v9, v34, v9, v35
	v_cmp_ne_u32_e32 vcc_lo, 0, v8
	v_cndmask_b32_e32 v33, 0, v9, vcc_lo
.LBB6_13767:                            ;   in Loop: Header=BB6_13372 Depth=3
	s_or_b32 exec_lo, exec_lo, s74
.LBB6_13768:                            ;   in Loop: Header=BB6_13372 Depth=3
	s_or_b32 exec_lo, exec_lo, s73
	v_bfe_u32 v8, v10, 24, 3
	v_bfe_u32 v35, v10, 27, 4
	s_mov_b32 s17, -1
	v_ffbh_u32_e32 v9, v8
	v_cmp_eq_u32_e32 vcc_lo, 0, v35
	v_min_u32_e32 v9, 32, v9
	v_subrev_nc_u32_e32 v34, 28, v9
	v_sub_nc_u32_e32 v9, 29, v9
	v_lshlrev_b32_sdwa v34, v34, v10 dst_sel:DWORD dst_unused:UNUSED_PAD src0_sel:DWORD src1_sel:BYTE_3
	v_cndmask_b32_e32 v9, v35, v9, vcc_lo
	v_and_b32_e32 v34, 7, v34
	v_lshl_add_u32 v9, v9, 23, 0x3b800000
	v_cndmask_b32_e32 v8, v8, v34, vcc_lo
	v_and_b32_e32 v34, 0x80000000, v10
	s_and_b32 vcc_lo, exec_lo, s23
	v_lshlrev_b32_e32 v8, 20, v8
	v_or3_b32 v8, v34, v9, v8
                                        ; implicit-def: $vgpr9
	s_cbranch_vccz .LBB6_13782
; %bb.13769:                            ;   in Loop: Header=BB6_13372 Depth=3
	v_cmp_gt_i16_sdwa s73, v14, v61 src0_sel:BYTE_3 src1_sel:DWORD
	s_mov_b32 s17, 0
	s_and_saveexec_b32 s74, s73
	s_xor_b32 s73, exec_lo, s74
	s_cbranch_execz .LBB6_14034
; %bb.13770:                            ;   in Loop: Header=BB6_13372 Depth=3
	v_cmp_eq_u16_sdwa s75, v14, v62 src0_sel:BYTE_3 src1_sel:DWORD
	s_mov_b32 s17, -1
	s_and_saveexec_b32 s74, s75
; %bb.13771:                            ;   in Loop: Header=BB6_13372 Depth=3
	s_xor_b32 s17, exec_lo, -1
; %bb.13772:                            ;   in Loop: Header=BB6_13372 Depth=3
	s_or_b32 exec_lo, exec_lo, s74
	s_and_b32 s17, s17, exec_lo
	s_or_saveexec_b32 s73, s73
	v_mov_b32_e32 v9, 0x7f800001
	s_xor_b32 exec_lo, exec_lo, s73
	s_cbranch_execnz .LBB6_14035
.LBB6_13773:                            ;   in Loop: Header=BB6_13372 Depth=3
	s_or_b32 exec_lo, exec_lo, s73
	s_and_saveexec_b32 s73, s17
	s_cbranch_execz .LBB6_13775
.LBB6_13774:                            ;   in Loop: Header=BB6_13372 Depth=3
	v_bfe_u32 v9, v14, 24, 3
	v_bfe_u32 v36, v14, 27, 4
	v_ffbh_u32_e32 v34, v9
	v_cmp_eq_u32_e32 vcc_lo, 0, v36
	v_min_u32_e32 v34, 32, v34
	v_subrev_nc_u32_e32 v35, 28, v34
	v_sub_nc_u32_e32 v34, 29, v34
	v_lshlrev_b32_sdwa v35, v35, v14 dst_sel:DWORD dst_unused:UNUSED_PAD src0_sel:DWORD src1_sel:BYTE_3
	v_cndmask_b32_e32 v34, v36, v34, vcc_lo
	v_and_b32_e32 v35, 7, v35
	v_lshl_add_u32 v34, v34, 23, 0x3b800000
	v_cndmask_b32_e32 v9, v9, v35, vcc_lo
	v_and_b32_e32 v35, 0x80000000, v14
	v_lshlrev_b32_e32 v9, 20, v9
	v_or3_b32 v9, v35, v34, v9
.LBB6_13775:                            ;   in Loop: Header=BB6_13372 Depth=3
	s_or_b32 exec_lo, exec_lo, s73
	v_cmp_gt_i16_sdwa s73, v10, v61 src0_sel:BYTE_3 src1_sel:DWORD
	s_mov_b32 s17, 0
	s_and_saveexec_b32 s74, s73
	s_xor_b32 s73, exec_lo, s74
	s_cbranch_execz .LBB6_14036
; %bb.13776:                            ;   in Loop: Header=BB6_13372 Depth=3
	v_cmp_eq_u16_sdwa s75, v10, v62 src0_sel:BYTE_3 src1_sel:DWORD
	s_mov_b32 s17, -1
	s_and_saveexec_b32 s74, s75
; %bb.13777:                            ;   in Loop: Header=BB6_13372 Depth=3
	s_xor_b32 s17, exec_lo, -1
; %bb.13778:                            ;   in Loop: Header=BB6_13372 Depth=3
	s_or_b32 exec_lo, exec_lo, s74
	s_and_b32 s17, s17, exec_lo
	s_or_saveexec_b32 s73, s73
	v_mov_b32_e32 v34, 0x7f800001
	s_xor_b32 exec_lo, exec_lo, s73
	s_cbranch_execnz .LBB6_14037
.LBB6_13779:                            ;   in Loop: Header=BB6_13372 Depth=3
	s_or_b32 exec_lo, exec_lo, s73
	s_and_saveexec_b32 s73, s17
.LBB6_13780:                            ;   in Loop: Header=BB6_13372 Depth=3
	v_mov_b32_e32 v34, v8
.LBB6_13781:                            ;   in Loop: Header=BB6_13372 Depth=3
	s_or_b32 exec_lo, exec_lo, s73
	v_max_f32_e32 v34, v34, v34
	v_max_f32_e32 v9, v9, v9
	s_mov_b32 s17, 0
	v_max_f32_e32 v9, v9, v34
.LBB6_13782:                            ;   in Loop: Header=BB6_13372 Depth=3
	s_and_b32 vcc_lo, exec_lo, s17
	s_cbranch_vccz .LBB6_13796
; %bb.13783:                            ;   in Loop: Header=BB6_13372 Depth=3
	v_cmp_gt_i16_sdwa s73, v14, v61 src0_sel:BYTE_3 src1_sel:DWORD
	s_mov_b32 s17, 0
	s_and_saveexec_b32 s74, s73
	s_xor_b32 s73, exec_lo, s74
	s_cbranch_execz .LBB6_14038
; %bb.13784:                            ;   in Loop: Header=BB6_13372 Depth=3
	v_cmp_eq_u16_sdwa s75, v14, v62 src0_sel:BYTE_3 src1_sel:DWORD
	s_mov_b32 s17, -1
	s_and_saveexec_b32 s74, s75
; %bb.13785:                            ;   in Loop: Header=BB6_13372 Depth=3
	s_xor_b32 s17, exec_lo, -1
; %bb.13786:                            ;   in Loop: Header=BB6_13372 Depth=3
	s_or_b32 exec_lo, exec_lo, s74
	s_and_b32 s17, s17, exec_lo
	s_or_saveexec_b32 s73, s73
	v_mov_b32_e32 v9, 0x7f800001
	s_xor_b32 exec_lo, exec_lo, s73
	s_cbranch_execnz .LBB6_14039
.LBB6_13787:                            ;   in Loop: Header=BB6_13372 Depth=3
	s_or_b32 exec_lo, exec_lo, s73
	s_and_saveexec_b32 s73, s17
	s_cbranch_execz .LBB6_13789
.LBB6_13788:                            ;   in Loop: Header=BB6_13372 Depth=3
	v_bfe_u32 v9, v14, 24, 3
	v_bfe_u32 v36, v14, 27, 4
	v_ffbh_u32_e32 v34, v9
	v_cmp_eq_u32_e32 vcc_lo, 0, v36
	v_min_u32_e32 v34, 32, v34
	v_subrev_nc_u32_e32 v35, 28, v34
	v_sub_nc_u32_e32 v34, 29, v34
	v_lshlrev_b32_sdwa v35, v35, v14 dst_sel:DWORD dst_unused:UNUSED_PAD src0_sel:DWORD src1_sel:BYTE_3
	v_cndmask_b32_e32 v34, v36, v34, vcc_lo
	v_and_b32_e32 v14, 0x80000000, v14
	v_and_b32_e32 v35, 7, v35
	v_lshl_add_u32 v34, v34, 23, 0x3b800000
	v_cndmask_b32_e32 v9, v9, v35, vcc_lo
	v_lshlrev_b32_e32 v9, 20, v9
	v_or3_b32 v9, v14, v34, v9
.LBB6_13789:                            ;   in Loop: Header=BB6_13372 Depth=3
	s_or_b32 exec_lo, exec_lo, s73
	v_cmp_gt_i16_sdwa s73, v10, v61 src0_sel:BYTE_3 src1_sel:DWORD
	s_mov_b32 s17, 0
	s_and_saveexec_b32 s74, s73
	s_xor_b32 s73, exec_lo, s74
	s_cbranch_execz .LBB6_14040
; %bb.13790:                            ;   in Loop: Header=BB6_13372 Depth=3
	v_cmp_eq_u16_sdwa s75, v10, v62 src0_sel:BYTE_3 src1_sel:DWORD
	s_mov_b32 s17, -1
	s_and_saveexec_b32 s74, s75
; %bb.13791:                            ;   in Loop: Header=BB6_13372 Depth=3
	s_xor_b32 s17, exec_lo, -1
; %bb.13792:                            ;   in Loop: Header=BB6_13372 Depth=3
	s_or_b32 exec_lo, exec_lo, s74
	s_and_b32 s17, s17, exec_lo
	s_or_saveexec_b32 s73, s73
	v_mov_b32_e32 v14, 0x7f800001
	s_xor_b32 exec_lo, exec_lo, s73
	s_cbranch_execnz .LBB6_14041
.LBB6_13793:                            ;   in Loop: Header=BB6_13372 Depth=3
	s_or_b32 exec_lo, exec_lo, s73
	s_and_saveexec_b32 s73, s17
.LBB6_13794:                            ;   in Loop: Header=BB6_13372 Depth=3
	v_mov_b32_e32 v14, v8
.LBB6_13795:                            ;   in Loop: Header=BB6_13372 Depth=3
	s_or_b32 exec_lo, exec_lo, s73
	v_max_f32_e32 v8, v14, v14
	v_max_f32_e32 v9, v9, v9
	v_min_f32_e32 v9, v9, v8
.LBB6_13796:                            ;   in Loop: Header=BB6_13372 Depth=3
	v_and_b32_e32 v8, 0x7f800000, v9
	v_mov_b32_e32 v14, 0x8000
	s_mov_b32 s73, exec_lo
	v_cmpx_ne_u32_e32 0x7f800000, v8
	s_cbranch_execz .LBB6_13804
; %bb.13797:                            ;   in Loop: Header=BB6_13372 Depth=3
	v_mov_b32_e32 v14, 0
	s_mov_b32 s74, exec_lo
	v_cmpx_ne_u32_e32 0, v9
	s_cbranch_execz .LBB6_13803
; %bb.13798:                            ;   in Loop: Header=BB6_13372 Depth=3
	v_bfe_u32 v8, v9, 23, 8
	v_and_b32_e32 v10, 0x7fffff, v9
	v_sub_nc_u32_e32 v14, 0x78, v8
	v_cmp_gt_u32_e32 vcc_lo, 0x79, v8
	v_or_b32_e32 v34, 0x800000, v10
	v_cndmask_b32_e32 v14, 0, v14, vcc_lo
	v_cmp_eq_u32_e32 vcc_lo, 0, v8
	v_add_nc_u32_e32 v8, 0xffffff89, v8
	v_cndmask_b32_e64 v14, v14, 0x77, vcc_lo
	v_cndmask_b32_e32 v10, v34, v10, vcc_lo
	v_cndmask_b32_e64 v8, v8, 0xffffff8a, vcc_lo
	v_lshl_add_u32 v34, 0x100000, v14, -1
	v_lshrrev_b32_e32 v35, v14, v10
	v_lshlrev_b32_e64 v37, v14, 0x80000
	v_add_nc_u32_e32 v14, v14, v8
	v_and_b32_e32 v10, v34, v10
	v_bfe_u32 v36, v35, 20, 1
	v_cmp_eq_u32_e64 s17, v10, v37
	v_add_nc_u32_e32 v34, -1, v36
	v_cndmask_b32_e64 v10, 0, v34, s17
	v_lshrrev_b32_e32 v34, 23, v35
	s_mov_b32 s17, exec_lo
	v_add_nc_u32_e32 v10, v10, v35
	v_xor_b32_e32 v34, 1, v34
	v_and_b32_e32 v8, 0xfffff, v10
	v_add_nc_u32_e32 v10, v8, v35
                                        ; implicit-def: $vgpr8
	v_cmpx_ne_u32_e64 v14, v34
	s_xor_b32 s17, exec_lo, s17
; %bb.13799:                            ;   in Loop: Header=BB6_13372 Depth=3
	v_cmp_lt_u32_e32 vcc_lo, 0xffffff, v10
	v_sub_nc_u32_e32 v8, v14, v34
	v_cndmask_b32_e64 v14, 0, 1, vcc_lo
	v_add_co_ci_u32_e64 v8, null, 0, v8, vcc_lo
	v_lshrrev_b32_e32 v10, v14, v10
; %bb.13800:                            ;   in Loop: Header=BB6_13372 Depth=3
	s_andn2_saveexec_b32 s17, s17
; %bb.13801:                            ;   in Loop: Header=BB6_13372 Depth=3
	v_bfe_u32 v8, v10, 23, 1
; %bb.13802:                            ;   in Loop: Header=BB6_13372 Depth=3
	s_or_b32 exec_lo, exec_lo, s17
	v_lshrrev_b32_e32 v10, 20, v10
	v_min_i32_e32 v14, 15, v8
	v_cmp_gt_i32_e32 vcc_lo, 16, v8
	v_and_b32_sdwa v9, v9, v62 dst_sel:DWORD dst_unused:UNUSED_PAD src0_sel:BYTE_3 src1_sel:DWORD
	v_lshlrev_b32_e32 v14, 3, v14
	v_cndmask_b32_e32 v10, 7, v10, vcc_lo
	v_and_b32_e32 v14, 0xf8, v14
	v_and_b32_e32 v34, 7, v10
	v_or_b32_e32 v8, v8, v10
	v_or3_b32 v9, v9, v14, v34
	v_cmp_ne_u32_e32 vcc_lo, 0, v8
	v_lshlrev_b32_e32 v9, 8, v9
	v_cndmask_b32_e32 v14, 0, v9, vcc_lo
.LBB6_13803:                            ;   in Loop: Header=BB6_13372 Depth=3
	s_or_b32 exec_lo, exec_lo, s74
.LBB6_13804:                            ;   in Loop: Header=BB6_13372 Depth=3
	s_or_b32 exec_lo, exec_lo, s73
	v_and_b32_e32 v8, 7, v11
	v_bfe_u32 v34, v11, 3, 4
	v_lshlrev_b32_e32 v35, 24, v11
	s_mov_b32 s17, -1
	v_ffbh_u32_e32 v9, v8
	v_cmp_eq_u32_e32 vcc_lo, 0, v34
	v_min_u32_e32 v9, 32, v9
	v_subrev_nc_u32_e32 v10, 28, v9
	v_sub_nc_u32_e32 v9, 29, v9
	v_lshlrev_b32_e32 v10, v10, v11
	v_cndmask_b32_e32 v9, v34, v9, vcc_lo
	v_and_b32_e32 v10, 7, v10
	v_lshl_add_u32 v9, v9, 23, 0x3b800000
	v_cndmask_b32_e32 v8, v8, v10, vcc_lo
	v_and_b32_e32 v10, 0x80000000, v35
	s_and_b32 vcc_lo, exec_lo, s23
	v_lshlrev_b32_e32 v8, 20, v8
	v_or3_b32 v8, v10, v9, v8
                                        ; implicit-def: $vgpr9
	s_cbranch_vccz .LBB6_13818
; %bb.13805:                            ;   in Loop: Header=BB6_13372 Depth=3
	v_cmp_gt_i16_sdwa s73, v15, v61 src0_sel:BYTE_0 src1_sel:DWORD
	s_mov_b32 s17, 0
	s_and_saveexec_b32 s74, s73
	s_xor_b32 s73, exec_lo, s74
	s_cbranch_execz .LBB6_14042
; %bb.13806:                            ;   in Loop: Header=BB6_13372 Depth=3
	v_cmp_eq_u16_sdwa s75, v15, v62 src0_sel:BYTE_0 src1_sel:DWORD
	s_mov_b32 s17, -1
	s_and_saveexec_b32 s74, s75
; %bb.13807:                            ;   in Loop: Header=BB6_13372 Depth=3
	s_xor_b32 s17, exec_lo, -1
; %bb.13808:                            ;   in Loop: Header=BB6_13372 Depth=3
	s_or_b32 exec_lo, exec_lo, s74
	s_and_b32 s17, s17, exec_lo
	s_or_saveexec_b32 s73, s73
	v_mov_b32_e32 v9, 0x7f800001
	s_xor_b32 exec_lo, exec_lo, s73
	s_cbranch_execnz .LBB6_14043
.LBB6_13809:                            ;   in Loop: Header=BB6_13372 Depth=3
	s_or_b32 exec_lo, exec_lo, s73
	s_and_saveexec_b32 s73, s17
	s_cbranch_execz .LBB6_13811
.LBB6_13810:                            ;   in Loop: Header=BB6_13372 Depth=3
	v_and_b32_e32 v9, 7, v15
	v_bfe_u32 v35, v15, 3, 4
	v_lshlrev_b32_e32 v36, 24, v15
	v_ffbh_u32_e32 v10, v9
	v_cmp_eq_u32_e32 vcc_lo, 0, v35
	v_min_u32_e32 v10, 32, v10
	v_subrev_nc_u32_e32 v34, 28, v10
	v_sub_nc_u32_e32 v10, 29, v10
	v_lshlrev_b32_e32 v34, v34, v15
	v_cndmask_b32_e32 v10, v35, v10, vcc_lo
	v_and_b32_e32 v34, 7, v34
	v_lshl_add_u32 v10, v10, 23, 0x3b800000
	v_cndmask_b32_e32 v9, v9, v34, vcc_lo
	v_and_b32_e32 v34, 0x80000000, v36
	v_lshlrev_b32_e32 v9, 20, v9
	v_or3_b32 v9, v34, v10, v9
.LBB6_13811:                            ;   in Loop: Header=BB6_13372 Depth=3
	s_or_b32 exec_lo, exec_lo, s73
	v_cmp_gt_i16_sdwa s73, v11, v61 src0_sel:BYTE_0 src1_sel:DWORD
	s_mov_b32 s17, 0
	s_and_saveexec_b32 s74, s73
	s_xor_b32 s73, exec_lo, s74
	s_cbranch_execz .LBB6_14044
; %bb.13812:                            ;   in Loop: Header=BB6_13372 Depth=3
	v_cmp_eq_u16_sdwa s75, v11, v62 src0_sel:BYTE_0 src1_sel:DWORD
	s_mov_b32 s17, -1
	s_and_saveexec_b32 s74, s75
; %bb.13813:                            ;   in Loop: Header=BB6_13372 Depth=3
	s_xor_b32 s17, exec_lo, -1
; %bb.13814:                            ;   in Loop: Header=BB6_13372 Depth=3
	s_or_b32 exec_lo, exec_lo, s74
	s_and_b32 s17, s17, exec_lo
	s_or_saveexec_b32 s73, s73
	v_mov_b32_e32 v10, 0x7f800001
	s_xor_b32 exec_lo, exec_lo, s73
	s_cbranch_execnz .LBB6_14045
.LBB6_13815:                            ;   in Loop: Header=BB6_13372 Depth=3
	s_or_b32 exec_lo, exec_lo, s73
	s_and_saveexec_b32 s73, s17
.LBB6_13816:                            ;   in Loop: Header=BB6_13372 Depth=3
	v_mov_b32_e32 v10, v8
.LBB6_13817:                            ;   in Loop: Header=BB6_13372 Depth=3
	s_or_b32 exec_lo, exec_lo, s73
	v_max_f32_e32 v10, v10, v10
	v_max_f32_e32 v9, v9, v9
	s_mov_b32 s17, 0
	v_max_f32_e32 v9, v9, v10
.LBB6_13818:                            ;   in Loop: Header=BB6_13372 Depth=3
	s_and_b32 vcc_lo, exec_lo, s17
	s_cbranch_vccz .LBB6_13832
; %bb.13819:                            ;   in Loop: Header=BB6_13372 Depth=3
	v_cmp_gt_i16_sdwa s73, v15, v61 src0_sel:BYTE_0 src1_sel:DWORD
	s_mov_b32 s17, 0
	s_and_saveexec_b32 s74, s73
	s_xor_b32 s73, exec_lo, s74
	s_cbranch_execz .LBB6_14046
; %bb.13820:                            ;   in Loop: Header=BB6_13372 Depth=3
	v_cmp_eq_u16_sdwa s75, v15, v62 src0_sel:BYTE_0 src1_sel:DWORD
	s_mov_b32 s17, -1
	s_and_saveexec_b32 s74, s75
; %bb.13821:                            ;   in Loop: Header=BB6_13372 Depth=3
	s_xor_b32 s17, exec_lo, -1
; %bb.13822:                            ;   in Loop: Header=BB6_13372 Depth=3
	s_or_b32 exec_lo, exec_lo, s74
	s_and_b32 s17, s17, exec_lo
	s_or_saveexec_b32 s73, s73
	v_mov_b32_e32 v9, 0x7f800001
	s_xor_b32 exec_lo, exec_lo, s73
	s_cbranch_execnz .LBB6_14047
.LBB6_13823:                            ;   in Loop: Header=BB6_13372 Depth=3
	s_or_b32 exec_lo, exec_lo, s73
	s_and_saveexec_b32 s73, s17
	s_cbranch_execz .LBB6_13825
.LBB6_13824:                            ;   in Loop: Header=BB6_13372 Depth=3
	v_and_b32_e32 v9, 7, v15
	v_bfe_u32 v35, v15, 3, 4
	v_lshlrev_b32_e32 v36, 24, v15
	v_ffbh_u32_e32 v10, v9
	v_cmp_eq_u32_e32 vcc_lo, 0, v35
	v_min_u32_e32 v10, 32, v10
	v_subrev_nc_u32_e32 v34, 28, v10
	v_sub_nc_u32_e32 v10, 29, v10
	v_lshlrev_b32_e32 v34, v34, v15
	v_cndmask_b32_e32 v10, v35, v10, vcc_lo
	v_and_b32_e32 v34, 7, v34
	v_lshl_add_u32 v10, v10, 23, 0x3b800000
	v_cndmask_b32_e32 v9, v9, v34, vcc_lo
	v_and_b32_e32 v34, 0x80000000, v36
	v_lshlrev_b32_e32 v9, 20, v9
	v_or3_b32 v9, v34, v10, v9
.LBB6_13825:                            ;   in Loop: Header=BB6_13372 Depth=3
	s_or_b32 exec_lo, exec_lo, s73
	v_cmp_gt_i16_sdwa s73, v11, v61 src0_sel:BYTE_0 src1_sel:DWORD
	s_mov_b32 s17, 0
	s_and_saveexec_b32 s74, s73
	s_xor_b32 s73, exec_lo, s74
	s_cbranch_execz .LBB6_14048
; %bb.13826:                            ;   in Loop: Header=BB6_13372 Depth=3
	v_cmp_eq_u16_sdwa s75, v11, v62 src0_sel:BYTE_0 src1_sel:DWORD
	s_mov_b32 s17, -1
	s_and_saveexec_b32 s74, s75
; %bb.13827:                            ;   in Loop: Header=BB6_13372 Depth=3
	s_xor_b32 s17, exec_lo, -1
; %bb.13828:                            ;   in Loop: Header=BB6_13372 Depth=3
	s_or_b32 exec_lo, exec_lo, s74
	s_and_b32 s17, s17, exec_lo
	s_or_saveexec_b32 s73, s73
	v_mov_b32_e32 v10, 0x7f800001
	s_xor_b32 exec_lo, exec_lo, s73
	s_cbranch_execnz .LBB6_14049
.LBB6_13829:                            ;   in Loop: Header=BB6_13372 Depth=3
	s_or_b32 exec_lo, exec_lo, s73
	s_and_saveexec_b32 s73, s17
.LBB6_13830:                            ;   in Loop: Header=BB6_13372 Depth=3
	v_mov_b32_e32 v10, v8
.LBB6_13831:                            ;   in Loop: Header=BB6_13372 Depth=3
	s_or_b32 exec_lo, exec_lo, s73
	v_max_f32_e32 v8, v10, v10
	v_max_f32_e32 v9, v9, v9
	v_min_f32_e32 v9, v9, v8
.LBB6_13832:                            ;   in Loop: Header=BB6_13372 Depth=3
	v_and_b32_e32 v8, 0x7f800000, v9
	v_mov_b32_e32 v34, 0x80
	s_mov_b32 s73, exec_lo
	v_cmpx_ne_u32_e32 0x7f800000, v8
	s_cbranch_execz .LBB6_13840
; %bb.13833:                            ;   in Loop: Header=BB6_13372 Depth=3
	v_mov_b32_e32 v34, 0
	s_mov_b32 s74, exec_lo
	v_cmpx_ne_u32_e32 0, v9
	s_cbranch_execz .LBB6_13839
; %bb.13834:                            ;   in Loop: Header=BB6_13372 Depth=3
	v_bfe_u32 v8, v9, 23, 8
	v_and_b32_e32 v10, 0x7fffff, v9
	v_sub_nc_u32_e32 v34, 0x78, v8
	v_cmp_gt_u32_e32 vcc_lo, 0x79, v8
	v_or_b32_e32 v35, 0x800000, v10
	v_cndmask_b32_e32 v34, 0, v34, vcc_lo
	v_cmp_eq_u32_e32 vcc_lo, 0, v8
	v_add_nc_u32_e32 v8, 0xffffff89, v8
	v_cndmask_b32_e64 v34, v34, 0x77, vcc_lo
	v_cndmask_b32_e32 v10, v35, v10, vcc_lo
	v_cndmask_b32_e64 v8, v8, 0xffffff8a, vcc_lo
	v_lshl_add_u32 v35, 0x100000, v34, -1
	v_lshrrev_b32_e32 v36, v34, v10
	v_lshlrev_b32_e64 v38, v34, 0x80000
	v_add_nc_u32_e32 v34, v34, v8
	v_and_b32_e32 v10, v35, v10
	v_bfe_u32 v37, v36, 20, 1
	v_cmp_eq_u32_e64 s17, v10, v38
	v_add_nc_u32_e32 v35, -1, v37
	v_cndmask_b32_e64 v10, 0, v35, s17
	v_lshrrev_b32_e32 v35, 23, v36
	s_mov_b32 s17, exec_lo
	v_add_nc_u32_e32 v10, v10, v36
	v_xor_b32_e32 v35, 1, v35
	v_and_b32_e32 v8, 0xfffff, v10
	v_add_nc_u32_e32 v10, v8, v36
                                        ; implicit-def: $vgpr8
	v_cmpx_ne_u32_e64 v34, v35
	s_xor_b32 s17, exec_lo, s17
; %bb.13835:                            ;   in Loop: Header=BB6_13372 Depth=3
	v_cmp_lt_u32_e32 vcc_lo, 0xffffff, v10
	v_sub_nc_u32_e32 v8, v34, v35
	v_cndmask_b32_e64 v34, 0, 1, vcc_lo
	v_add_co_ci_u32_e64 v8, null, 0, v8, vcc_lo
	v_lshrrev_b32_e32 v10, v34, v10
; %bb.13836:                            ;   in Loop: Header=BB6_13372 Depth=3
	s_andn2_saveexec_b32 s17, s17
; %bb.13837:                            ;   in Loop: Header=BB6_13372 Depth=3
	v_bfe_u32 v8, v10, 23, 1
; %bb.13838:                            ;   in Loop: Header=BB6_13372 Depth=3
	s_or_b32 exec_lo, exec_lo, s17
	v_lshrrev_b32_e32 v10, 20, v10
	v_min_i32_e32 v34, 15, v8
	v_cmp_gt_i32_e32 vcc_lo, 16, v8
	v_and_b32_sdwa v9, v9, v62 dst_sel:DWORD dst_unused:UNUSED_PAD src0_sel:BYTE_3 src1_sel:DWORD
	v_lshlrev_b32_e32 v34, 3, v34
	v_cndmask_b32_e32 v10, 7, v10, vcc_lo
	v_and_b32_e32 v34, 0xf8, v34
	v_and_b32_e32 v35, 7, v10
	v_or_b32_e32 v8, v8, v10
	v_or3_b32 v9, v34, v9, v35
	v_cmp_ne_u32_e32 vcc_lo, 0, v8
	v_cndmask_b32_e32 v34, 0, v9, vcc_lo
.LBB6_13839:                            ;   in Loop: Header=BB6_13372 Depth=3
	s_or_b32 exec_lo, exec_lo, s74
.LBB6_13840:                            ;   in Loop: Header=BB6_13372 Depth=3
	s_or_b32 exec_lo, exec_lo, s73
	v_and_b32_sdwa v8, v63, v11 dst_sel:DWORD dst_unused:UNUSED_PAD src0_sel:DWORD src1_sel:BYTE_1
	s_mov_b32 s17, -1
	v_and_b32_e32 v9, 7, v8
	v_bfe_u32 v36, v8, 3, 4
	v_ffbh_u32_e32 v10, v9
	v_cmp_eq_u32_e32 vcc_lo, 0, v36
	v_min_u32_e32 v10, 32, v10
	v_subrev_nc_u32_e32 v35, 28, v10
	v_sub_nc_u32_e32 v10, 29, v10
	v_lshlrev_b32_e32 v8, v35, v8
	v_lshlrev_b32_sdwa v35, v73, v11 dst_sel:DWORD dst_unused:UNUSED_PAD src0_sel:DWORD src1_sel:BYTE_1
	v_cndmask_b32_e32 v10, v36, v10, vcc_lo
	v_and_b32_e32 v8, 7, v8
	v_lshl_add_u32 v10, v10, 23, 0x3b800000
	v_cndmask_b32_e32 v8, v9, v8, vcc_lo
	v_and_b32_e32 v9, 0x80000000, v35
	s_and_b32 vcc_lo, exec_lo, s23
	v_lshlrev_b32_e32 v8, 20, v8
	v_or3_b32 v8, v9, v10, v8
                                        ; implicit-def: $vgpr9
	s_cbranch_vccz .LBB6_13854
; %bb.13841:                            ;   in Loop: Header=BB6_13372 Depth=3
	v_cmp_gt_i16_sdwa s73, v15, v61 src0_sel:BYTE_1 src1_sel:DWORD
	s_mov_b32 s17, 0
	s_and_saveexec_b32 s74, s73
	s_xor_b32 s73, exec_lo, s74
	s_cbranch_execz .LBB6_14050
; %bb.13842:                            ;   in Loop: Header=BB6_13372 Depth=3
	v_cmp_eq_u16_sdwa s75, v15, v62 src0_sel:BYTE_1 src1_sel:DWORD
	s_mov_b32 s17, -1
	s_and_saveexec_b32 s74, s75
; %bb.13843:                            ;   in Loop: Header=BB6_13372 Depth=3
	s_xor_b32 s17, exec_lo, -1
; %bb.13844:                            ;   in Loop: Header=BB6_13372 Depth=3
	s_or_b32 exec_lo, exec_lo, s74
	s_and_b32 s17, s17, exec_lo
	s_or_saveexec_b32 s73, s73
	v_mov_b32_e32 v9, 0x7f800001
	s_xor_b32 exec_lo, exec_lo, s73
	s_cbranch_execnz .LBB6_14051
.LBB6_13845:                            ;   in Loop: Header=BB6_13372 Depth=3
	s_or_b32 exec_lo, exec_lo, s73
	s_and_saveexec_b32 s73, s17
	s_cbranch_execz .LBB6_13847
.LBB6_13846:                            ;   in Loop: Header=BB6_13372 Depth=3
	v_and_b32_sdwa v9, v63, v15 dst_sel:DWORD dst_unused:UNUSED_PAD src0_sel:DWORD src1_sel:BYTE_1
	v_and_b32_e32 v10, 7, v9
	v_bfe_u32 v37, v9, 3, 4
	v_ffbh_u32_e32 v35, v10
	v_cmp_eq_u32_e32 vcc_lo, 0, v37
	v_min_u32_e32 v35, 32, v35
	v_subrev_nc_u32_e32 v36, 28, v35
	v_sub_nc_u32_e32 v35, 29, v35
	v_lshlrev_b32_e32 v9, v36, v9
	v_lshlrev_b32_e32 v36, 16, v15
	v_cndmask_b32_e32 v35, v37, v35, vcc_lo
	v_and_b32_e32 v9, 7, v9
	v_lshl_add_u32 v35, v35, 23, 0x3b800000
	v_cndmask_b32_e32 v9, v10, v9, vcc_lo
	v_and_b32_e32 v10, 0x80000000, v36
	v_lshlrev_b32_e32 v9, 20, v9
	v_or3_b32 v9, v10, v35, v9
.LBB6_13847:                            ;   in Loop: Header=BB6_13372 Depth=3
	s_or_b32 exec_lo, exec_lo, s73
	v_cmp_gt_i16_sdwa s73, v11, v61 src0_sel:BYTE_1 src1_sel:DWORD
	s_mov_b32 s17, 0
	s_and_saveexec_b32 s74, s73
	s_xor_b32 s73, exec_lo, s74
	s_cbranch_execz .LBB6_14052
; %bb.13848:                            ;   in Loop: Header=BB6_13372 Depth=3
	v_cmp_eq_u16_sdwa s75, v11, v62 src0_sel:BYTE_1 src1_sel:DWORD
	s_mov_b32 s17, -1
	s_and_saveexec_b32 s74, s75
; %bb.13849:                            ;   in Loop: Header=BB6_13372 Depth=3
	s_xor_b32 s17, exec_lo, -1
; %bb.13850:                            ;   in Loop: Header=BB6_13372 Depth=3
	s_or_b32 exec_lo, exec_lo, s74
	s_and_b32 s17, s17, exec_lo
	s_or_saveexec_b32 s73, s73
	v_mov_b32_e32 v10, 0x7f800001
	s_xor_b32 exec_lo, exec_lo, s73
	s_cbranch_execnz .LBB6_14053
.LBB6_13851:                            ;   in Loop: Header=BB6_13372 Depth=3
	s_or_b32 exec_lo, exec_lo, s73
	s_and_saveexec_b32 s73, s17
.LBB6_13852:                            ;   in Loop: Header=BB6_13372 Depth=3
	v_mov_b32_e32 v10, v8
.LBB6_13853:                            ;   in Loop: Header=BB6_13372 Depth=3
	s_or_b32 exec_lo, exec_lo, s73
	v_max_f32_e32 v10, v10, v10
	v_max_f32_e32 v9, v9, v9
	s_mov_b32 s17, 0
	v_max_f32_e32 v9, v9, v10
.LBB6_13854:                            ;   in Loop: Header=BB6_13372 Depth=3
	s_and_b32 vcc_lo, exec_lo, s17
	s_cbranch_vccz .LBB6_13868
; %bb.13855:                            ;   in Loop: Header=BB6_13372 Depth=3
	v_cmp_gt_i16_sdwa s73, v15, v61 src0_sel:BYTE_1 src1_sel:DWORD
	s_mov_b32 s17, 0
	s_and_saveexec_b32 s74, s73
	s_xor_b32 s73, exec_lo, s74
	s_cbranch_execz .LBB6_14054
; %bb.13856:                            ;   in Loop: Header=BB6_13372 Depth=3
	v_cmp_eq_u16_sdwa s75, v15, v62 src0_sel:BYTE_1 src1_sel:DWORD
	s_mov_b32 s17, -1
	s_and_saveexec_b32 s74, s75
; %bb.13857:                            ;   in Loop: Header=BB6_13372 Depth=3
	s_xor_b32 s17, exec_lo, -1
; %bb.13858:                            ;   in Loop: Header=BB6_13372 Depth=3
	s_or_b32 exec_lo, exec_lo, s74
	s_and_b32 s17, s17, exec_lo
	s_or_saveexec_b32 s73, s73
	v_mov_b32_e32 v9, 0x7f800001
	s_xor_b32 exec_lo, exec_lo, s73
	s_cbranch_execnz .LBB6_14055
.LBB6_13859:                            ;   in Loop: Header=BB6_13372 Depth=3
	s_or_b32 exec_lo, exec_lo, s73
	s_and_saveexec_b32 s73, s17
	s_cbranch_execz .LBB6_13861
.LBB6_13860:                            ;   in Loop: Header=BB6_13372 Depth=3
	v_and_b32_sdwa v9, v63, v15 dst_sel:DWORD dst_unused:UNUSED_PAD src0_sel:DWORD src1_sel:BYTE_1
	v_and_b32_e32 v10, 7, v9
	v_bfe_u32 v37, v9, 3, 4
	v_ffbh_u32_e32 v35, v10
	v_cmp_eq_u32_e32 vcc_lo, 0, v37
	v_min_u32_e32 v35, 32, v35
	v_subrev_nc_u32_e32 v36, 28, v35
	v_sub_nc_u32_e32 v35, 29, v35
	v_lshlrev_b32_e32 v9, v36, v9
	v_lshlrev_b32_e32 v36, 16, v15
	v_cndmask_b32_e32 v35, v37, v35, vcc_lo
	v_and_b32_e32 v9, 7, v9
	v_lshl_add_u32 v35, v35, 23, 0x3b800000
	v_cndmask_b32_e32 v9, v10, v9, vcc_lo
	v_and_b32_e32 v10, 0x80000000, v36
	v_lshlrev_b32_e32 v9, 20, v9
	v_or3_b32 v9, v10, v35, v9
.LBB6_13861:                            ;   in Loop: Header=BB6_13372 Depth=3
	s_or_b32 exec_lo, exec_lo, s73
	v_cmp_gt_i16_sdwa s73, v11, v61 src0_sel:BYTE_1 src1_sel:DWORD
	s_mov_b32 s17, 0
	s_and_saveexec_b32 s74, s73
	s_xor_b32 s73, exec_lo, s74
	s_cbranch_execz .LBB6_14056
; %bb.13862:                            ;   in Loop: Header=BB6_13372 Depth=3
	v_cmp_eq_u16_sdwa s75, v11, v62 src0_sel:BYTE_1 src1_sel:DWORD
	s_mov_b32 s17, -1
	s_and_saveexec_b32 s74, s75
; %bb.13863:                            ;   in Loop: Header=BB6_13372 Depth=3
	s_xor_b32 s17, exec_lo, -1
; %bb.13864:                            ;   in Loop: Header=BB6_13372 Depth=3
	s_or_b32 exec_lo, exec_lo, s74
	s_and_b32 s17, s17, exec_lo
	s_or_saveexec_b32 s73, s73
	v_mov_b32_e32 v10, 0x7f800001
	s_xor_b32 exec_lo, exec_lo, s73
	s_cbranch_execnz .LBB6_14057
.LBB6_13865:                            ;   in Loop: Header=BB6_13372 Depth=3
	s_or_b32 exec_lo, exec_lo, s73
	s_and_saveexec_b32 s73, s17
.LBB6_13866:                            ;   in Loop: Header=BB6_13372 Depth=3
	v_mov_b32_e32 v10, v8
.LBB6_13867:                            ;   in Loop: Header=BB6_13372 Depth=3
	s_or_b32 exec_lo, exec_lo, s73
	v_max_f32_e32 v8, v10, v10
	v_max_f32_e32 v9, v9, v9
	v_min_f32_e32 v9, v9, v8
.LBB6_13868:                            ;   in Loop: Header=BB6_13372 Depth=3
	v_and_b32_e32 v8, 0x7f800000, v9
	v_mov_b32_e32 v35, 0x8000
	s_mov_b32 s73, exec_lo
	v_cmpx_ne_u32_e32 0x7f800000, v8
	s_cbranch_execz .LBB6_13876
; %bb.13869:                            ;   in Loop: Header=BB6_13372 Depth=3
	v_mov_b32_e32 v35, 0
	s_mov_b32 s74, exec_lo
	v_cmpx_ne_u32_e32 0, v9
	s_cbranch_execz .LBB6_13875
; %bb.13870:                            ;   in Loop: Header=BB6_13372 Depth=3
	v_bfe_u32 v8, v9, 23, 8
	v_and_b32_e32 v10, 0x7fffff, v9
	v_sub_nc_u32_e32 v35, 0x78, v8
	v_cmp_gt_u32_e32 vcc_lo, 0x79, v8
	v_or_b32_e32 v36, 0x800000, v10
	v_cndmask_b32_e32 v35, 0, v35, vcc_lo
	v_cmp_eq_u32_e32 vcc_lo, 0, v8
	v_add_nc_u32_e32 v8, 0xffffff89, v8
	v_cndmask_b32_e64 v35, v35, 0x77, vcc_lo
	v_cndmask_b32_e32 v10, v36, v10, vcc_lo
	v_cndmask_b32_e64 v8, v8, 0xffffff8a, vcc_lo
	v_lshl_add_u32 v36, 0x100000, v35, -1
	v_lshrrev_b32_e32 v37, v35, v10
	v_lshlrev_b32_e64 v39, v35, 0x80000
	v_add_nc_u32_e32 v35, v35, v8
	v_and_b32_e32 v10, v36, v10
	v_bfe_u32 v38, v37, 20, 1
	v_cmp_eq_u32_e64 s17, v10, v39
	v_add_nc_u32_e32 v36, -1, v38
	v_cndmask_b32_e64 v10, 0, v36, s17
	v_lshrrev_b32_e32 v36, 23, v37
	s_mov_b32 s17, exec_lo
	v_add_nc_u32_e32 v10, v10, v37
	v_xor_b32_e32 v36, 1, v36
	v_and_b32_e32 v8, 0xfffff, v10
	v_add_nc_u32_e32 v10, v8, v37
                                        ; implicit-def: $vgpr8
	v_cmpx_ne_u32_e64 v35, v36
	s_xor_b32 s17, exec_lo, s17
; %bb.13871:                            ;   in Loop: Header=BB6_13372 Depth=3
	v_cmp_lt_u32_e32 vcc_lo, 0xffffff, v10
	v_sub_nc_u32_e32 v8, v35, v36
	v_cndmask_b32_e64 v35, 0, 1, vcc_lo
	v_add_co_ci_u32_e64 v8, null, 0, v8, vcc_lo
	v_lshrrev_b32_e32 v10, v35, v10
; %bb.13872:                            ;   in Loop: Header=BB6_13372 Depth=3
	s_andn2_saveexec_b32 s17, s17
; %bb.13873:                            ;   in Loop: Header=BB6_13372 Depth=3
	v_bfe_u32 v8, v10, 23, 1
; %bb.13874:                            ;   in Loop: Header=BB6_13372 Depth=3
	s_or_b32 exec_lo, exec_lo, s17
	v_lshrrev_b32_e32 v10, 20, v10
	v_min_i32_e32 v35, 15, v8
	v_cmp_gt_i32_e32 vcc_lo, 16, v8
	v_and_b32_sdwa v9, v9, v62 dst_sel:DWORD dst_unused:UNUSED_PAD src0_sel:BYTE_3 src1_sel:DWORD
	v_lshlrev_b32_e32 v35, 3, v35
	v_cndmask_b32_e32 v10, 7, v10, vcc_lo
	v_and_b32_e32 v35, 0xf8, v35
	v_and_b32_e32 v36, 7, v10
	v_or_b32_e32 v8, v8, v10
	v_or3_b32 v9, v9, v35, v36
	v_cmp_ne_u32_e32 vcc_lo, 0, v8
	v_lshlrev_b32_e32 v9, 8, v9
	v_cndmask_b32_e32 v35, 0, v9, vcc_lo
.LBB6_13875:                            ;   in Loop: Header=BB6_13372 Depth=3
	s_or_b32 exec_lo, exec_lo, s74
.LBB6_13876:                            ;   in Loop: Header=BB6_13372 Depth=3
	s_or_b32 exec_lo, exec_lo, s73
	v_bfe_u32 v8, v11, 16, 3
	v_bfe_u32 v36, v11, 19, 4
	v_lshlrev_b32_e32 v37, 8, v11
	s_mov_b32 s17, -1
	v_ffbh_u32_e32 v9, v8
	v_cmp_eq_u32_e32 vcc_lo, 0, v36
	v_min_u32_e32 v9, 32, v9
	v_subrev_nc_u32_e32 v10, 28, v9
	v_sub_nc_u32_e32 v9, 29, v9
	v_lshlrev_b32_sdwa v10, v10, v11 dst_sel:DWORD dst_unused:UNUSED_PAD src0_sel:DWORD src1_sel:WORD_1
	v_cndmask_b32_e32 v9, v36, v9, vcc_lo
	v_and_b32_e32 v10, 7, v10
	v_lshl_add_u32 v9, v9, 23, 0x3b800000
	v_cndmask_b32_e32 v8, v8, v10, vcc_lo
	v_and_b32_e32 v10, 0x80000000, v37
	s_and_b32 vcc_lo, exec_lo, s23
	v_lshlrev_b32_e32 v8, 20, v8
	v_or3_b32 v8, v10, v9, v8
                                        ; implicit-def: $vgpr9
	s_cbranch_vccz .LBB6_13890
; %bb.13877:                            ;   in Loop: Header=BB6_13372 Depth=3
	v_and_b32_sdwa v10, v15, v72 dst_sel:DWORD dst_unused:UNUSED_PAD src0_sel:WORD_1 src1_sel:DWORD
	s_mov_b32 s17, 0
	s_mov_b32 s73, exec_lo
	v_cmpx_lt_i16_e32 0x7f, v10
	s_xor_b32 s73, exec_lo, s73
	s_cbranch_execz .LBB6_14058
; %bb.13878:                            ;   in Loop: Header=BB6_13372 Depth=3
	s_mov_b32 s17, -1
	s_mov_b32 s74, exec_lo
	v_cmpx_eq_u16_e32 0x80, v10
; %bb.13879:                            ;   in Loop: Header=BB6_13372 Depth=3
	s_xor_b32 s17, exec_lo, -1
; %bb.13880:                            ;   in Loop: Header=BB6_13372 Depth=3
	s_or_b32 exec_lo, exec_lo, s74
	s_and_b32 s17, s17, exec_lo
                                        ; implicit-def: $vgpr10
	s_or_saveexec_b32 s73, s73
	v_mov_b32_e32 v9, 0x7f800001
	s_xor_b32 exec_lo, exec_lo, s73
	s_cbranch_execnz .LBB6_14059
.LBB6_13881:                            ;   in Loop: Header=BB6_13372 Depth=3
	s_or_b32 exec_lo, exec_lo, s73
	s_and_saveexec_b32 s73, s17
	s_cbranch_execz .LBB6_13883
.LBB6_13882:                            ;   in Loop: Header=BB6_13372 Depth=3
	v_bfe_u32 v9, v15, 16, 3
	v_bfe_u32 v37, v15, 19, 4
	v_lshlrev_b32_sdwa v38, v73, v15 dst_sel:DWORD dst_unused:UNUSED_PAD src0_sel:DWORD src1_sel:WORD_1
	v_ffbh_u32_e32 v10, v9
	v_cmp_eq_u32_e32 vcc_lo, 0, v37
	v_min_u32_e32 v10, 32, v10
	v_subrev_nc_u32_e32 v36, 28, v10
	v_sub_nc_u32_e32 v10, 29, v10
	v_lshlrev_b32_sdwa v36, v36, v15 dst_sel:DWORD dst_unused:UNUSED_PAD src0_sel:DWORD src1_sel:WORD_1
	v_cndmask_b32_e32 v10, v37, v10, vcc_lo
	v_and_b32_e32 v36, 7, v36
	v_lshl_add_u32 v10, v10, 23, 0x3b800000
	v_cndmask_b32_e32 v9, v9, v36, vcc_lo
	v_and_b32_e32 v36, 0x80000000, v38
	v_lshlrev_b32_e32 v9, 20, v9
	v_or3_b32 v9, v36, v10, v9
.LBB6_13883:                            ;   in Loop: Header=BB6_13372 Depth=3
	s_or_b32 exec_lo, exec_lo, s73
	v_and_b32_sdwa v36, v11, v72 dst_sel:DWORD dst_unused:UNUSED_PAD src0_sel:WORD_1 src1_sel:DWORD
	s_mov_b32 s17, 0
	s_mov_b32 s73, exec_lo
	v_cmpx_lt_i16_e32 0x7f, v36
	s_xor_b32 s73, exec_lo, s73
	s_cbranch_execz .LBB6_14060
; %bb.13884:                            ;   in Loop: Header=BB6_13372 Depth=3
	s_mov_b32 s17, -1
	s_mov_b32 s74, exec_lo
	v_cmpx_eq_u16_e32 0x80, v36
; %bb.13885:                            ;   in Loop: Header=BB6_13372 Depth=3
	s_xor_b32 s17, exec_lo, -1
; %bb.13886:                            ;   in Loop: Header=BB6_13372 Depth=3
	s_or_b32 exec_lo, exec_lo, s74
	s_and_b32 s17, s17, exec_lo
                                        ; implicit-def: $vgpr36
	s_or_saveexec_b32 s73, s73
	v_mov_b32_e32 v10, 0x7f800001
	s_xor_b32 exec_lo, exec_lo, s73
	s_cbranch_execnz .LBB6_14061
.LBB6_13887:                            ;   in Loop: Header=BB6_13372 Depth=3
	s_or_b32 exec_lo, exec_lo, s73
	s_and_saveexec_b32 s73, s17
.LBB6_13888:                            ;   in Loop: Header=BB6_13372 Depth=3
	v_mov_b32_e32 v10, v8
.LBB6_13889:                            ;   in Loop: Header=BB6_13372 Depth=3
	s_or_b32 exec_lo, exec_lo, s73
	v_max_f32_e32 v10, v10, v10
	v_max_f32_e32 v9, v9, v9
	s_mov_b32 s17, 0
	v_max_f32_e32 v9, v9, v10
.LBB6_13890:                            ;   in Loop: Header=BB6_13372 Depth=3
	s_and_b32 vcc_lo, exec_lo, s17
	s_cbranch_vccz .LBB6_13904
; %bb.13891:                            ;   in Loop: Header=BB6_13372 Depth=3
	v_and_b32_sdwa v10, v15, v72 dst_sel:DWORD dst_unused:UNUSED_PAD src0_sel:WORD_1 src1_sel:DWORD
	s_mov_b32 s17, 0
	s_mov_b32 s73, exec_lo
	v_cmpx_lt_i16_e32 0x7f, v10
	s_xor_b32 s73, exec_lo, s73
	s_cbranch_execz .LBB6_14062
; %bb.13892:                            ;   in Loop: Header=BB6_13372 Depth=3
	s_mov_b32 s17, -1
	s_mov_b32 s74, exec_lo
	v_cmpx_eq_u16_e32 0x80, v10
; %bb.13893:                            ;   in Loop: Header=BB6_13372 Depth=3
	s_xor_b32 s17, exec_lo, -1
; %bb.13894:                            ;   in Loop: Header=BB6_13372 Depth=3
	s_or_b32 exec_lo, exec_lo, s74
	s_and_b32 s17, s17, exec_lo
                                        ; implicit-def: $vgpr10
	s_or_saveexec_b32 s73, s73
	v_mov_b32_e32 v9, 0x7f800001
	s_xor_b32 exec_lo, exec_lo, s73
	s_cbranch_execnz .LBB6_14063
.LBB6_13895:                            ;   in Loop: Header=BB6_13372 Depth=3
	s_or_b32 exec_lo, exec_lo, s73
	s_and_saveexec_b32 s73, s17
	s_cbranch_execz .LBB6_13897
.LBB6_13896:                            ;   in Loop: Header=BB6_13372 Depth=3
	v_bfe_u32 v9, v15, 16, 3
	v_bfe_u32 v37, v15, 19, 4
	v_lshlrev_b32_sdwa v38, v73, v15 dst_sel:DWORD dst_unused:UNUSED_PAD src0_sel:DWORD src1_sel:WORD_1
	v_ffbh_u32_e32 v10, v9
	v_cmp_eq_u32_e32 vcc_lo, 0, v37
	v_min_u32_e32 v10, 32, v10
	v_subrev_nc_u32_e32 v36, 28, v10
	v_sub_nc_u32_e32 v10, 29, v10
	v_lshlrev_b32_sdwa v36, v36, v15 dst_sel:DWORD dst_unused:UNUSED_PAD src0_sel:DWORD src1_sel:WORD_1
	v_cndmask_b32_e32 v10, v37, v10, vcc_lo
	v_and_b32_e32 v36, 7, v36
	v_lshl_add_u32 v10, v10, 23, 0x3b800000
	v_cndmask_b32_e32 v9, v9, v36, vcc_lo
	v_and_b32_e32 v36, 0x80000000, v38
	v_lshlrev_b32_e32 v9, 20, v9
	v_or3_b32 v9, v36, v10, v9
.LBB6_13897:                            ;   in Loop: Header=BB6_13372 Depth=3
	s_or_b32 exec_lo, exec_lo, s73
	v_and_b32_sdwa v36, v11, v72 dst_sel:DWORD dst_unused:UNUSED_PAD src0_sel:WORD_1 src1_sel:DWORD
	s_mov_b32 s17, 0
	s_mov_b32 s73, exec_lo
	v_cmpx_lt_i16_e32 0x7f, v36
	s_xor_b32 s73, exec_lo, s73
	s_cbranch_execz .LBB6_14064
; %bb.13898:                            ;   in Loop: Header=BB6_13372 Depth=3
	s_mov_b32 s17, -1
	s_mov_b32 s74, exec_lo
	v_cmpx_eq_u16_e32 0x80, v36
; %bb.13899:                            ;   in Loop: Header=BB6_13372 Depth=3
	s_xor_b32 s17, exec_lo, -1
; %bb.13900:                            ;   in Loop: Header=BB6_13372 Depth=3
	s_or_b32 exec_lo, exec_lo, s74
	s_and_b32 s17, s17, exec_lo
                                        ; implicit-def: $vgpr36
	s_or_saveexec_b32 s73, s73
	v_mov_b32_e32 v10, 0x7f800001
	s_xor_b32 exec_lo, exec_lo, s73
	s_cbranch_execnz .LBB6_14065
.LBB6_13901:                            ;   in Loop: Header=BB6_13372 Depth=3
	s_or_b32 exec_lo, exec_lo, s73
	s_and_saveexec_b32 s73, s17
.LBB6_13902:                            ;   in Loop: Header=BB6_13372 Depth=3
	v_mov_b32_e32 v10, v8
.LBB6_13903:                            ;   in Loop: Header=BB6_13372 Depth=3
	s_or_b32 exec_lo, exec_lo, s73
	v_max_f32_e32 v8, v10, v10
	v_max_f32_e32 v9, v9, v9
	v_min_f32_e32 v9, v9, v8
.LBB6_13904:                            ;   in Loop: Header=BB6_13372 Depth=3
	v_and_b32_e32 v8, 0x7f800000, v9
	v_mov_b32_e32 v36, 0x80
	s_mov_b32 s73, exec_lo
	v_cmpx_ne_u32_e32 0x7f800000, v8
	s_cbranch_execz .LBB6_13912
; %bb.13905:                            ;   in Loop: Header=BB6_13372 Depth=3
	v_mov_b32_e32 v36, 0
	s_mov_b32 s74, exec_lo
	v_cmpx_ne_u32_e32 0, v9
	s_cbranch_execz .LBB6_13911
; %bb.13906:                            ;   in Loop: Header=BB6_13372 Depth=3
	v_bfe_u32 v8, v9, 23, 8
	v_and_b32_e32 v10, 0x7fffff, v9
	v_sub_nc_u32_e32 v36, 0x78, v8
	v_cmp_gt_u32_e32 vcc_lo, 0x79, v8
	v_or_b32_e32 v37, 0x800000, v10
	v_cndmask_b32_e32 v36, 0, v36, vcc_lo
	v_cmp_eq_u32_e32 vcc_lo, 0, v8
	v_add_nc_u32_e32 v8, 0xffffff89, v8
	v_cndmask_b32_e64 v36, v36, 0x77, vcc_lo
	v_cndmask_b32_e32 v10, v37, v10, vcc_lo
	v_cndmask_b32_e64 v8, v8, 0xffffff8a, vcc_lo
	v_lshl_add_u32 v37, 0x100000, v36, -1
	v_lshrrev_b32_e32 v38, v36, v10
	v_lshlrev_b32_e64 v48, v36, 0x80000
	v_add_nc_u32_e32 v36, v36, v8
	v_and_b32_e32 v10, v37, v10
	v_bfe_u32 v39, v38, 20, 1
	v_cmp_eq_u32_e64 s17, v10, v48
	v_add_nc_u32_e32 v37, -1, v39
	v_cndmask_b32_e64 v10, 0, v37, s17
	v_lshrrev_b32_e32 v37, 23, v38
	s_mov_b32 s17, exec_lo
	v_add_nc_u32_e32 v10, v10, v38
	v_xor_b32_e32 v37, 1, v37
	v_and_b32_e32 v8, 0xfffff, v10
	v_add_nc_u32_e32 v10, v8, v38
                                        ; implicit-def: $vgpr8
	v_cmpx_ne_u32_e64 v36, v37
	s_xor_b32 s17, exec_lo, s17
; %bb.13907:                            ;   in Loop: Header=BB6_13372 Depth=3
	v_cmp_lt_u32_e32 vcc_lo, 0xffffff, v10
	v_sub_nc_u32_e32 v8, v36, v37
	v_cndmask_b32_e64 v36, 0, 1, vcc_lo
	v_add_co_ci_u32_e64 v8, null, 0, v8, vcc_lo
	v_lshrrev_b32_e32 v10, v36, v10
; %bb.13908:                            ;   in Loop: Header=BB6_13372 Depth=3
	s_andn2_saveexec_b32 s17, s17
; %bb.13909:                            ;   in Loop: Header=BB6_13372 Depth=3
	v_bfe_u32 v8, v10, 23, 1
; %bb.13910:                            ;   in Loop: Header=BB6_13372 Depth=3
	s_or_b32 exec_lo, exec_lo, s17
	v_lshrrev_b32_e32 v10, 20, v10
	v_min_i32_e32 v36, 15, v8
	v_cmp_gt_i32_e32 vcc_lo, 16, v8
	v_and_b32_sdwa v9, v9, v62 dst_sel:DWORD dst_unused:UNUSED_PAD src0_sel:BYTE_3 src1_sel:DWORD
	v_lshlrev_b32_e32 v36, 3, v36
	v_cndmask_b32_e32 v10, 7, v10, vcc_lo
	v_and_b32_e32 v36, 0xf8, v36
	v_and_b32_e32 v37, 7, v10
	v_or_b32_e32 v8, v8, v10
	v_or3_b32 v9, v36, v9, v37
	v_cmp_ne_u32_e32 vcc_lo, 0, v8
	v_cndmask_b32_e32 v36, 0, v9, vcc_lo
.LBB6_13911:                            ;   in Loop: Header=BB6_13372 Depth=3
	s_or_b32 exec_lo, exec_lo, s74
.LBB6_13912:                            ;   in Loop: Header=BB6_13372 Depth=3
	s_or_b32 exec_lo, exec_lo, s73
	v_bfe_u32 v8, v11, 24, 3
	v_bfe_u32 v37, v11, 27, 4
	s_mov_b32 s17, -1
	v_ffbh_u32_e32 v9, v8
	v_cmp_eq_u32_e32 vcc_lo, 0, v37
	v_min_u32_e32 v9, 32, v9
	v_subrev_nc_u32_e32 v10, 28, v9
	v_sub_nc_u32_e32 v9, 29, v9
	v_lshlrev_b32_sdwa v10, v10, v11 dst_sel:DWORD dst_unused:UNUSED_PAD src0_sel:DWORD src1_sel:BYTE_3
	v_cndmask_b32_e32 v9, v37, v9, vcc_lo
	v_and_b32_e32 v10, 7, v10
	v_lshl_add_u32 v9, v9, 23, 0x3b800000
	v_cndmask_b32_e32 v8, v8, v10, vcc_lo
	v_and_b32_e32 v10, 0x80000000, v11
	s_and_b32 vcc_lo, exec_lo, s23
	v_lshlrev_b32_e32 v8, 20, v8
	v_or3_b32 v37, v10, v9, v8
                                        ; implicit-def: $vgpr8
	s_cbranch_vccz .LBB6_13926
; %bb.13913:                            ;   in Loop: Header=BB6_13372 Depth=3
	v_cmp_gt_i16_sdwa s73, v15, v61 src0_sel:BYTE_3 src1_sel:DWORD
	s_mov_b32 s17, 0
	s_and_saveexec_b32 s74, s73
	s_xor_b32 s73, exec_lo, s74
	s_cbranch_execz .LBB6_14066
; %bb.13914:                            ;   in Loop: Header=BB6_13372 Depth=3
	v_cmp_eq_u16_sdwa s75, v15, v62 src0_sel:BYTE_3 src1_sel:DWORD
	s_mov_b32 s17, -1
	s_and_saveexec_b32 s74, s75
; %bb.13915:                            ;   in Loop: Header=BB6_13372 Depth=3
	s_xor_b32 s17, exec_lo, -1
; %bb.13916:                            ;   in Loop: Header=BB6_13372 Depth=3
	s_or_b32 exec_lo, exec_lo, s74
	s_and_b32 s17, s17, exec_lo
	s_or_saveexec_b32 s73, s73
	v_mov_b32_e32 v8, 0x7f800001
	s_xor_b32 exec_lo, exec_lo, s73
	s_cbranch_execnz .LBB6_14067
.LBB6_13917:                            ;   in Loop: Header=BB6_13372 Depth=3
	s_or_b32 exec_lo, exec_lo, s73
	s_and_saveexec_b32 s73, s17
	s_cbranch_execz .LBB6_13919
.LBB6_13918:                            ;   in Loop: Header=BB6_13372 Depth=3
	v_bfe_u32 v8, v15, 24, 3
	v_bfe_u32 v38, v15, 27, 4
	v_ffbh_u32_e32 v9, v8
	v_cmp_eq_u32_e32 vcc_lo, 0, v38
	v_min_u32_e32 v9, 32, v9
	v_subrev_nc_u32_e32 v10, 28, v9
	v_sub_nc_u32_e32 v9, 29, v9
	v_lshlrev_b32_sdwa v10, v10, v15 dst_sel:DWORD dst_unused:UNUSED_PAD src0_sel:DWORD src1_sel:BYTE_3
	v_cndmask_b32_e32 v9, v38, v9, vcc_lo
	v_and_b32_e32 v10, 7, v10
	v_lshl_add_u32 v9, v9, 23, 0x3b800000
	v_cndmask_b32_e32 v8, v8, v10, vcc_lo
	v_and_b32_e32 v10, 0x80000000, v15
	v_lshlrev_b32_e32 v8, 20, v8
	v_or3_b32 v8, v10, v9, v8
.LBB6_13919:                            ;   in Loop: Header=BB6_13372 Depth=3
	s_or_b32 exec_lo, exec_lo, s73
	v_cmp_gt_i16_sdwa s73, v11, v61 src0_sel:BYTE_3 src1_sel:DWORD
	s_mov_b32 s17, 0
	s_and_saveexec_b32 s74, s73
	s_xor_b32 s73, exec_lo, s74
	s_cbranch_execz .LBB6_14068
; %bb.13920:                            ;   in Loop: Header=BB6_13372 Depth=3
	v_cmp_eq_u16_sdwa s75, v11, v62 src0_sel:BYTE_3 src1_sel:DWORD
	s_mov_b32 s17, -1
	s_and_saveexec_b32 s74, s75
; %bb.13921:                            ;   in Loop: Header=BB6_13372 Depth=3
	s_xor_b32 s17, exec_lo, -1
; %bb.13922:                            ;   in Loop: Header=BB6_13372 Depth=3
	s_or_b32 exec_lo, exec_lo, s74
	s_and_b32 s17, s17, exec_lo
	s_or_saveexec_b32 s73, s73
	v_mov_b32_e32 v9, 0x7f800001
	s_xor_b32 exec_lo, exec_lo, s73
	s_cbranch_execnz .LBB6_14069
.LBB6_13923:                            ;   in Loop: Header=BB6_13372 Depth=3
	s_or_b32 exec_lo, exec_lo, s73
	s_and_saveexec_b32 s73, s17
.LBB6_13924:                            ;   in Loop: Header=BB6_13372 Depth=3
	v_mov_b32_e32 v9, v37
.LBB6_13925:                            ;   in Loop: Header=BB6_13372 Depth=3
	s_or_b32 exec_lo, exec_lo, s73
	v_max_f32_e32 v9, v9, v9
	v_max_f32_e32 v8, v8, v8
	s_mov_b32 s17, 0
	v_max_f32_e32 v8, v8, v9
.LBB6_13926:                            ;   in Loop: Header=BB6_13372 Depth=3
	s_and_b32 vcc_lo, exec_lo, s17
	s_cbranch_vccz .LBB6_13940
; %bb.13927:                            ;   in Loop: Header=BB6_13372 Depth=3
	v_cmp_gt_i16_sdwa s73, v15, v61 src0_sel:BYTE_3 src1_sel:DWORD
	s_mov_b32 s17, 0
	s_and_saveexec_b32 s74, s73
	s_xor_b32 s73, exec_lo, s74
	s_cbranch_execz .LBB6_14070
; %bb.13928:                            ;   in Loop: Header=BB6_13372 Depth=3
	v_cmp_eq_u16_sdwa s75, v15, v62 src0_sel:BYTE_3 src1_sel:DWORD
	s_mov_b32 s17, -1
	s_and_saveexec_b32 s74, s75
; %bb.13929:                            ;   in Loop: Header=BB6_13372 Depth=3
	s_xor_b32 s17, exec_lo, -1
; %bb.13930:                            ;   in Loop: Header=BB6_13372 Depth=3
	s_or_b32 exec_lo, exec_lo, s74
	s_and_b32 s17, s17, exec_lo
	s_or_saveexec_b32 s73, s73
	v_mov_b32_e32 v38, 0x7f800001
	s_xor_b32 exec_lo, exec_lo, s73
	s_cbranch_execnz .LBB6_14071
.LBB6_13931:                            ;   in Loop: Header=BB6_13372 Depth=3
	s_or_b32 exec_lo, exec_lo, s73
	s_and_saveexec_b32 s73, s17
	s_cbranch_execz .LBB6_13933
.LBB6_13932:                            ;   in Loop: Header=BB6_13372 Depth=3
	v_bfe_u32 v8, v15, 24, 3
	v_bfe_u32 v38, v15, 27, 4
	v_ffbh_u32_e32 v9, v8
	v_cmp_eq_u32_e32 vcc_lo, 0, v38
	v_min_u32_e32 v9, 32, v9
	v_subrev_nc_u32_e32 v10, 28, v9
	v_sub_nc_u32_e32 v9, 29, v9
	v_lshlrev_b32_sdwa v10, v10, v15 dst_sel:DWORD dst_unused:UNUSED_PAD src0_sel:DWORD src1_sel:BYTE_3
	v_cndmask_b32_e32 v9, v38, v9, vcc_lo
	v_and_b32_e32 v10, 7, v10
	v_lshl_add_u32 v9, v9, 23, 0x3b800000
	v_cndmask_b32_e32 v8, v8, v10, vcc_lo
	v_and_b32_e32 v10, 0x80000000, v15
	v_lshlrev_b32_e32 v8, 20, v8
	v_or3_b32 v38, v10, v9, v8
.LBB6_13933:                            ;   in Loop: Header=BB6_13372 Depth=3
	s_or_b32 exec_lo, exec_lo, s73
	v_cmp_gt_i16_sdwa s73, v11, v61 src0_sel:BYTE_3 src1_sel:DWORD
	s_mov_b32 s17, 0
	s_and_saveexec_b32 s74, s73
	s_xor_b32 s73, exec_lo, s74
	s_cbranch_execz .LBB6_14072
; %bb.13934:                            ;   in Loop: Header=BB6_13372 Depth=3
	v_cmp_eq_u16_sdwa s75, v11, v62 src0_sel:BYTE_3 src1_sel:DWORD
	s_mov_b32 s17, -1
	s_and_saveexec_b32 s74, s75
; %bb.13935:                            ;   in Loop: Header=BB6_13372 Depth=3
	s_xor_b32 s17, exec_lo, -1
; %bb.13936:                            ;   in Loop: Header=BB6_13372 Depth=3
	s_or_b32 exec_lo, exec_lo, s74
	s_and_b32 s17, s17, exec_lo
                                        ; implicit-def: $vgpr8_vgpr9_vgpr10_vgpr11
	s_or_saveexec_b32 s73, s73
	v_mov_b32_e32 v8, 0x7f800001
	s_xor_b32 exec_lo, exec_lo, s73
	s_cbranch_execnz .LBB6_14073
.LBB6_13937:                            ;   in Loop: Header=BB6_13372 Depth=3
	s_or_b32 exec_lo, exec_lo, s73
	s_and_saveexec_b32 s73, s17
.LBB6_13938:                            ;   in Loop: Header=BB6_13372 Depth=3
	v_mov_b32_e32 v8, v37
.LBB6_13939:                            ;   in Loop: Header=BB6_13372 Depth=3
	s_or_b32 exec_lo, exec_lo, s73
	v_max_f32_e32 v8, v8, v8
	v_max_f32_e32 v9, v38, v38
	v_min_f32_e32 v8, v9, v8
.LBB6_13940:                            ;   in Loop: Header=BB6_13372 Depth=3
	v_and_b32_e32 v9, 0x7f800000, v8
	v_cmp_ne_u32_e32 vcc_lo, 0x7f800000, v9
	v_mov_b32_e32 v9, 0x8000
	s_and_saveexec_b32 s73, vcc_lo
	s_cbranch_execz .LBB6_13371
; %bb.13941:                            ;   in Loop: Header=BB6_13372 Depth=3
	v_mov_b32_e32 v9, 0
	s_mov_b32 s74, exec_lo
	v_cmpx_ne_u32_e32 0, v8
	s_cbranch_execz .LBB6_13370
; %bb.13942:                            ;   in Loop: Header=BB6_13372 Depth=3
	v_bfe_u32 v9, v8, 23, 8
	v_and_b32_e32 v10, 0x7fffff, v8
	v_sub_nc_u32_e32 v11, 0x78, v9
	v_cmp_gt_u32_e32 vcc_lo, 0x79, v9
	v_or_b32_e32 v15, 0x800000, v10
	v_cndmask_b32_e32 v11, 0, v11, vcc_lo
	v_cmp_eq_u32_e32 vcc_lo, 0, v9
	v_add_nc_u32_e32 v9, 0xffffff89, v9
	v_cndmask_b32_e64 v11, v11, 0x77, vcc_lo
	v_cndmask_b32_e32 v10, v15, v10, vcc_lo
	v_cndmask_b32_e64 v9, v9, 0xffffff8a, vcc_lo
	v_lshl_add_u32 v15, 0x100000, v11, -1
	v_lshrrev_b32_e32 v37, v11, v10
	v_lshlrev_b32_e64 v39, v11, 0x80000
	v_add_nc_u32_e32 v11, v11, v9
	v_and_b32_e32 v10, v15, v10
	v_bfe_u32 v38, v37, 20, 1
	v_cmp_eq_u32_e64 s17, v10, v39
	v_add_nc_u32_e32 v15, -1, v38
	v_cndmask_b32_e64 v10, 0, v15, s17
	v_lshrrev_b32_e32 v15, 23, v37
	s_mov_b32 s17, exec_lo
	v_add_nc_u32_e32 v10, v10, v37
	v_xor_b32_e32 v15, 1, v15
	v_and_b32_e32 v9, 0xfffff, v10
	v_add_nc_u32_e32 v10, v9, v37
                                        ; implicit-def: $vgpr9
	v_cmpx_ne_u32_e64 v11, v15
	s_xor_b32 s17, exec_lo, s17
; %bb.13943:                            ;   in Loop: Header=BB6_13372 Depth=3
	v_cmp_lt_u32_e32 vcc_lo, 0xffffff, v10
	v_sub_nc_u32_e32 v9, v11, v15
	v_cndmask_b32_e64 v11, 0, 1, vcc_lo
	v_add_co_ci_u32_e64 v9, null, 0, v9, vcc_lo
	v_lshrrev_b32_e32 v10, v11, v10
; %bb.13944:                            ;   in Loop: Header=BB6_13372 Depth=3
	s_andn2_saveexec_b32 s17, s17
	s_cbranch_execz .LBB6_13369
; %bb.13945:                            ;   in Loop: Header=BB6_13372 Depth=3
	v_bfe_u32 v9, v10, 23, 1
	s_branch .LBB6_13369
.LBB6_13946:                            ;   in Loop: Header=BB6_13372 Depth=3
	s_or_saveexec_b32 s73, s73
	v_mov_b32_e32 v26, 0x7f800001
	s_xor_b32 exec_lo, exec_lo, s73
	s_cbranch_execz .LBB6_13377
.LBB6_13947:                            ;   in Loop: Header=BB6_13372 Depth=3
	v_cmp_ne_u16_sdwa s74, v12, v2 src0_sel:BYTE_0 src1_sel:DWORD
	v_mov_b32_e32 v26, 0
	s_andn2_b32 s17, s17, exec_lo
	s_and_b32 s74, s74, exec_lo
	s_or_b32 s17, s17, s74
	s_or_b32 exec_lo, exec_lo, s73
	s_and_saveexec_b32 s73, s17
	s_cbranch_execnz .LBB6_13378
	s_branch .LBB6_13379
.LBB6_13948:                            ;   in Loop: Header=BB6_13372 Depth=3
	s_or_saveexec_b32 s73, s73
	v_mov_b32_e32 v27, 0x7f800001
	s_xor_b32 exec_lo, exec_lo, s73
	s_cbranch_execz .LBB6_13383
.LBB6_13949:                            ;   in Loop: Header=BB6_13372 Depth=3
	v_cmp_ne_u16_sdwa s74, v8, v2 src0_sel:BYTE_0 src1_sel:DWORD
	v_mov_b32_e32 v27, 0
	s_andn2_b32 s17, s17, exec_lo
	s_and_b32 s74, s74, exec_lo
	s_or_b32 s17, s17, s74
	s_or_b32 exec_lo, exec_lo, s73
	s_and_saveexec_b32 s73, s17
	s_cbranch_execnz .LBB6_13384
	s_branch .LBB6_13385
.LBB6_13950:                            ;   in Loop: Header=BB6_13372 Depth=3
	s_or_saveexec_b32 s73, s73
	v_mov_b32_e32 v26, 0x7f800001
	s_xor_b32 exec_lo, exec_lo, s73
	s_cbranch_execz .LBB6_13391
.LBB6_13951:                            ;   in Loop: Header=BB6_13372 Depth=3
	v_cmp_ne_u16_sdwa s74, v12, v2 src0_sel:BYTE_0 src1_sel:DWORD
	v_mov_b32_e32 v26, 0
	s_andn2_b32 s17, s17, exec_lo
	s_and_b32 s74, s74, exec_lo
	s_or_b32 s17, s17, s74
	s_or_b32 exec_lo, exec_lo, s73
	s_and_saveexec_b32 s73, s17
	s_cbranch_execnz .LBB6_13392
	s_branch .LBB6_13393
.LBB6_13952:                            ;   in Loop: Header=BB6_13372 Depth=3
	s_or_saveexec_b32 s73, s73
	v_mov_b32_e32 v27, 0x7f800001
	s_xor_b32 exec_lo, exec_lo, s73
	s_cbranch_execz .LBB6_13397
.LBB6_13953:                            ;   in Loop: Header=BB6_13372 Depth=3
	v_cmp_ne_u16_sdwa s74, v8, v2 src0_sel:BYTE_0 src1_sel:DWORD
	v_mov_b32_e32 v27, 0
	s_andn2_b32 s17, s17, exec_lo
	s_and_b32 s74, s74, exec_lo
	s_or_b32 s17, s17, s74
	s_or_b32 exec_lo, exec_lo, s73
	s_and_saveexec_b32 s73, s17
	s_cbranch_execnz .LBB6_13398
	s_branch .LBB6_13399
.LBB6_13954:                            ;   in Loop: Header=BB6_13372 Depth=3
	s_or_saveexec_b32 s73, s73
	v_mov_b32_e32 v27, 0x7f800001
	s_xor_b32 exec_lo, exec_lo, s73
	s_cbranch_execz .LBB6_13413
.LBB6_13955:                            ;   in Loop: Header=BB6_13372 Depth=3
	v_cmp_ne_u16_sdwa s74, v12, v2 src0_sel:BYTE_1 src1_sel:DWORD
	v_mov_b32_e32 v27, 0
	s_andn2_b32 s17, s17, exec_lo
	s_and_b32 s74, s74, exec_lo
	s_or_b32 s17, s17, s74
	s_or_b32 exec_lo, exec_lo, s73
	s_and_saveexec_b32 s73, s17
	s_cbranch_execnz .LBB6_13414
	s_branch .LBB6_13415
.LBB6_13956:                            ;   in Loop: Header=BB6_13372 Depth=3
	s_or_saveexec_b32 s73, s73
	v_mov_b32_e32 v28, 0x7f800001
	s_xor_b32 exec_lo, exec_lo, s73
	s_cbranch_execz .LBB6_13419
.LBB6_13957:                            ;   in Loop: Header=BB6_13372 Depth=3
	v_cmp_ne_u16_sdwa s74, v8, v2 src0_sel:BYTE_1 src1_sel:DWORD
	v_mov_b32_e32 v28, 0
	s_andn2_b32 s17, s17, exec_lo
	s_and_b32 s74, s74, exec_lo
	s_or_b32 s17, s17, s74
	s_or_b32 exec_lo, exec_lo, s73
	s_and_saveexec_b32 s73, s17
	s_cbranch_execnz .LBB6_13420
	s_branch .LBB6_13421
.LBB6_13958:                            ;   in Loop: Header=BB6_13372 Depth=3
	s_or_saveexec_b32 s73, s73
	v_mov_b32_e32 v27, 0x7f800001
	s_xor_b32 exec_lo, exec_lo, s73
	s_cbranch_execz .LBB6_13427
.LBB6_13959:                            ;   in Loop: Header=BB6_13372 Depth=3
	v_cmp_ne_u16_sdwa s74, v12, v2 src0_sel:BYTE_1 src1_sel:DWORD
	v_mov_b32_e32 v27, 0
	s_andn2_b32 s17, s17, exec_lo
	s_and_b32 s74, s74, exec_lo
	s_or_b32 s17, s17, s74
	s_or_b32 exec_lo, exec_lo, s73
	s_and_saveexec_b32 s73, s17
	s_cbranch_execnz .LBB6_13428
	s_branch .LBB6_13429
.LBB6_13960:                            ;   in Loop: Header=BB6_13372 Depth=3
	s_or_saveexec_b32 s73, s73
	v_mov_b32_e32 v28, 0x7f800001
	s_xor_b32 exec_lo, exec_lo, s73
	s_cbranch_execz .LBB6_13433
.LBB6_13961:                            ;   in Loop: Header=BB6_13372 Depth=3
	v_cmp_ne_u16_sdwa s74, v8, v2 src0_sel:BYTE_1 src1_sel:DWORD
	v_mov_b32_e32 v28, 0
	s_andn2_b32 s17, s17, exec_lo
	s_and_b32 s74, s74, exec_lo
	s_or_b32 s17, s17, s74
	s_or_b32 exec_lo, exec_lo, s73
	s_and_saveexec_b32 s73, s17
	s_cbranch_execnz .LBB6_13434
	s_branch .LBB6_13435
.LBB6_13962:                            ;   in Loop: Header=BB6_13372 Depth=3
	s_or_saveexec_b32 s73, s73
	v_mov_b32_e32 v28, 0x7f800001
	s_xor_b32 exec_lo, exec_lo, s73
	s_cbranch_execz .LBB6_13449
.LBB6_13963:                            ;   in Loop: Header=BB6_13372 Depth=3
	v_cmp_ne_u16_e32 vcc_lo, 0, v29
	v_mov_b32_e32 v28, 0
	s_andn2_b32 s17, s17, exec_lo
	s_and_b32 s74, vcc_lo, exec_lo
	s_or_b32 s17, s17, s74
	s_or_b32 exec_lo, exec_lo, s73
	s_and_saveexec_b32 s73, s17
	s_cbranch_execnz .LBB6_13450
	s_branch .LBB6_13451
.LBB6_13964:                            ;   in Loop: Header=BB6_13372 Depth=3
	s_or_saveexec_b32 s73, s73
	v_mov_b32_e32 v29, 0x7f800001
	s_xor_b32 exec_lo, exec_lo, s73
	s_cbranch_execz .LBB6_13455
.LBB6_13965:                            ;   in Loop: Header=BB6_13372 Depth=3
	v_cmp_ne_u16_e32 vcc_lo, 0, v30
	v_mov_b32_e32 v29, 0
	s_andn2_b32 s17, s17, exec_lo
	s_and_b32 s74, vcc_lo, exec_lo
	s_or_b32 s17, s17, s74
	s_or_b32 exec_lo, exec_lo, s73
	s_and_saveexec_b32 s73, s17
	s_cbranch_execnz .LBB6_13456
	s_branch .LBB6_13457
.LBB6_13966:                            ;   in Loop: Header=BB6_13372 Depth=3
	s_or_saveexec_b32 s73, s73
	v_mov_b32_e32 v28, 0x7f800001
	s_xor_b32 exec_lo, exec_lo, s73
	s_cbranch_execz .LBB6_13463
.LBB6_13967:                            ;   in Loop: Header=BB6_13372 Depth=3
	v_cmp_ne_u16_e32 vcc_lo, 0, v29
	v_mov_b32_e32 v28, 0
	s_andn2_b32 s17, s17, exec_lo
	s_and_b32 s74, vcc_lo, exec_lo
	s_or_b32 s17, s17, s74
	s_or_b32 exec_lo, exec_lo, s73
	s_and_saveexec_b32 s73, s17
	s_cbranch_execnz .LBB6_13464
	s_branch .LBB6_13465
.LBB6_13968:                            ;   in Loop: Header=BB6_13372 Depth=3
	s_or_saveexec_b32 s73, s73
	v_mov_b32_e32 v29, 0x7f800001
	s_xor_b32 exec_lo, exec_lo, s73
	s_cbranch_execz .LBB6_13469
.LBB6_13969:                            ;   in Loop: Header=BB6_13372 Depth=3
	v_cmp_ne_u16_e32 vcc_lo, 0, v30
	v_mov_b32_e32 v29, 0
	s_andn2_b32 s17, s17, exec_lo
	s_and_b32 s74, vcc_lo, exec_lo
	s_or_b32 s17, s17, s74
	s_or_b32 exec_lo, exec_lo, s73
	s_and_saveexec_b32 s73, s17
	s_cbranch_execnz .LBB6_13470
	s_branch .LBB6_13471
.LBB6_13970:                            ;   in Loop: Header=BB6_13372 Depth=3
	s_or_saveexec_b32 s73, s73
	v_mov_b32_e32 v29, 0x7f800001
	s_xor_b32 exec_lo, exec_lo, s73
	s_cbranch_execz .LBB6_13485
.LBB6_13971:                            ;   in Loop: Header=BB6_13372 Depth=3
	v_cmp_ne_u16_sdwa s74, v12, v2 src0_sel:BYTE_3 src1_sel:DWORD
	v_mov_b32_e32 v29, 0
	s_andn2_b32 s17, s17, exec_lo
	s_and_b32 s74, s74, exec_lo
	s_or_b32 s17, s17, s74
	s_or_b32 exec_lo, exec_lo, s73
	s_and_saveexec_b32 s73, s17
	s_cbranch_execnz .LBB6_13486
	s_branch .LBB6_13487
.LBB6_13972:                            ;   in Loop: Header=BB6_13372 Depth=3
	s_or_saveexec_b32 s73, s73
	v_mov_b32_e32 v30, 0x7f800001
	s_xor_b32 exec_lo, exec_lo, s73
	s_cbranch_execz .LBB6_13491
.LBB6_13973:                            ;   in Loop: Header=BB6_13372 Depth=3
	v_cmp_ne_u16_sdwa s74, v8, v2 src0_sel:BYTE_3 src1_sel:DWORD
	v_mov_b32_e32 v30, 0
	s_andn2_b32 s17, s17, exec_lo
	s_and_b32 s74, s74, exec_lo
	s_or_b32 s17, s17, s74
	s_or_b32 exec_lo, exec_lo, s73
	s_and_saveexec_b32 s73, s17
	s_cbranch_execnz .LBB6_13492
	s_branch .LBB6_13493
.LBB6_13974:                            ;   in Loop: Header=BB6_13372 Depth=3
	s_or_saveexec_b32 s73, s73
	v_mov_b32_e32 v29, 0x7f800001
	s_xor_b32 exec_lo, exec_lo, s73
	s_cbranch_execz .LBB6_13499
.LBB6_13975:                            ;   in Loop: Header=BB6_13372 Depth=3
	v_cmp_ne_u16_sdwa s74, v12, v2 src0_sel:BYTE_3 src1_sel:DWORD
	v_mov_b32_e32 v29, 0
	s_andn2_b32 s17, s17, exec_lo
	s_and_b32 s74, s74, exec_lo
	s_or_b32 s17, s17, s74
	s_or_b32 exec_lo, exec_lo, s73
	s_and_saveexec_b32 s73, s17
	s_cbranch_execnz .LBB6_13500
	s_branch .LBB6_13501
.LBB6_13976:                            ;   in Loop: Header=BB6_13372 Depth=3
	s_or_saveexec_b32 s73, s73
	v_mov_b32_e32 v12, 0x7f800001
	s_xor_b32 exec_lo, exec_lo, s73
	s_cbranch_execz .LBB6_13505
.LBB6_13977:                            ;   in Loop: Header=BB6_13372 Depth=3
	v_cmp_ne_u16_sdwa s74, v8, v2 src0_sel:BYTE_3 src1_sel:DWORD
	v_mov_b32_e32 v12, 0
	s_andn2_b32 s17, s17, exec_lo
	s_and_b32 s74, s74, exec_lo
	s_or_b32 s17, s17, s74
	s_or_b32 exec_lo, exec_lo, s73
	s_and_saveexec_b32 s73, s17
	s_cbranch_execnz .LBB6_13506
	s_branch .LBB6_13507
.LBB6_13978:                            ;   in Loop: Header=BB6_13372 Depth=3
	s_or_saveexec_b32 s73, s73
	v_mov_b32_e32 v28, 0x7f800001
	s_xor_b32 exec_lo, exec_lo, s73
	s_cbranch_execz .LBB6_13521
.LBB6_13979:                            ;   in Loop: Header=BB6_13372 Depth=3
	v_cmp_ne_u16_sdwa s74, v13, v2 src0_sel:BYTE_0 src1_sel:DWORD
	v_mov_b32_e32 v28, 0
	s_andn2_b32 s17, s17, exec_lo
	s_and_b32 s74, s74, exec_lo
	s_or_b32 s17, s17, s74
	s_or_b32 exec_lo, exec_lo, s73
	s_and_saveexec_b32 s73, s17
	s_cbranch_execnz .LBB6_13522
	s_branch .LBB6_13523
.LBB6_13980:                            ;   in Loop: Header=BB6_13372 Depth=3
	s_or_saveexec_b32 s73, s73
	v_mov_b32_e32 v29, 0x7f800001
	s_xor_b32 exec_lo, exec_lo, s73
	s_cbranch_execz .LBB6_13527
.LBB6_13981:                            ;   in Loop: Header=BB6_13372 Depth=3
	v_cmp_ne_u16_sdwa s74, v9, v2 src0_sel:BYTE_0 src1_sel:DWORD
	v_mov_b32_e32 v29, 0
	s_andn2_b32 s17, s17, exec_lo
	s_and_b32 s74, s74, exec_lo
	s_or_b32 s17, s17, s74
	s_or_b32 exec_lo, exec_lo, s73
	s_and_saveexec_b32 s73, s17
	s_cbranch_execnz .LBB6_13528
	s_branch .LBB6_13529
.LBB6_13982:                            ;   in Loop: Header=BB6_13372 Depth=3
	s_or_saveexec_b32 s73, s73
	v_mov_b32_e32 v28, 0x7f800001
	s_xor_b32 exec_lo, exec_lo, s73
	s_cbranch_execz .LBB6_13535
.LBB6_13983:                            ;   in Loop: Header=BB6_13372 Depth=3
	v_cmp_ne_u16_sdwa s74, v13, v2 src0_sel:BYTE_0 src1_sel:DWORD
	v_mov_b32_e32 v28, 0
	s_andn2_b32 s17, s17, exec_lo
	s_and_b32 s74, s74, exec_lo
	s_or_b32 s17, s17, s74
	s_or_b32 exec_lo, exec_lo, s73
	s_and_saveexec_b32 s73, s17
	s_cbranch_execnz .LBB6_13536
	s_branch .LBB6_13537
.LBB6_13984:                            ;   in Loop: Header=BB6_13372 Depth=3
	s_or_saveexec_b32 s73, s73
	v_mov_b32_e32 v29, 0x7f800001
	s_xor_b32 exec_lo, exec_lo, s73
	s_cbranch_execz .LBB6_13541
.LBB6_13985:                            ;   in Loop: Header=BB6_13372 Depth=3
	v_cmp_ne_u16_sdwa s74, v9, v2 src0_sel:BYTE_0 src1_sel:DWORD
	v_mov_b32_e32 v29, 0
	s_andn2_b32 s17, s17, exec_lo
	s_and_b32 s74, s74, exec_lo
	s_or_b32 s17, s17, s74
	s_or_b32 exec_lo, exec_lo, s73
	s_and_saveexec_b32 s73, s17
	s_cbranch_execnz .LBB6_13542
	s_branch .LBB6_13543
.LBB6_13986:                            ;   in Loop: Header=BB6_13372 Depth=3
	s_or_saveexec_b32 s73, s73
	v_mov_b32_e32 v29, 0x7f800001
	s_xor_b32 exec_lo, exec_lo, s73
	s_cbranch_execz .LBB6_13557
.LBB6_13987:                            ;   in Loop: Header=BB6_13372 Depth=3
	v_cmp_ne_u16_sdwa s74, v13, v2 src0_sel:BYTE_1 src1_sel:DWORD
	v_mov_b32_e32 v29, 0
	s_andn2_b32 s17, s17, exec_lo
	s_and_b32 s74, s74, exec_lo
	s_or_b32 s17, s17, s74
	s_or_b32 exec_lo, exec_lo, s73
	s_and_saveexec_b32 s73, s17
	s_cbranch_execnz .LBB6_13558
	s_branch .LBB6_13559
.LBB6_13988:                            ;   in Loop: Header=BB6_13372 Depth=3
	s_or_saveexec_b32 s73, s73
	v_mov_b32_e32 v30, 0x7f800001
	s_xor_b32 exec_lo, exec_lo, s73
	s_cbranch_execz .LBB6_13563
.LBB6_13989:                            ;   in Loop: Header=BB6_13372 Depth=3
	v_cmp_ne_u16_sdwa s74, v9, v2 src0_sel:BYTE_1 src1_sel:DWORD
	v_mov_b32_e32 v30, 0
	s_andn2_b32 s17, s17, exec_lo
	s_and_b32 s74, s74, exec_lo
	s_or_b32 s17, s17, s74
	s_or_b32 exec_lo, exec_lo, s73
	s_and_saveexec_b32 s73, s17
	s_cbranch_execnz .LBB6_13564
	s_branch .LBB6_13565
.LBB6_13990:                            ;   in Loop: Header=BB6_13372 Depth=3
	s_or_saveexec_b32 s73, s73
	v_mov_b32_e32 v29, 0x7f800001
	s_xor_b32 exec_lo, exec_lo, s73
	s_cbranch_execz .LBB6_13571
.LBB6_13991:                            ;   in Loop: Header=BB6_13372 Depth=3
	v_cmp_ne_u16_sdwa s74, v13, v2 src0_sel:BYTE_1 src1_sel:DWORD
	v_mov_b32_e32 v29, 0
	s_andn2_b32 s17, s17, exec_lo
	s_and_b32 s74, s74, exec_lo
	s_or_b32 s17, s17, s74
	s_or_b32 exec_lo, exec_lo, s73
	s_and_saveexec_b32 s73, s17
	s_cbranch_execnz .LBB6_13572
	s_branch .LBB6_13573
.LBB6_13992:                            ;   in Loop: Header=BB6_13372 Depth=3
	s_or_saveexec_b32 s73, s73
	v_mov_b32_e32 v30, 0x7f800001
	s_xor_b32 exec_lo, exec_lo, s73
	s_cbranch_execz .LBB6_13577
.LBB6_13993:                            ;   in Loop: Header=BB6_13372 Depth=3
	v_cmp_ne_u16_sdwa s74, v9, v2 src0_sel:BYTE_1 src1_sel:DWORD
	v_mov_b32_e32 v30, 0
	s_andn2_b32 s17, s17, exec_lo
	s_and_b32 s74, s74, exec_lo
	s_or_b32 s17, s17, s74
	s_or_b32 exec_lo, exec_lo, s73
	s_and_saveexec_b32 s73, s17
	s_cbranch_execnz .LBB6_13578
	s_branch .LBB6_13579
.LBB6_13994:                            ;   in Loop: Header=BB6_13372 Depth=3
	s_or_saveexec_b32 s73, s73
	v_mov_b32_e32 v30, 0x7f800001
	s_xor_b32 exec_lo, exec_lo, s73
	s_cbranch_execz .LBB6_13593
.LBB6_13995:                            ;   in Loop: Header=BB6_13372 Depth=3
	v_cmp_ne_u16_e32 vcc_lo, 0, v31
	v_mov_b32_e32 v30, 0
	s_andn2_b32 s17, s17, exec_lo
	s_and_b32 s74, vcc_lo, exec_lo
	s_or_b32 s17, s17, s74
	s_or_b32 exec_lo, exec_lo, s73
	s_and_saveexec_b32 s73, s17
	s_cbranch_execnz .LBB6_13594
	s_branch .LBB6_13595
.LBB6_13996:                            ;   in Loop: Header=BB6_13372 Depth=3
	s_or_saveexec_b32 s73, s73
	v_mov_b32_e32 v31, 0x7f800001
	s_xor_b32 exec_lo, exec_lo, s73
	s_cbranch_execz .LBB6_13599
.LBB6_13997:                            ;   in Loop: Header=BB6_13372 Depth=3
	v_cmp_ne_u16_e32 vcc_lo, 0, v32
	v_mov_b32_e32 v31, 0
	s_andn2_b32 s17, s17, exec_lo
	s_and_b32 s74, vcc_lo, exec_lo
	s_or_b32 s17, s17, s74
	s_or_b32 exec_lo, exec_lo, s73
	s_and_saveexec_b32 s73, s17
	s_cbranch_execnz .LBB6_13600
	s_branch .LBB6_13601
.LBB6_13998:                            ;   in Loop: Header=BB6_13372 Depth=3
	s_or_saveexec_b32 s73, s73
	v_mov_b32_e32 v30, 0x7f800001
	s_xor_b32 exec_lo, exec_lo, s73
	s_cbranch_execz .LBB6_13607
.LBB6_13999:                            ;   in Loop: Header=BB6_13372 Depth=3
	v_cmp_ne_u16_e32 vcc_lo, 0, v31
	v_mov_b32_e32 v30, 0
	s_andn2_b32 s17, s17, exec_lo
	s_and_b32 s74, vcc_lo, exec_lo
	s_or_b32 s17, s17, s74
	s_or_b32 exec_lo, exec_lo, s73
	s_and_saveexec_b32 s73, s17
	s_cbranch_execnz .LBB6_13608
	s_branch .LBB6_13609
.LBB6_14000:                            ;   in Loop: Header=BB6_13372 Depth=3
	s_or_saveexec_b32 s73, s73
	v_mov_b32_e32 v31, 0x7f800001
	s_xor_b32 exec_lo, exec_lo, s73
	s_cbranch_execz .LBB6_13613
.LBB6_14001:                            ;   in Loop: Header=BB6_13372 Depth=3
	v_cmp_ne_u16_e32 vcc_lo, 0, v32
	v_mov_b32_e32 v31, 0
	s_andn2_b32 s17, s17, exec_lo
	s_and_b32 s74, vcc_lo, exec_lo
	s_or_b32 s17, s17, s74
	s_or_b32 exec_lo, exec_lo, s73
	s_and_saveexec_b32 s73, s17
	s_cbranch_execnz .LBB6_13614
	s_branch .LBB6_13615
.LBB6_14002:                            ;   in Loop: Header=BB6_13372 Depth=3
	s_or_saveexec_b32 s73, s73
	v_mov_b32_e32 v31, 0x7f800001
	s_xor_b32 exec_lo, exec_lo, s73
	s_cbranch_execz .LBB6_13629
.LBB6_14003:                            ;   in Loop: Header=BB6_13372 Depth=3
	v_cmp_ne_u16_sdwa s74, v13, v2 src0_sel:BYTE_3 src1_sel:DWORD
	v_mov_b32_e32 v31, 0
	s_andn2_b32 s17, s17, exec_lo
	s_and_b32 s74, s74, exec_lo
	s_or_b32 s17, s17, s74
	s_or_b32 exec_lo, exec_lo, s73
	s_and_saveexec_b32 s73, s17
	s_cbranch_execnz .LBB6_13630
	s_branch .LBB6_13631
.LBB6_14004:                            ;   in Loop: Header=BB6_13372 Depth=3
	s_or_saveexec_b32 s73, s73
	v_mov_b32_e32 v32, 0x7f800001
	s_xor_b32 exec_lo, exec_lo, s73
	s_cbranch_execz .LBB6_13635
.LBB6_14005:                            ;   in Loop: Header=BB6_13372 Depth=3
	v_cmp_ne_u16_sdwa s74, v9, v2 src0_sel:BYTE_3 src1_sel:DWORD
	v_mov_b32_e32 v32, 0
	s_andn2_b32 s17, s17, exec_lo
	s_and_b32 s74, s74, exec_lo
	s_or_b32 s17, s17, s74
	s_or_b32 exec_lo, exec_lo, s73
	s_and_saveexec_b32 s73, s17
	s_cbranch_execnz .LBB6_13636
	s_branch .LBB6_13637
.LBB6_14006:                            ;   in Loop: Header=BB6_13372 Depth=3
	s_or_saveexec_b32 s73, s73
	v_mov_b32_e32 v31, 0x7f800001
	s_xor_b32 exec_lo, exec_lo, s73
	s_cbranch_execz .LBB6_13643
.LBB6_14007:                            ;   in Loop: Header=BB6_13372 Depth=3
	v_cmp_ne_u16_sdwa s74, v13, v2 src0_sel:BYTE_3 src1_sel:DWORD
	v_mov_b32_e32 v31, 0
	s_andn2_b32 s17, s17, exec_lo
	s_and_b32 s74, s74, exec_lo
	s_or_b32 s17, s17, s74
	s_or_b32 exec_lo, exec_lo, s73
	s_and_saveexec_b32 s73, s17
	s_cbranch_execnz .LBB6_13644
	s_branch .LBB6_13645
.LBB6_14008:                            ;   in Loop: Header=BB6_13372 Depth=3
	s_or_saveexec_b32 s73, s73
	v_mov_b32_e32 v13, 0x7f800001
	s_xor_b32 exec_lo, exec_lo, s73
	s_cbranch_execz .LBB6_13649
.LBB6_14009:                            ;   in Loop: Header=BB6_13372 Depth=3
	v_cmp_ne_u16_sdwa s74, v9, v2 src0_sel:BYTE_3 src1_sel:DWORD
	v_mov_b32_e32 v13, 0
	s_andn2_b32 s17, s17, exec_lo
	s_and_b32 s74, s74, exec_lo
	s_or_b32 s17, s17, s74
	s_or_b32 exec_lo, exec_lo, s73
	s_and_saveexec_b32 s73, s17
	s_cbranch_execnz .LBB6_13650
	s_branch .LBB6_13651
.LBB6_14010:                            ;   in Loop: Header=BB6_13372 Depth=3
	s_or_saveexec_b32 s73, s73
	v_mov_b32_e32 v9, 0x7f800001
	s_xor_b32 exec_lo, exec_lo, s73
	s_cbranch_execz .LBB6_13665
.LBB6_14011:                            ;   in Loop: Header=BB6_13372 Depth=3
	v_cmp_ne_u16_sdwa s74, v14, v2 src0_sel:BYTE_0 src1_sel:DWORD
	v_mov_b32_e32 v9, 0
	s_andn2_b32 s17, s17, exec_lo
	s_and_b32 s74, s74, exec_lo
	s_or_b32 s17, s17, s74
	s_or_b32 exec_lo, exec_lo, s73
	s_and_saveexec_b32 s73, s17
	s_cbranch_execnz .LBB6_13666
	s_branch .LBB6_13667
.LBB6_14012:                            ;   in Loop: Header=BB6_13372 Depth=3
	s_or_saveexec_b32 s73, s73
	v_mov_b32_e32 v31, 0x7f800001
	s_xor_b32 exec_lo, exec_lo, s73
	s_cbranch_execz .LBB6_13671
.LBB6_14013:                            ;   in Loop: Header=BB6_13372 Depth=3
	v_cmp_ne_u16_sdwa s74, v10, v2 src0_sel:BYTE_0 src1_sel:DWORD
	v_mov_b32_e32 v31, 0
	s_andn2_b32 s17, s17, exec_lo
	s_and_b32 s74, s74, exec_lo
	s_or_b32 s17, s17, s74
	s_or_b32 exec_lo, exec_lo, s73
	s_and_saveexec_b32 s73, s17
	s_cbranch_execnz .LBB6_13672
	s_branch .LBB6_13673
.LBB6_14014:                            ;   in Loop: Header=BB6_13372 Depth=3
	s_or_saveexec_b32 s73, s73
	v_mov_b32_e32 v9, 0x7f800001
	s_xor_b32 exec_lo, exec_lo, s73
	s_cbranch_execz .LBB6_13679
.LBB6_14015:                            ;   in Loop: Header=BB6_13372 Depth=3
	v_cmp_ne_u16_sdwa s74, v14, v2 src0_sel:BYTE_0 src1_sel:DWORD
	v_mov_b32_e32 v9, 0
	s_andn2_b32 s17, s17, exec_lo
	s_and_b32 s74, s74, exec_lo
	s_or_b32 s17, s17, s74
	s_or_b32 exec_lo, exec_lo, s73
	s_and_saveexec_b32 s73, s17
	s_cbranch_execnz .LBB6_13680
	s_branch .LBB6_13681
.LBB6_14016:                            ;   in Loop: Header=BB6_13372 Depth=3
	s_or_saveexec_b32 s73, s73
	v_mov_b32_e32 v31, 0x7f800001
	s_xor_b32 exec_lo, exec_lo, s73
	s_cbranch_execz .LBB6_13685
.LBB6_14017:                            ;   in Loop: Header=BB6_13372 Depth=3
	v_cmp_ne_u16_sdwa s74, v10, v2 src0_sel:BYTE_0 src1_sel:DWORD
	v_mov_b32_e32 v31, 0
	s_andn2_b32 s17, s17, exec_lo
	s_and_b32 s74, s74, exec_lo
	s_or_b32 s17, s17, s74
	s_or_b32 exec_lo, exec_lo, s73
	s_and_saveexec_b32 s73, s17
	s_cbranch_execnz .LBB6_13686
	s_branch .LBB6_13687
.LBB6_14018:                            ;   in Loop: Header=BB6_13372 Depth=3
	s_or_saveexec_b32 s73, s73
	v_mov_b32_e32 v9, 0x7f800001
	s_xor_b32 exec_lo, exec_lo, s73
	s_cbranch_execz .LBB6_13701
.LBB6_14019:                            ;   in Loop: Header=BB6_13372 Depth=3
	v_cmp_ne_u16_sdwa s74, v14, v2 src0_sel:BYTE_1 src1_sel:DWORD
	v_mov_b32_e32 v9, 0
	s_andn2_b32 s17, s17, exec_lo
	s_and_b32 s74, s74, exec_lo
	s_or_b32 s17, s17, s74
	s_or_b32 exec_lo, exec_lo, s73
	s_and_saveexec_b32 s73, s17
	s_cbranch_execnz .LBB6_13702
	s_branch .LBB6_13703
.LBB6_14020:                            ;   in Loop: Header=BB6_13372 Depth=3
	s_or_saveexec_b32 s73, s73
	v_mov_b32_e32 v32, 0x7f800001
	s_xor_b32 exec_lo, exec_lo, s73
	s_cbranch_execz .LBB6_13707
.LBB6_14021:                            ;   in Loop: Header=BB6_13372 Depth=3
	v_cmp_ne_u16_sdwa s74, v10, v2 src0_sel:BYTE_1 src1_sel:DWORD
	v_mov_b32_e32 v32, 0
	s_andn2_b32 s17, s17, exec_lo
	s_and_b32 s74, s74, exec_lo
	s_or_b32 s17, s17, s74
	s_or_b32 exec_lo, exec_lo, s73
	s_and_saveexec_b32 s73, s17
	s_cbranch_execnz .LBB6_13708
	s_branch .LBB6_13709
.LBB6_14022:                            ;   in Loop: Header=BB6_13372 Depth=3
	s_or_saveexec_b32 s73, s73
	v_mov_b32_e32 v9, 0x7f800001
	s_xor_b32 exec_lo, exec_lo, s73
	s_cbranch_execz .LBB6_13715
.LBB6_14023:                            ;   in Loop: Header=BB6_13372 Depth=3
	v_cmp_ne_u16_sdwa s74, v14, v2 src0_sel:BYTE_1 src1_sel:DWORD
	v_mov_b32_e32 v9, 0
	s_andn2_b32 s17, s17, exec_lo
	s_and_b32 s74, s74, exec_lo
	s_or_b32 s17, s17, s74
	s_or_b32 exec_lo, exec_lo, s73
	s_and_saveexec_b32 s73, s17
	s_cbranch_execnz .LBB6_13716
	s_branch .LBB6_13717
.LBB6_14024:                            ;   in Loop: Header=BB6_13372 Depth=3
	s_or_saveexec_b32 s73, s73
	v_mov_b32_e32 v32, 0x7f800001
	s_xor_b32 exec_lo, exec_lo, s73
	s_cbranch_execz .LBB6_13721
.LBB6_14025:                            ;   in Loop: Header=BB6_13372 Depth=3
	v_cmp_ne_u16_sdwa s74, v10, v2 src0_sel:BYTE_1 src1_sel:DWORD
	v_mov_b32_e32 v32, 0
	s_andn2_b32 s17, s17, exec_lo
	s_and_b32 s74, s74, exec_lo
	s_or_b32 s17, s17, s74
	s_or_b32 exec_lo, exec_lo, s73
	s_and_saveexec_b32 s73, s17
	s_cbranch_execnz .LBB6_13722
	s_branch .LBB6_13723
.LBB6_14026:                            ;   in Loop: Header=BB6_13372 Depth=3
	s_or_saveexec_b32 s73, s73
	v_mov_b32_e32 v9, 0x7f800001
	s_xor_b32 exec_lo, exec_lo, s73
	s_cbranch_execz .LBB6_13737
.LBB6_14027:                            ;   in Loop: Header=BB6_13372 Depth=3
	v_cmp_ne_u16_e32 vcc_lo, 0, v33
	v_mov_b32_e32 v9, 0
	s_andn2_b32 s17, s17, exec_lo
	s_and_b32 s74, vcc_lo, exec_lo
	s_or_b32 s17, s17, s74
	s_or_b32 exec_lo, exec_lo, s73
	s_and_saveexec_b32 s73, s17
	s_cbranch_execnz .LBB6_13738
	s_branch .LBB6_13739
.LBB6_14028:                            ;   in Loop: Header=BB6_13372 Depth=3
	s_or_saveexec_b32 s73, s73
	v_mov_b32_e32 v33, 0x7f800001
	s_xor_b32 exec_lo, exec_lo, s73
	s_cbranch_execz .LBB6_13743
.LBB6_14029:                            ;   in Loop: Header=BB6_13372 Depth=3
	v_cmp_ne_u16_e32 vcc_lo, 0, v34
	v_mov_b32_e32 v33, 0
	s_andn2_b32 s17, s17, exec_lo
	s_and_b32 s74, vcc_lo, exec_lo
	s_or_b32 s17, s17, s74
	s_or_b32 exec_lo, exec_lo, s73
	s_and_saveexec_b32 s73, s17
	s_cbranch_execnz .LBB6_13744
	s_branch .LBB6_13745
.LBB6_14030:                            ;   in Loop: Header=BB6_13372 Depth=3
	s_or_saveexec_b32 s73, s73
	v_mov_b32_e32 v9, 0x7f800001
	s_xor_b32 exec_lo, exec_lo, s73
	s_cbranch_execz .LBB6_13751
.LBB6_14031:                            ;   in Loop: Header=BB6_13372 Depth=3
	v_cmp_ne_u16_e32 vcc_lo, 0, v33
	v_mov_b32_e32 v9, 0
	s_andn2_b32 s17, s17, exec_lo
	s_and_b32 s74, vcc_lo, exec_lo
	s_or_b32 s17, s17, s74
	s_or_b32 exec_lo, exec_lo, s73
	s_and_saveexec_b32 s73, s17
	s_cbranch_execnz .LBB6_13752
	s_branch .LBB6_13753
.LBB6_14032:                            ;   in Loop: Header=BB6_13372 Depth=3
	s_or_saveexec_b32 s73, s73
	v_mov_b32_e32 v33, 0x7f800001
	s_xor_b32 exec_lo, exec_lo, s73
	s_cbranch_execz .LBB6_13757
.LBB6_14033:                            ;   in Loop: Header=BB6_13372 Depth=3
	v_cmp_ne_u16_e32 vcc_lo, 0, v34
	v_mov_b32_e32 v33, 0
	s_andn2_b32 s17, s17, exec_lo
	s_and_b32 s74, vcc_lo, exec_lo
	s_or_b32 s17, s17, s74
	s_or_b32 exec_lo, exec_lo, s73
	s_and_saveexec_b32 s73, s17
	s_cbranch_execnz .LBB6_13758
	s_branch .LBB6_13759
.LBB6_14034:                            ;   in Loop: Header=BB6_13372 Depth=3
	s_or_saveexec_b32 s73, s73
	v_mov_b32_e32 v9, 0x7f800001
	s_xor_b32 exec_lo, exec_lo, s73
	s_cbranch_execz .LBB6_13773
.LBB6_14035:                            ;   in Loop: Header=BB6_13372 Depth=3
	v_cmp_ne_u16_sdwa s74, v14, v2 src0_sel:BYTE_3 src1_sel:DWORD
	v_mov_b32_e32 v9, 0
	s_andn2_b32 s17, s17, exec_lo
	s_and_b32 s74, s74, exec_lo
	s_or_b32 s17, s17, s74
	s_or_b32 exec_lo, exec_lo, s73
	s_and_saveexec_b32 s73, s17
	s_cbranch_execnz .LBB6_13774
	s_branch .LBB6_13775
.LBB6_14036:                            ;   in Loop: Header=BB6_13372 Depth=3
	s_or_saveexec_b32 s73, s73
	v_mov_b32_e32 v34, 0x7f800001
	s_xor_b32 exec_lo, exec_lo, s73
	s_cbranch_execz .LBB6_13779
.LBB6_14037:                            ;   in Loop: Header=BB6_13372 Depth=3
	v_cmp_ne_u16_sdwa s74, v10, v2 src0_sel:BYTE_3 src1_sel:DWORD
	v_mov_b32_e32 v34, 0
	s_andn2_b32 s17, s17, exec_lo
	s_and_b32 s74, s74, exec_lo
	s_or_b32 s17, s17, s74
	s_or_b32 exec_lo, exec_lo, s73
	s_and_saveexec_b32 s73, s17
	s_cbranch_execnz .LBB6_13780
	s_branch .LBB6_13781
.LBB6_14038:                            ;   in Loop: Header=BB6_13372 Depth=3
	s_or_saveexec_b32 s73, s73
	v_mov_b32_e32 v9, 0x7f800001
	s_xor_b32 exec_lo, exec_lo, s73
	s_cbranch_execz .LBB6_13787
.LBB6_14039:                            ;   in Loop: Header=BB6_13372 Depth=3
	v_cmp_ne_u16_sdwa s74, v14, v2 src0_sel:BYTE_3 src1_sel:DWORD
	v_mov_b32_e32 v9, 0
	s_andn2_b32 s17, s17, exec_lo
	s_and_b32 s74, s74, exec_lo
	s_or_b32 s17, s17, s74
	s_or_b32 exec_lo, exec_lo, s73
	s_and_saveexec_b32 s73, s17
	s_cbranch_execnz .LBB6_13788
	s_branch .LBB6_13789
.LBB6_14040:                            ;   in Loop: Header=BB6_13372 Depth=3
	s_or_saveexec_b32 s73, s73
	v_mov_b32_e32 v14, 0x7f800001
	s_xor_b32 exec_lo, exec_lo, s73
	s_cbranch_execz .LBB6_13793
.LBB6_14041:                            ;   in Loop: Header=BB6_13372 Depth=3
	v_cmp_ne_u16_sdwa s74, v10, v2 src0_sel:BYTE_3 src1_sel:DWORD
	v_mov_b32_e32 v14, 0
	s_andn2_b32 s17, s17, exec_lo
	s_and_b32 s74, s74, exec_lo
	s_or_b32 s17, s17, s74
	s_or_b32 exec_lo, exec_lo, s73
	s_and_saveexec_b32 s73, s17
	s_cbranch_execnz .LBB6_13794
	s_branch .LBB6_13795
.LBB6_14042:                            ;   in Loop: Header=BB6_13372 Depth=3
	s_or_saveexec_b32 s73, s73
	v_mov_b32_e32 v9, 0x7f800001
	s_xor_b32 exec_lo, exec_lo, s73
	s_cbranch_execz .LBB6_13809
.LBB6_14043:                            ;   in Loop: Header=BB6_13372 Depth=3
	v_cmp_ne_u16_sdwa s74, v15, v2 src0_sel:BYTE_0 src1_sel:DWORD
	v_mov_b32_e32 v9, 0
	s_andn2_b32 s17, s17, exec_lo
	s_and_b32 s74, s74, exec_lo
	s_or_b32 s17, s17, s74
	s_or_b32 exec_lo, exec_lo, s73
	s_and_saveexec_b32 s73, s17
	s_cbranch_execnz .LBB6_13810
	s_branch .LBB6_13811
.LBB6_14044:                            ;   in Loop: Header=BB6_13372 Depth=3
	s_or_saveexec_b32 s73, s73
	v_mov_b32_e32 v10, 0x7f800001
	s_xor_b32 exec_lo, exec_lo, s73
	s_cbranch_execz .LBB6_13815
.LBB6_14045:                            ;   in Loop: Header=BB6_13372 Depth=3
	v_cmp_ne_u16_sdwa s74, v11, v2 src0_sel:BYTE_0 src1_sel:DWORD
	v_mov_b32_e32 v10, 0
	s_andn2_b32 s17, s17, exec_lo
	s_and_b32 s74, s74, exec_lo
	s_or_b32 s17, s17, s74
	s_or_b32 exec_lo, exec_lo, s73
	s_and_saveexec_b32 s73, s17
	s_cbranch_execnz .LBB6_13816
	s_branch .LBB6_13817
.LBB6_14046:                            ;   in Loop: Header=BB6_13372 Depth=3
	s_or_saveexec_b32 s73, s73
	v_mov_b32_e32 v9, 0x7f800001
	s_xor_b32 exec_lo, exec_lo, s73
	s_cbranch_execz .LBB6_13823
.LBB6_14047:                            ;   in Loop: Header=BB6_13372 Depth=3
	v_cmp_ne_u16_sdwa s74, v15, v2 src0_sel:BYTE_0 src1_sel:DWORD
	v_mov_b32_e32 v9, 0
	s_andn2_b32 s17, s17, exec_lo
	s_and_b32 s74, s74, exec_lo
	s_or_b32 s17, s17, s74
	s_or_b32 exec_lo, exec_lo, s73
	s_and_saveexec_b32 s73, s17
	s_cbranch_execnz .LBB6_13824
	s_branch .LBB6_13825
.LBB6_14048:                            ;   in Loop: Header=BB6_13372 Depth=3
	s_or_saveexec_b32 s73, s73
	v_mov_b32_e32 v10, 0x7f800001
	s_xor_b32 exec_lo, exec_lo, s73
	s_cbranch_execz .LBB6_13829
.LBB6_14049:                            ;   in Loop: Header=BB6_13372 Depth=3
	v_cmp_ne_u16_sdwa s74, v11, v2 src0_sel:BYTE_0 src1_sel:DWORD
	v_mov_b32_e32 v10, 0
	s_andn2_b32 s17, s17, exec_lo
	s_and_b32 s74, s74, exec_lo
	s_or_b32 s17, s17, s74
	s_or_b32 exec_lo, exec_lo, s73
	s_and_saveexec_b32 s73, s17
	s_cbranch_execnz .LBB6_13830
	s_branch .LBB6_13831
.LBB6_14050:                            ;   in Loop: Header=BB6_13372 Depth=3
	s_or_saveexec_b32 s73, s73
	v_mov_b32_e32 v9, 0x7f800001
	s_xor_b32 exec_lo, exec_lo, s73
	s_cbranch_execz .LBB6_13845
.LBB6_14051:                            ;   in Loop: Header=BB6_13372 Depth=3
	v_cmp_ne_u16_sdwa s74, v15, v2 src0_sel:BYTE_1 src1_sel:DWORD
	v_mov_b32_e32 v9, 0
	s_andn2_b32 s17, s17, exec_lo
	s_and_b32 s74, s74, exec_lo
	s_or_b32 s17, s17, s74
	s_or_b32 exec_lo, exec_lo, s73
	s_and_saveexec_b32 s73, s17
	s_cbranch_execnz .LBB6_13846
	s_branch .LBB6_13847
.LBB6_14052:                            ;   in Loop: Header=BB6_13372 Depth=3
	s_or_saveexec_b32 s73, s73
	v_mov_b32_e32 v10, 0x7f800001
	s_xor_b32 exec_lo, exec_lo, s73
	s_cbranch_execz .LBB6_13851
.LBB6_14053:                            ;   in Loop: Header=BB6_13372 Depth=3
	v_cmp_ne_u16_sdwa s74, v11, v2 src0_sel:BYTE_1 src1_sel:DWORD
	v_mov_b32_e32 v10, 0
	s_andn2_b32 s17, s17, exec_lo
	s_and_b32 s74, s74, exec_lo
	s_or_b32 s17, s17, s74
	s_or_b32 exec_lo, exec_lo, s73
	s_and_saveexec_b32 s73, s17
	s_cbranch_execnz .LBB6_13852
	s_branch .LBB6_13853
.LBB6_14054:                            ;   in Loop: Header=BB6_13372 Depth=3
	s_or_saveexec_b32 s73, s73
	v_mov_b32_e32 v9, 0x7f800001
	s_xor_b32 exec_lo, exec_lo, s73
	s_cbranch_execz .LBB6_13859
.LBB6_14055:                            ;   in Loop: Header=BB6_13372 Depth=3
	v_cmp_ne_u16_sdwa s74, v15, v2 src0_sel:BYTE_1 src1_sel:DWORD
	v_mov_b32_e32 v9, 0
	s_andn2_b32 s17, s17, exec_lo
	s_and_b32 s74, s74, exec_lo
	s_or_b32 s17, s17, s74
	s_or_b32 exec_lo, exec_lo, s73
	s_and_saveexec_b32 s73, s17
	s_cbranch_execnz .LBB6_13860
	s_branch .LBB6_13861
.LBB6_14056:                            ;   in Loop: Header=BB6_13372 Depth=3
	s_or_saveexec_b32 s73, s73
	v_mov_b32_e32 v10, 0x7f800001
	s_xor_b32 exec_lo, exec_lo, s73
	s_cbranch_execz .LBB6_13865
.LBB6_14057:                            ;   in Loop: Header=BB6_13372 Depth=3
	v_cmp_ne_u16_sdwa s74, v11, v2 src0_sel:BYTE_1 src1_sel:DWORD
	v_mov_b32_e32 v10, 0
	s_andn2_b32 s17, s17, exec_lo
	s_and_b32 s74, s74, exec_lo
	s_or_b32 s17, s17, s74
	s_or_b32 exec_lo, exec_lo, s73
	s_and_saveexec_b32 s73, s17
	s_cbranch_execnz .LBB6_13866
	s_branch .LBB6_13867
.LBB6_14058:                            ;   in Loop: Header=BB6_13372 Depth=3
	s_or_saveexec_b32 s73, s73
	v_mov_b32_e32 v9, 0x7f800001
	s_xor_b32 exec_lo, exec_lo, s73
	s_cbranch_execz .LBB6_13881
.LBB6_14059:                            ;   in Loop: Header=BB6_13372 Depth=3
	v_cmp_ne_u16_e32 vcc_lo, 0, v10
	v_mov_b32_e32 v9, 0
	s_andn2_b32 s17, s17, exec_lo
	s_and_b32 s74, vcc_lo, exec_lo
	s_or_b32 s17, s17, s74
	s_or_b32 exec_lo, exec_lo, s73
	s_and_saveexec_b32 s73, s17
	s_cbranch_execnz .LBB6_13882
	s_branch .LBB6_13883
.LBB6_14060:                            ;   in Loop: Header=BB6_13372 Depth=3
	s_or_saveexec_b32 s73, s73
	v_mov_b32_e32 v10, 0x7f800001
	s_xor_b32 exec_lo, exec_lo, s73
	s_cbranch_execz .LBB6_13887
.LBB6_14061:                            ;   in Loop: Header=BB6_13372 Depth=3
	v_cmp_ne_u16_e32 vcc_lo, 0, v36
	v_mov_b32_e32 v10, 0
	s_andn2_b32 s17, s17, exec_lo
	s_and_b32 s74, vcc_lo, exec_lo
	s_or_b32 s17, s17, s74
	s_or_b32 exec_lo, exec_lo, s73
	s_and_saveexec_b32 s73, s17
	s_cbranch_execnz .LBB6_13888
	s_branch .LBB6_13889
.LBB6_14062:                            ;   in Loop: Header=BB6_13372 Depth=3
	s_or_saveexec_b32 s73, s73
	v_mov_b32_e32 v9, 0x7f800001
	s_xor_b32 exec_lo, exec_lo, s73
	s_cbranch_execz .LBB6_13895
.LBB6_14063:                            ;   in Loop: Header=BB6_13372 Depth=3
	v_cmp_ne_u16_e32 vcc_lo, 0, v10
	v_mov_b32_e32 v9, 0
	s_andn2_b32 s17, s17, exec_lo
	s_and_b32 s74, vcc_lo, exec_lo
	s_or_b32 s17, s17, s74
	s_or_b32 exec_lo, exec_lo, s73
	s_and_saveexec_b32 s73, s17
	s_cbranch_execnz .LBB6_13896
	s_branch .LBB6_13897
.LBB6_14064:                            ;   in Loop: Header=BB6_13372 Depth=3
	s_or_saveexec_b32 s73, s73
	v_mov_b32_e32 v10, 0x7f800001
	s_xor_b32 exec_lo, exec_lo, s73
	s_cbranch_execz .LBB6_13901
.LBB6_14065:                            ;   in Loop: Header=BB6_13372 Depth=3
	v_cmp_ne_u16_e32 vcc_lo, 0, v36
	v_mov_b32_e32 v10, 0
	s_andn2_b32 s17, s17, exec_lo
	s_and_b32 s74, vcc_lo, exec_lo
	s_or_b32 s17, s17, s74
	s_or_b32 exec_lo, exec_lo, s73
	s_and_saveexec_b32 s73, s17
	s_cbranch_execnz .LBB6_13902
	s_branch .LBB6_13903
.LBB6_14066:                            ;   in Loop: Header=BB6_13372 Depth=3
	s_or_saveexec_b32 s73, s73
	v_mov_b32_e32 v8, 0x7f800001
	s_xor_b32 exec_lo, exec_lo, s73
	s_cbranch_execz .LBB6_13917
.LBB6_14067:                            ;   in Loop: Header=BB6_13372 Depth=3
	v_cmp_ne_u16_sdwa s74, v15, v2 src0_sel:BYTE_3 src1_sel:DWORD
	v_mov_b32_e32 v8, 0
	s_andn2_b32 s17, s17, exec_lo
	s_and_b32 s74, s74, exec_lo
	s_or_b32 s17, s17, s74
	s_or_b32 exec_lo, exec_lo, s73
	s_and_saveexec_b32 s73, s17
	s_cbranch_execnz .LBB6_13918
	s_branch .LBB6_13919
.LBB6_14068:                            ;   in Loop: Header=BB6_13372 Depth=3
	s_or_saveexec_b32 s73, s73
	v_mov_b32_e32 v9, 0x7f800001
	s_xor_b32 exec_lo, exec_lo, s73
	s_cbranch_execz .LBB6_13923
.LBB6_14069:                            ;   in Loop: Header=BB6_13372 Depth=3
	v_cmp_ne_u16_sdwa s74, v11, v2 src0_sel:BYTE_3 src1_sel:DWORD
	v_mov_b32_e32 v9, 0
	s_andn2_b32 s17, s17, exec_lo
	s_and_b32 s74, s74, exec_lo
	s_or_b32 s17, s17, s74
	s_or_b32 exec_lo, exec_lo, s73
	s_and_saveexec_b32 s73, s17
	s_cbranch_execnz .LBB6_13924
	s_branch .LBB6_13925
.LBB6_14070:                            ;   in Loop: Header=BB6_13372 Depth=3
	s_or_saveexec_b32 s73, s73
	v_mov_b32_e32 v38, 0x7f800001
	s_xor_b32 exec_lo, exec_lo, s73
	s_cbranch_execz .LBB6_13931
.LBB6_14071:                            ;   in Loop: Header=BB6_13372 Depth=3
	v_cmp_ne_u16_sdwa s74, v15, v2 src0_sel:BYTE_3 src1_sel:DWORD
	v_mov_b32_e32 v38, 0
	s_andn2_b32 s17, s17, exec_lo
	s_and_b32 s74, s74, exec_lo
	s_or_b32 s17, s17, s74
	s_or_b32 exec_lo, exec_lo, s73
	s_and_saveexec_b32 s73, s17
	s_cbranch_execnz .LBB6_13932
	s_branch .LBB6_13933
.LBB6_14072:                            ;   in Loop: Header=BB6_13372 Depth=3
	s_or_saveexec_b32 s73, s73
	v_mov_b32_e32 v8, 0x7f800001
	s_xor_b32 exec_lo, exec_lo, s73
	s_cbranch_execz .LBB6_13937
.LBB6_14073:                            ;   in Loop: Header=BB6_13372 Depth=3
	v_cmp_ne_u16_sdwa s74, v11, v2 src0_sel:BYTE_3 src1_sel:DWORD
	v_mov_b32_e32 v8, 0
	s_andn2_b32 s17, s17, exec_lo
	s_and_b32 s74, s74, exec_lo
	s_or_b32 s17, s17, s74
	s_or_b32 exec_lo, exec_lo, s73
	s_and_saveexec_b32 s73, s17
	s_cbranch_execnz .LBB6_13938
	s_branch .LBB6_13939
.LBB6_14074:                            ;   in Loop: Header=BB6_5463 Depth=2
	s_or_b32 exec_lo, exec_lo, s22
.LBB6_14075:                            ;   in Loop: Header=BB6_5463 Depth=2
	s_or_b32 exec_lo, exec_lo, s19
	buffer_load_dword v8, off, s[0:3], s33 offset:216 ; 4-byte Folded Reload
	v_cmp_lt_i32_e32 vcc_lo, 0, v23
	v_cndmask_b32_e32 v10, 0, v47, vcc_lo
	s_waitcnt vmcnt(0)
	v_and_b32_e32 v8, 15, v8
	v_sub_nc_u32_e32 v9, v5, v8
	v_cndmask_b32_e64 v5, v5, v8, s16
	v_cndmask_b32_e64 v8, 0, v9, s16
	v_sub_nc_u32_e32 v9, v10, v23
	v_cmp_ne_u32_e32 vcc_lo, 0, v5
	v_add3_u32 v4, v4, v1, v8
	v_lshl_add_u32 v14, v9, 5, v22
	s_and_b32 s16, vcc_lo, exec_lo
.LBB6_14076:                            ;   in Loop: Header=BB6_5463 Depth=2
	s_or_b32 exec_lo, exec_lo, s18
	s_and_saveexec_b32 s17, s16
	s_cbranch_execz .LBB6_15537
.LBB6_14077:                            ;   in Loop: Header=BB6_5463 Depth=2
	v_ashrrev_i32_e32 v1, 31, v14
	s_waitcnt vmcnt(0)
	v_ashrrev_i32_e32 v8, 31, v5
	s_mov_b32 s18, exec_lo
	v_lshrrev_b32_e32 v1, 27, v1
	v_lshrrev_b32_e32 v8, 22, v8
	v_add_nc_u32_e32 v1, v14, v1
	v_add_nc_u32_e32 v8, v5, v8
	v_ashrrev_i32_e32 v15, 5, v1
	v_ashrrev_i32_e32 v17, 10, v8
	v_sub_nc_u32_e32 v16, v17, v15
	v_cmpx_lt_i32_e32 0, v16
	s_cbranch_execz .LBB6_15489
; %bb.14078:                            ;   in Loop: Header=BB6_5463 Depth=2
	v_and_b32_e32 v1, 0xffffffe0, v1
	v_lshlrev_b32_e32 v8, 10, v15
	s_trap 2
	ds_read_b64 v[10:11], v0
	s_bitcmp1_b32 s72, 0
	v_sub_nc_u32_e32 v1, v14, v1
	s_cselect_b32 s19, -1, 0
	s_mov_b32 s22, 0
	v_add3_u32 v1, v4, v1, v8
	s_clause 0x1
	buffer_load_dword v8, off, s[0:3], s33 offset:220
	buffer_load_dword v9, off, s[0:3], s33 offset:224
	v_ashrrev_i32_e32 v13, 31, v1
	s_waitcnt vmcnt(1)
	v_add_co_u32 v12, vcc_lo, 0x3e0, v8
	s_waitcnt vmcnt(0)
	v_add_co_ci_u32_e64 v18, null, 0, v9, vcc_lo
	v_add_co_u32 v8, vcc_lo, v1, v101
	v_add_co_ci_u32_e64 v9, null, v13, v102, vcc_lo
	s_waitcnt lgkmcnt(0)
	v_add_co_u32 v10, vcc_lo, v10, v1
	v_add_co_ci_u32_e64 v11, null, v11, v13, vcc_lo
	v_add_co_u32 v12, vcc_lo, v12, v1
	v_add_co_ci_u32_e64 v13, null, v18, v13, vcc_lo
	s_branch .LBB6_14082
.LBB6_14079:                            ;   in Loop: Header=BB6_14082 Depth=3
	s_or_b32 exec_lo, exec_lo, s16
	v_lshrrev_b32_e32 v19, 20, v19
	v_cmp_gt_i32_e32 vcc_lo, 16, v18
	v_min_i32_e32 v24, 15, v18
	v_and_b32_sdwa v22, v22, v62 dst_sel:DWORD dst_unused:UNUSED_PAD src0_sel:BYTE_3 src1_sel:DWORD
	v_cndmask_b32_e32 v19, 7, v19, vcc_lo
	v_lshlrev_b32_e32 v24, 3, v24
	v_and_b32_e32 v27, 7, v19
	v_or_b32_e32 v18, v18, v19
	v_or3_b32 v19, v24, v22, v27
	v_cmp_ne_u32_e32 vcc_lo, 0, v18
	v_cndmask_b32_e32 v18, 0, v19, vcc_lo
.LBB6_14080:                            ;   in Loop: Header=BB6_14082 Depth=3
	s_or_b32 exec_lo, exec_lo, s73
.LBB6_14081:                            ;   in Loop: Header=BB6_14082 Depth=3
	s_or_b32 exec_lo, exec_lo, s23
	v_add_co_u32 v86, vcc_lo, 0xfffffc20, v12
	v_add_co_ci_u32_e64 v87, null, -1, v13, vcc_lo
	s_waitcnt vmcnt(0) lgkmcnt(0)
	v_add_co_u32 v19, vcc_lo, 0xfffffc40, v12
	v_sub_nc_u32_e32 v16, v16, v47
	flat_store_byte v[86:87], v20 glc slc
	v_add_co_ci_u32_e64 v20, null, -1, v13, vcc_lo
	v_add_co_u32 v86, vcc_lo, 0xfffffc60, v12
	v_add_co_ci_u32_e64 v87, null, -1, v13, vcc_lo
	v_add_co_u32 v98, vcc_lo, 0xfffffc80, v12
	v_add_co_ci_u32_e64 v99, null, -1, v13, vcc_lo
	v_add_co_u32 v55, vcc_lo, 0xfffffca0, v12
	v_add_co_ci_u32_e64 v56, null, -1, v13, vcc_lo
	v_add_co_u32 v105, vcc_lo, 0xfffffcc0, v12
	v_add_co_ci_u32_e64 v106, null, -1, v13, vcc_lo
	flat_store_byte v[19:20], v25 glc slc
	flat_store_byte v[86:87], v28 glc slc
	flat_store_byte v[98:99], v32 glc slc
	flat_store_byte v[55:56], v35 glc slc
	flat_store_byte v[105:106], v38 glc slc
	v_add_co_u32 v19, vcc_lo, 0xfffffce0, v12
	v_add_co_ci_u32_e64 v20, null, -1, v13, vcc_lo
	v_add_co_u32 v24, vcc_lo, 0xfffffd00, v12
	v_add_co_ci_u32_e64 v25, null, -1, v13, vcc_lo
	v_add_co_u32 v27, vcc_lo, 0xfffffd20, v12
	v_add_co_ci_u32_e64 v28, null, -1, v13, vcc_lo
	v_add_co_u32 v34, vcc_lo, 0xfffffd40, v12
	v_add_co_ci_u32_e64 v35, null, -1, v13, vcc_lo
	v_add_co_u32 v37, vcc_lo, 0xfffffd60, v12
	v_add_co_ci_u32_e64 v38, null, -1, v13, vcc_lo
	flat_store_byte v[19:20], v49 glc slc
	flat_store_byte v[24:25], v51 glc slc
	flat_store_byte v[27:28], v1 glc slc
	flat_store_byte v[34:35], v82 glc slc
	flat_store_byte v[37:38], v85 glc slc
	v_add_co_u32 v19, vcc_lo, 0xfffffd80, v12
	;; [unrolled: 15-line block ×5, first 2 shown]
	v_add_co_ci_u32_e64 v20, null, -1, v13, vcc_lo
	v_add_co_u32 v24, vcc_lo, 0xffffff80, v12
	v_add_co_ci_u32_e64 v25, null, -1, v13, vcc_lo
	v_add_co_u32 v27, vcc_lo, 0xffffffa0, v12
	;; [unrolled: 2-line block ×5, first 2 shown]
	v_add_co_ci_u32_e64 v9, null, 0, v9, vcc_lo
	v_add_co_u32 v10, vcc_lo, v10, v77
	flat_store_byte v[19:20], v33 glc slc
	flat_store_byte v[24:25], v29 glc slc
	;; [unrolled: 1-line block ×6, first 2 shown]
	v_add_co_ci_u32_e64 v11, null, 0, v11, vcc_lo
	v_cmp_gt_i32_e32 vcc_lo, 1, v16
	v_add_co_u32 v12, s16, v12, v77
	v_add_co_ci_u32_e64 v13, null, 0, v13, s16
	s_or_b32 s22, vcc_lo, s22
	s_andn2_b32 exec_lo, exec_lo, s22
	s_cbranch_execz .LBB6_15488
.LBB6_14082:                            ;   Parent Loop BB6_47 Depth=1
                                        ;     Parent Loop BB6_5463 Depth=2
                                        ; =>    This Inner Loop Header: Depth=3
	s_clause 0x1f
	flat_load_ubyte v46, v[8:9] slc
	flat_load_ubyte v74, v[8:9] offset:32 slc
	flat_load_ubyte v122, v[8:9] offset:64 slc
	;; [unrolled: 1-line block ×31, first 2 shown]
	s_clause 0x1f
	flat_load_ubyte v20, v[10:11] slc
	flat_load_ubyte v25, v[10:11] offset:32 slc
	flat_load_ubyte v28, v[10:11] offset:64 slc
	flat_load_ubyte v32, v[10:11] offset:96 slc
	flat_load_ubyte v35, v[10:11] offset:128 slc
	flat_load_ubyte v38, v[10:11] offset:160 slc
	flat_load_ubyte v49, v[10:11] offset:192 slc
	flat_load_ubyte v51, v[10:11] offset:224 slc
	flat_load_ubyte v98, v[10:11] offset:256 slc
	flat_load_ubyte v110, v[10:11] offset:288 slc
	flat_load_ubyte v109, v[10:11] offset:320 slc
	flat_load_ubyte v108, v[10:11] offset:352 slc
	flat_load_ubyte v107, v[10:11] offset:384 slc
	flat_load_ubyte v57, v[10:11] offset:416 slc
	flat_load_ubyte v56, v[10:11] offset:448 slc
	flat_load_ubyte v43, v[10:11] offset:480 slc
	flat_load_ubyte v40, v[10:11] offset:512 slc
	flat_load_ubyte v117, v[10:11] offset:544 slc
	flat_load_ubyte v114, v[10:11] offset:576 slc
	flat_load_ubyte v102, v[10:11] offset:608 slc
	flat_load_ubyte v84, v[10:11] offset:640 slc
	flat_load_ubyte v55, v[10:11] offset:672 slc
	flat_load_ubyte v53, v[10:11] offset:704 slc
	flat_load_ubyte v31, v[10:11] offset:736 slc
	flat_load_ubyte v48, v[10:11] offset:768 slc
	flat_load_ubyte v37, v[10:11] offset:800 slc
	flat_load_ubyte v34, v[10:11] offset:832 slc
	flat_load_ubyte v30, v[10:11] offset:864 slc
	flat_load_ubyte v27, v[10:11] offset:896 slc
	flat_load_ubyte v24, v[10:11] offset:928 slc
	flat_load_ubyte v22, v[10:11] offset:960 slc
	flat_load_ubyte v19, v[10:11] offset:992 slc
	s_and_b32 vcc_lo, exec_lo, s19
	s_mov_b32 s16, -1
                                        ; implicit-def: $vgpr123
	s_cbranch_vccz .LBB6_14096
; %bb.14083:                            ;   in Loop: Header=BB6_14082 Depth=3
	s_waitcnt vmcnt(62) lgkmcnt(62)
	v_cmp_gt_i16_sdwa s16, v46, v61 src0_sel:BYTE_0 src1_sel:DWORD
	s_mov_b32 s23, 0
	s_and_saveexec_b32 s73, s16
	s_xor_b32 s16, exec_lo, s73
	s_cbranch_execz .LBB6_15232
; %bb.14084:                            ;   in Loop: Header=BB6_14082 Depth=3
	v_cmp_eq_u16_sdwa s74, v46, v62 src0_sel:BYTE_0 src1_sel:DWORD
	s_mov_b32 s23, -1
	s_and_saveexec_b32 s73, s74
; %bb.14085:                            ;   in Loop: Header=BB6_14082 Depth=3
	s_xor_b32 s23, exec_lo, -1
; %bb.14086:                            ;   in Loop: Header=BB6_14082 Depth=3
	s_or_b32 exec_lo, exec_lo, s73
	s_and_b32 s23, s23, exec_lo
	s_or_saveexec_b32 s16, s16
	v_mov_b32_e32 v60, 0x7f800001
	s_xor_b32 exec_lo, exec_lo, s16
	s_cbranch_execnz .LBB6_15233
.LBB6_14087:                            ;   in Loop: Header=BB6_14082 Depth=3
	s_or_b32 exec_lo, exec_lo, s16
	s_and_saveexec_b32 s16, s23
	s_cbranch_execz .LBB6_14089
.LBB6_14088:                            ;   in Loop: Header=BB6_14082 Depth=3
	v_and_b32_e32 v86, 7, v46
	v_lshrrev_b16 v60, 3, v46
	v_lshlrev_b32_e32 v106, 24, v46
	v_ffbh_u32_e32 v87, v86
	v_and_b32_e32 v60, 15, v60
	v_min_u32_e32 v87, 32, v87
	v_cmp_eq_u32_e32 vcc_lo, 0, v60
	v_subrev_nc_u32_e32 v105, 28, v87
	v_sub_nc_u32_e32 v87, 29, v87
	v_lshlrev_b32_e32 v105, v105, v46
	v_cndmask_b32_e32 v87, v60, v87, vcc_lo
	v_and_b32_e32 v60, 0x80000000, v106
	v_and_b32_e32 v105, 7, v105
	v_lshl_add_u32 v87, v87, 23, 0x3b800000
	v_cndmask_b32_e32 v86, v86, v105, vcc_lo
	v_lshlrev_b32_e32 v86, 20, v86
	v_or3_b32 v60, v60, v87, v86
.LBB6_14089:                            ;   in Loop: Header=BB6_14082 Depth=3
	s_or_b32 exec_lo, exec_lo, s16
	s_waitcnt vmcnt(31) lgkmcnt(31)
	v_cmp_gt_i16_sdwa s16, v20, v61 src0_sel:BYTE_0 src1_sel:DWORD
	s_mov_b32 s23, 0
	s_and_saveexec_b32 s73, s16
	s_xor_b32 s16, exec_lo, s73
	s_cbranch_execz .LBB6_15234
; %bb.14090:                            ;   in Loop: Header=BB6_14082 Depth=3
	v_cmp_eq_u16_sdwa s74, v20, v62 src0_sel:BYTE_0 src1_sel:DWORD
	s_mov_b32 s23, -1
	s_and_saveexec_b32 s73, s74
; %bb.14091:                            ;   in Loop: Header=BB6_14082 Depth=3
	s_xor_b32 s23, exec_lo, -1
; %bb.14092:                            ;   in Loop: Header=BB6_14082 Depth=3
	s_or_b32 exec_lo, exec_lo, s73
	s_and_b32 s23, s23, exec_lo
	s_or_saveexec_b32 s16, s16
	v_mov_b32_e32 v86, 0x7f800001
	s_xor_b32 exec_lo, exec_lo, s16
	s_cbranch_execnz .LBB6_15235
.LBB6_14093:                            ;   in Loop: Header=BB6_14082 Depth=3
	s_or_b32 exec_lo, exec_lo, s16
	s_and_saveexec_b32 s16, s23
	s_cbranch_execz .LBB6_14095
.LBB6_14094:                            ;   in Loop: Header=BB6_14082 Depth=3
	v_and_b32_e32 v86, 7, v20
	v_lshrrev_b16 v105, 3, v20
	v_lshlrev_b32_e32 v123, 24, v20
	v_ffbh_u32_e32 v87, v86
	v_and_b32_e32 v105, 15, v105
	v_min_u32_e32 v87, 32, v87
	v_cmp_eq_u32_e32 vcc_lo, 0, v105
	v_subrev_nc_u32_e32 v106, 28, v87
	v_sub_nc_u32_e32 v87, 29, v87
	v_lshlrev_b32_e32 v106, v106, v20
	v_cndmask_b32_e32 v87, v105, v87, vcc_lo
	v_and_b32_e32 v105, 0x80000000, v123
	v_and_b32_e32 v106, 7, v106
	v_lshl_add_u32 v87, v87, 23, 0x3b800000
	v_cndmask_b32_e32 v86, v86, v106, vcc_lo
	v_lshlrev_b32_e32 v86, 20, v86
	v_or3_b32 v86, v105, v87, v86
.LBB6_14095:                            ;   in Loop: Header=BB6_14082 Depth=3
	s_or_b32 exec_lo, exec_lo, s16
	v_max_f32_e32 v86, v86, v86
	v_max_f32_e32 v87, v60, v60
	s_mov_b32 s16, 0
	v_max_f32_e32 v123, v87, v86
.LBB6_14096:                            ;   in Loop: Header=BB6_14082 Depth=3
	s_and_b32 vcc_lo, exec_lo, s16
	s_cbranch_vccz .LBB6_14110
; %bb.14097:                            ;   in Loop: Header=BB6_14082 Depth=3
	s_waitcnt vmcnt(62) lgkmcnt(62)
	v_cmp_gt_i16_sdwa s16, v46, v61 src0_sel:BYTE_0 src1_sel:DWORD
	s_mov_b32 s23, 0
	s_and_saveexec_b32 s73, s16
	s_xor_b32 s16, exec_lo, s73
	s_cbranch_execz .LBB6_15236
; %bb.14098:                            ;   in Loop: Header=BB6_14082 Depth=3
	v_cmp_eq_u16_sdwa s74, v46, v62 src0_sel:BYTE_0 src1_sel:DWORD
	s_mov_b32 s23, -1
	s_and_saveexec_b32 s73, s74
; %bb.14099:                            ;   in Loop: Header=BB6_14082 Depth=3
	s_xor_b32 s23, exec_lo, -1
; %bb.14100:                            ;   in Loop: Header=BB6_14082 Depth=3
	s_or_b32 exec_lo, exec_lo, s73
	s_and_b32 s23, s23, exec_lo
	s_or_saveexec_b32 s16, s16
	v_mov_b32_e32 v60, 0x7f800001
	s_xor_b32 exec_lo, exec_lo, s16
	s_cbranch_execnz .LBB6_15237
.LBB6_14101:                            ;   in Loop: Header=BB6_14082 Depth=3
	s_or_b32 exec_lo, exec_lo, s16
	s_and_saveexec_b32 s16, s23
	s_cbranch_execz .LBB6_14103
.LBB6_14102:                            ;   in Loop: Header=BB6_14082 Depth=3
	v_and_b32_e32 v86, 7, v46
	v_lshrrev_b16 v60, 3, v46
	v_ffbh_u32_e32 v87, v86
	v_and_b32_e32 v60, 15, v60
	v_min_u32_e32 v87, 32, v87
	v_cmp_eq_u32_e32 vcc_lo, 0, v60
	v_subrev_nc_u32_e32 v105, 28, v87
	v_sub_nc_u32_e32 v87, 29, v87
	v_lshlrev_b32_e32 v105, v105, v46
	v_lshlrev_b32_e32 v46, 24, v46
	v_cndmask_b32_e32 v87, v60, v87, vcc_lo
	v_and_b32_e32 v105, 7, v105
	v_and_b32_e32 v46, 0x80000000, v46
	v_lshl_add_u32 v87, v87, 23, 0x3b800000
	v_cndmask_b32_e32 v86, v86, v105, vcc_lo
	v_lshlrev_b32_e32 v86, 20, v86
	v_or3_b32 v60, v46, v87, v86
.LBB6_14103:                            ;   in Loop: Header=BB6_14082 Depth=3
	s_or_b32 exec_lo, exec_lo, s16
	s_waitcnt vmcnt(31) lgkmcnt(31)
	v_cmp_gt_i16_sdwa s16, v20, v61 src0_sel:BYTE_0 src1_sel:DWORD
	s_mov_b32 s23, 0
	s_and_saveexec_b32 s73, s16
	s_xor_b32 s16, exec_lo, s73
	s_cbranch_execz .LBB6_15238
; %bb.14104:                            ;   in Loop: Header=BB6_14082 Depth=3
	v_cmp_eq_u16_sdwa s74, v20, v62 src0_sel:BYTE_0 src1_sel:DWORD
	s_mov_b32 s23, -1
	s_and_saveexec_b32 s73, s74
; %bb.14105:                            ;   in Loop: Header=BB6_14082 Depth=3
	s_xor_b32 s23, exec_lo, -1
; %bb.14106:                            ;   in Loop: Header=BB6_14082 Depth=3
	s_or_b32 exec_lo, exec_lo, s73
	s_and_b32 s23, s23, exec_lo
	s_or_saveexec_b32 s16, s16
	v_mov_b32_e32 v86, 0x7f800001
	s_xor_b32 exec_lo, exec_lo, s16
	s_cbranch_execnz .LBB6_15239
.LBB6_14107:                            ;   in Loop: Header=BB6_14082 Depth=3
	s_or_b32 exec_lo, exec_lo, s16
	s_and_saveexec_b32 s16, s23
	s_cbranch_execz .LBB6_14109
.LBB6_14108:                            ;   in Loop: Header=BB6_14082 Depth=3
	v_and_b32_e32 v86, 7, v20
	v_lshrrev_b16 v46, 3, v20
	v_ffbh_u32_e32 v87, v86
	v_and_b32_e32 v46, 15, v46
	v_min_u32_e32 v87, 32, v87
	v_cmp_eq_u32_e32 vcc_lo, 0, v46
	v_subrev_nc_u32_e32 v105, 28, v87
	v_sub_nc_u32_e32 v87, 29, v87
	v_lshlrev_b32_e32 v105, v105, v20
	v_lshlrev_b32_e32 v20, 24, v20
	v_cndmask_b32_e32 v87, v46, v87, vcc_lo
	v_and_b32_e32 v105, 7, v105
	v_and_b32_e32 v20, 0x80000000, v20
	v_lshl_add_u32 v87, v87, 23, 0x3b800000
	v_cndmask_b32_e32 v86, v86, v105, vcc_lo
	v_lshlrev_b32_e32 v86, 20, v86
	v_or3_b32 v86, v20, v87, v86
.LBB6_14109:                            ;   in Loop: Header=BB6_14082 Depth=3
	s_or_b32 exec_lo, exec_lo, s16
	v_max_f32_e32 v20, v86, v86
	v_max_f32_e32 v86, v60, v60
	v_min_f32_e32 v123, v86, v20
.LBB6_14110:                            ;   in Loop: Header=BB6_14082 Depth=3
	s_waitcnt vmcnt(31) lgkmcnt(31)
	v_and_b32_e32 v20, 0x7f800000, v123
	v_cmp_ne_u32_e32 vcc_lo, 0x7f800000, v20
	v_mov_b32_e32 v20, 0x80
	s_and_saveexec_b32 s23, vcc_lo
	s_cbranch_execz .LBB6_14118
; %bb.14111:                            ;   in Loop: Header=BB6_14082 Depth=3
	v_mov_b32_e32 v20, 0
	s_mov_b32 s73, exec_lo
	v_cmpx_ne_u32_e32 0, v123
	s_cbranch_execz .LBB6_14117
; %bb.14112:                            ;   in Loop: Header=BB6_14082 Depth=3
	v_bfe_u32 v86, v123, 23, 8
	v_and_b32_e32 v20, 0x7fffff, v123
                                        ; implicit-def: $vgpr105
	v_cmp_gt_u32_e64 s16, 0x79, v86
	v_sub_nc_u32_e32 v87, 0x78, v86
	v_cmp_eq_u32_e32 vcc_lo, 0, v86
	v_or_b32_e32 v46, 0x800000, v20
	v_cndmask_b32_e64 v87, 0, v87, s16
	v_cndmask_b32_e32 v20, v46, v20, vcc_lo
	v_cndmask_b32_e64 v87, v87, 0x77, vcc_lo
	v_lshl_add_u32 v46, 0x100000, v87, -1
	v_lshlrev_b32_e64 v60, v87, 0x80000
	v_and_b32_e32 v46, v46, v20
	v_cmp_eq_u32_e64 s16, v46, v60
	v_lshrrev_b32_e32 v60, v87, v20
	v_add_nc_u32_e32 v20, 0xffffff89, v86
	v_lshrrev_b32_e32 v86, 23, v60
	v_cndmask_b32_e64 v20, v20, 0xffffff8a, vcc_lo
	v_xor_b32_e32 v46, 1, v86
	v_bfe_u32 v86, v60, 20, 1
	v_add_nc_u32_e32 v20, v87, v20
	v_add_nc_u32_e32 v86, -1, v86
	v_cndmask_b32_e64 v86, 0, v86, s16
	s_mov_b32 s16, exec_lo
	v_add_nc_u32_e32 v86, v86, v60
	v_and_b32_e32 v86, 0xfffff, v86
	v_add_nc_u32_e32 v60, v86, v60
	v_cmpx_ne_u32_e64 v20, v46
	s_xor_b32 s16, exec_lo, s16
; %bb.14113:                            ;   in Loop: Header=BB6_14082 Depth=3
	v_cmp_lt_u32_e32 vcc_lo, 0xffffff, v60
	v_sub_nc_u32_e32 v20, v20, v46
	v_cndmask_b32_e64 v86, 0, 1, vcc_lo
	v_add_co_ci_u32_e64 v105, null, 0, v20, vcc_lo
	v_lshrrev_b32_e32 v60, v86, v60
; %bb.14114:                            ;   in Loop: Header=BB6_14082 Depth=3
	s_andn2_saveexec_b32 s16, s16
; %bb.14115:                            ;   in Loop: Header=BB6_14082 Depth=3
	v_bfe_u32 v105, v60, 23, 1
; %bb.14116:                            ;   in Loop: Header=BB6_14082 Depth=3
	s_or_b32 exec_lo, exec_lo, s16
	v_lshrrev_b32_e32 v86, 20, v60
	v_cmp_gt_i32_e32 vcc_lo, 16, v105
	v_min_i32_e32 v87, 15, v105
	v_and_b32_sdwa v20, v123, v62 dst_sel:DWORD dst_unused:UNUSED_PAD src0_sel:BYTE_3 src1_sel:DWORD
	v_cndmask_b32_e32 v86, 7, v86, vcc_lo
	v_lshlrev_b32_e32 v87, 3, v87
	v_or_b32_e32 v46, v105, v86
	v_and_b32_e32 v86, 7, v86
	v_cmp_ne_u32_e32 vcc_lo, 0, v46
	v_or3_b32 v20, v87, v20, v86
	v_cndmask_b32_e32 v20, 0, v20, vcc_lo
.LBB6_14117:                            ;   in Loop: Header=BB6_14082 Depth=3
	s_or_b32 exec_lo, exec_lo, s73
.LBB6_14118:                            ;   in Loop: Header=BB6_14082 Depth=3
	s_or_b32 exec_lo, exec_lo, s23
	s_mov_b32 s16, -1
	s_andn2_b32 vcc_lo, exec_lo, s19
                                        ; implicit-def: $vgpr46
	s_cbranch_vccnz .LBB6_14132
; %bb.14119:                            ;   in Loop: Header=BB6_14082 Depth=3
	v_cmp_gt_i16_sdwa s23, v74, v61 src0_sel:BYTE_0 src1_sel:DWORD
	s_mov_b32 s16, 0
	s_and_saveexec_b32 s73, s23
	s_xor_b32 s23, exec_lo, s73
	s_cbranch_execz .LBB6_15240
; %bb.14120:                            ;   in Loop: Header=BB6_14082 Depth=3
	v_cmp_eq_u16_sdwa s74, v74, v62 src0_sel:BYTE_0 src1_sel:DWORD
	s_mov_b32 s16, -1
	s_and_saveexec_b32 s73, s74
; %bb.14121:                            ;   in Loop: Header=BB6_14082 Depth=3
	s_xor_b32 s16, exec_lo, -1
; %bb.14122:                            ;   in Loop: Header=BB6_14082 Depth=3
	s_or_b32 exec_lo, exec_lo, s73
	s_and_b32 s16, s16, exec_lo
	s_or_saveexec_b32 s23, s23
	v_mov_b32_e32 v46, 0x7f800001
	s_xor_b32 exec_lo, exec_lo, s23
	s_cbranch_execnz .LBB6_15241
.LBB6_14123:                            ;   in Loop: Header=BB6_14082 Depth=3
	s_or_b32 exec_lo, exec_lo, s23
	s_and_saveexec_b32 s23, s16
	s_cbranch_execz .LBB6_14125
.LBB6_14124:                            ;   in Loop: Header=BB6_14082 Depth=3
	v_and_b32_e32 v86, 7, v74
	v_lshrrev_b16 v46, 3, v74
	v_lshlrev_b32_e32 v105, 24, v74
	v_ffbh_u32_e32 v87, v86
	v_and_b32_e32 v46, 15, v46
	v_min_u32_e32 v87, 32, v87
	v_cmp_eq_u32_e32 vcc_lo, 0, v46
	v_subrev_nc_u32_e32 v60, 28, v87
	v_sub_nc_u32_e32 v87, 29, v87
	v_lshlrev_b32_e32 v60, v60, v74
	v_cndmask_b32_e32 v87, v46, v87, vcc_lo
	v_and_b32_e32 v46, 0x80000000, v105
	v_and_b32_e32 v60, 7, v60
	v_lshl_add_u32 v87, v87, 23, 0x3b800000
	v_cndmask_b32_e32 v86, v86, v60, vcc_lo
	v_lshlrev_b32_e32 v86, 20, v86
	v_or3_b32 v46, v46, v87, v86
.LBB6_14125:                            ;   in Loop: Header=BB6_14082 Depth=3
	s_or_b32 exec_lo, exec_lo, s23
	s_waitcnt vmcnt(30) lgkmcnt(30)
	v_cmp_gt_i16_sdwa s23, v25, v61 src0_sel:BYTE_0 src1_sel:DWORD
	s_mov_b32 s16, 0
	s_and_saveexec_b32 s73, s23
	s_xor_b32 s23, exec_lo, s73
	s_cbranch_execz .LBB6_15242
; %bb.14126:                            ;   in Loop: Header=BB6_14082 Depth=3
	v_cmp_eq_u16_sdwa s74, v25, v62 src0_sel:BYTE_0 src1_sel:DWORD
	s_mov_b32 s16, -1
	s_and_saveexec_b32 s73, s74
; %bb.14127:                            ;   in Loop: Header=BB6_14082 Depth=3
	s_xor_b32 s16, exec_lo, -1
; %bb.14128:                            ;   in Loop: Header=BB6_14082 Depth=3
	s_or_b32 exec_lo, exec_lo, s73
	s_and_b32 s16, s16, exec_lo
	s_or_saveexec_b32 s23, s23
	v_mov_b32_e32 v86, 0x7f800001
	s_xor_b32 exec_lo, exec_lo, s23
	s_cbranch_execnz .LBB6_15243
.LBB6_14129:                            ;   in Loop: Header=BB6_14082 Depth=3
	s_or_b32 exec_lo, exec_lo, s23
	s_and_saveexec_b32 s23, s16
	s_cbranch_execz .LBB6_14131
.LBB6_14130:                            ;   in Loop: Header=BB6_14082 Depth=3
	v_and_b32_e32 v86, 7, v25
	v_lshrrev_b16 v60, 3, v25
	v_lshlrev_b32_e32 v106, 24, v25
	v_ffbh_u32_e32 v87, v86
	v_and_b32_e32 v60, 15, v60
	v_min_u32_e32 v87, 32, v87
	v_cmp_eq_u32_e32 vcc_lo, 0, v60
	v_subrev_nc_u32_e32 v105, 28, v87
	v_sub_nc_u32_e32 v87, 29, v87
	v_lshlrev_b32_e32 v105, v105, v25
	v_cndmask_b32_e32 v87, v60, v87, vcc_lo
	v_and_b32_e32 v60, 0x80000000, v106
	v_and_b32_e32 v105, 7, v105
	v_lshl_add_u32 v87, v87, 23, 0x3b800000
	v_cndmask_b32_e32 v86, v86, v105, vcc_lo
	v_lshlrev_b32_e32 v86, 20, v86
	v_or3_b32 v86, v60, v87, v86
.LBB6_14131:                            ;   in Loop: Header=BB6_14082 Depth=3
	s_or_b32 exec_lo, exec_lo, s23
	v_max_f32_e32 v86, v86, v86
	v_max_f32_e32 v87, v46, v46
	;; [unrolled: 1-line block ×3, first 2 shown]
	s_branch .LBB6_14146
.LBB6_14132:                            ;   in Loop: Header=BB6_14082 Depth=3
	s_and_b32 vcc_lo, exec_lo, s16
	s_cbranch_vccz .LBB6_14146
; %bb.14133:                            ;   in Loop: Header=BB6_14082 Depth=3
	v_cmp_gt_i16_sdwa s23, v74, v61 src0_sel:BYTE_0 src1_sel:DWORD
	s_mov_b32 s16, 0
	s_and_saveexec_b32 s73, s23
	s_xor_b32 s23, exec_lo, s73
	s_cbranch_execz .LBB6_15244
; %bb.14134:                            ;   in Loop: Header=BB6_14082 Depth=3
	v_cmp_eq_u16_sdwa s74, v74, v62 src0_sel:BYTE_0 src1_sel:DWORD
	s_mov_b32 s16, -1
	s_and_saveexec_b32 s73, s74
; %bb.14135:                            ;   in Loop: Header=BB6_14082 Depth=3
	s_xor_b32 s16, exec_lo, -1
; %bb.14136:                            ;   in Loop: Header=BB6_14082 Depth=3
	s_or_b32 exec_lo, exec_lo, s73
	s_and_b32 s16, s16, exec_lo
	s_or_saveexec_b32 s23, s23
	v_mov_b32_e32 v46, 0x7f800001
	s_xor_b32 exec_lo, exec_lo, s23
	s_cbranch_execnz .LBB6_15245
.LBB6_14137:                            ;   in Loop: Header=BB6_14082 Depth=3
	s_or_b32 exec_lo, exec_lo, s23
	s_and_saveexec_b32 s23, s16
	s_cbranch_execz .LBB6_14139
.LBB6_14138:                            ;   in Loop: Header=BB6_14082 Depth=3
	v_and_b32_e32 v86, 7, v74
	v_lshrrev_b16 v46, 3, v74
	v_ffbh_u32_e32 v87, v86
	v_and_b32_e32 v46, 15, v46
	v_min_u32_e32 v87, 32, v87
	v_cmp_eq_u32_e32 vcc_lo, 0, v46
	v_subrev_nc_u32_e32 v60, 28, v87
	v_sub_nc_u32_e32 v87, 29, v87
	v_lshlrev_b32_e32 v60, v60, v74
	v_lshlrev_b32_e32 v74, 24, v74
	v_cndmask_b32_e32 v87, v46, v87, vcc_lo
	v_and_b32_e32 v60, 7, v60
	v_and_b32_e32 v46, 0x80000000, v74
	v_lshl_add_u32 v87, v87, 23, 0x3b800000
	v_cndmask_b32_e32 v86, v86, v60, vcc_lo
	v_lshlrev_b32_e32 v86, 20, v86
	v_or3_b32 v46, v46, v87, v86
.LBB6_14139:                            ;   in Loop: Header=BB6_14082 Depth=3
	s_or_b32 exec_lo, exec_lo, s23
	s_waitcnt vmcnt(30) lgkmcnt(30)
	v_cmp_gt_i16_sdwa s23, v25, v61 src0_sel:BYTE_0 src1_sel:DWORD
	s_mov_b32 s16, 0
	s_and_saveexec_b32 s73, s23
	s_xor_b32 s23, exec_lo, s73
	s_cbranch_execz .LBB6_15246
; %bb.14140:                            ;   in Loop: Header=BB6_14082 Depth=3
	v_cmp_eq_u16_sdwa s74, v25, v62 src0_sel:BYTE_0 src1_sel:DWORD
	s_mov_b32 s16, -1
	s_and_saveexec_b32 s73, s74
; %bb.14141:                            ;   in Loop: Header=BB6_14082 Depth=3
	s_xor_b32 s16, exec_lo, -1
; %bb.14142:                            ;   in Loop: Header=BB6_14082 Depth=3
	s_or_b32 exec_lo, exec_lo, s73
	s_and_b32 s16, s16, exec_lo
	s_or_saveexec_b32 s23, s23
	v_mov_b32_e32 v86, 0x7f800001
	s_xor_b32 exec_lo, exec_lo, s23
	s_cbranch_execnz .LBB6_15247
.LBB6_14143:                            ;   in Loop: Header=BB6_14082 Depth=3
	s_or_b32 exec_lo, exec_lo, s23
	s_and_saveexec_b32 s23, s16
	s_cbranch_execz .LBB6_14145
.LBB6_14144:                            ;   in Loop: Header=BB6_14082 Depth=3
	v_and_b32_e32 v86, 7, v25
	v_lshrrev_b16 v60, 3, v25
	v_ffbh_u32_e32 v87, v86
	v_and_b32_e32 v60, 15, v60
	v_min_u32_e32 v87, 32, v87
	v_cmp_eq_u32_e32 vcc_lo, 0, v60
	v_subrev_nc_u32_e32 v74, 28, v87
	v_sub_nc_u32_e32 v87, 29, v87
	v_lshlrev_b32_e32 v74, v74, v25
	v_lshlrev_b32_e32 v25, 24, v25
	v_cndmask_b32_e32 v87, v60, v87, vcc_lo
	v_and_b32_e32 v74, 7, v74
	v_and_b32_e32 v25, 0x80000000, v25
	v_lshl_add_u32 v87, v87, 23, 0x3b800000
	v_cndmask_b32_e32 v86, v86, v74, vcc_lo
	v_lshlrev_b32_e32 v86, 20, v86
	v_or3_b32 v86, v25, v87, v86
.LBB6_14145:                            ;   in Loop: Header=BB6_14082 Depth=3
	s_or_b32 exec_lo, exec_lo, s23
	v_max_f32_e32 v25, v86, v86
	v_max_f32_e32 v86, v46, v46
	v_min_f32_e32 v46, v86, v25
.LBB6_14146:                            ;   in Loop: Header=BB6_14082 Depth=3
	s_waitcnt vmcnt(30) lgkmcnt(30)
	v_and_b32_e32 v25, 0x7f800000, v46
	v_cmp_ne_u32_e32 vcc_lo, 0x7f800000, v25
	v_mov_b32_e32 v25, 0x80
	s_and_saveexec_b32 s23, vcc_lo
	s_cbranch_execz .LBB6_14154
; %bb.14147:                            ;   in Loop: Header=BB6_14082 Depth=3
	v_mov_b32_e32 v25, 0
	s_mov_b32 s73, exec_lo
	v_cmpx_ne_u32_e32 0, v46
	s_cbranch_execz .LBB6_14153
; %bb.14148:                            ;   in Loop: Header=BB6_14082 Depth=3
	v_bfe_u32 v86, v46, 23, 8
	v_and_b32_e32 v25, 0x7fffff, v46
                                        ; implicit-def: $vgpr105
	v_cmp_gt_u32_e64 s16, 0x79, v86
	v_sub_nc_u32_e32 v87, 0x78, v86
	v_cmp_eq_u32_e32 vcc_lo, 0, v86
	v_or_b32_e32 v60, 0x800000, v25
	v_cndmask_b32_e64 v87, 0, v87, s16
	v_cndmask_b32_e32 v25, v60, v25, vcc_lo
	v_cndmask_b32_e64 v87, v87, 0x77, vcc_lo
	v_lshl_add_u32 v60, 0x100000, v87, -1
	v_lshlrev_b32_e64 v74, v87, 0x80000
	v_and_b32_e32 v60, v60, v25
	v_cmp_eq_u32_e64 s16, v60, v74
	v_lshrrev_b32_e32 v74, v87, v25
	v_add_nc_u32_e32 v25, 0xffffff89, v86
	v_lshrrev_b32_e32 v86, 23, v74
	v_cndmask_b32_e64 v25, v25, 0xffffff8a, vcc_lo
	v_xor_b32_e32 v60, 1, v86
	v_bfe_u32 v86, v74, 20, 1
	v_add_nc_u32_e32 v25, v87, v25
	v_add_nc_u32_e32 v86, -1, v86
	v_cndmask_b32_e64 v86, 0, v86, s16
	s_mov_b32 s16, exec_lo
	v_add_nc_u32_e32 v86, v86, v74
	v_and_b32_e32 v86, 0xfffff, v86
	v_add_nc_u32_e32 v74, v86, v74
	v_cmpx_ne_u32_e64 v25, v60
	s_xor_b32 s16, exec_lo, s16
; %bb.14149:                            ;   in Loop: Header=BB6_14082 Depth=3
	v_cmp_lt_u32_e32 vcc_lo, 0xffffff, v74
	v_sub_nc_u32_e32 v25, v25, v60
	v_cndmask_b32_e64 v86, 0, 1, vcc_lo
	v_add_co_ci_u32_e64 v105, null, 0, v25, vcc_lo
	v_lshrrev_b32_e32 v74, v86, v74
; %bb.14150:                            ;   in Loop: Header=BB6_14082 Depth=3
	s_andn2_saveexec_b32 s16, s16
; %bb.14151:                            ;   in Loop: Header=BB6_14082 Depth=3
	v_bfe_u32 v105, v74, 23, 1
; %bb.14152:                            ;   in Loop: Header=BB6_14082 Depth=3
	s_or_b32 exec_lo, exec_lo, s16
	v_lshrrev_b32_e32 v86, 20, v74
	v_cmp_gt_i32_e32 vcc_lo, 16, v105
	v_min_i32_e32 v87, 15, v105
	v_and_b32_sdwa v25, v46, v62 dst_sel:DWORD dst_unused:UNUSED_PAD src0_sel:BYTE_3 src1_sel:DWORD
	v_cndmask_b32_e32 v86, 7, v86, vcc_lo
	v_lshlrev_b32_e32 v87, 3, v87
	v_or_b32_e32 v46, v105, v86
	v_and_b32_e32 v86, 7, v86
	v_cmp_ne_u32_e32 vcc_lo, 0, v46
	v_or3_b32 v25, v87, v25, v86
	v_cndmask_b32_e32 v25, 0, v25, vcc_lo
.LBB6_14153:                            ;   in Loop: Header=BB6_14082 Depth=3
	s_or_b32 exec_lo, exec_lo, s73
.LBB6_14154:                            ;   in Loop: Header=BB6_14082 Depth=3
	s_or_b32 exec_lo, exec_lo, s23
	s_mov_b32 s16, -1
	s_andn2_b32 vcc_lo, exec_lo, s19
                                        ; implicit-def: $vgpr46
	s_cbranch_vccnz .LBB6_14168
; %bb.14155:                            ;   in Loop: Header=BB6_14082 Depth=3
	v_cmp_gt_i16_sdwa s23, v122, v61 src0_sel:BYTE_0 src1_sel:DWORD
	s_mov_b32 s16, 0
	s_and_saveexec_b32 s73, s23
	s_xor_b32 s23, exec_lo, s73
	s_cbranch_execz .LBB6_15248
; %bb.14156:                            ;   in Loop: Header=BB6_14082 Depth=3
	v_cmp_eq_u16_sdwa s74, v122, v62 src0_sel:BYTE_0 src1_sel:DWORD
	s_mov_b32 s16, -1
	s_and_saveexec_b32 s73, s74
; %bb.14157:                            ;   in Loop: Header=BB6_14082 Depth=3
	s_xor_b32 s16, exec_lo, -1
; %bb.14158:                            ;   in Loop: Header=BB6_14082 Depth=3
	s_or_b32 exec_lo, exec_lo, s73
	s_and_b32 s16, s16, exec_lo
	s_or_saveexec_b32 s23, s23
	v_mov_b32_e32 v46, 0x7f800001
	s_xor_b32 exec_lo, exec_lo, s23
	s_cbranch_execnz .LBB6_15249
.LBB6_14159:                            ;   in Loop: Header=BB6_14082 Depth=3
	s_or_b32 exec_lo, exec_lo, s23
	s_and_saveexec_b32 s23, s16
	s_cbranch_execz .LBB6_14161
.LBB6_14160:                            ;   in Loop: Header=BB6_14082 Depth=3
	v_and_b32_e32 v86, 7, v122
	v_lshrrev_b16 v46, 3, v122
	v_lshlrev_b32_e32 v74, 24, v122
	v_ffbh_u32_e32 v87, v86
	v_and_b32_e32 v46, 15, v46
	v_min_u32_e32 v87, 32, v87
	v_cmp_eq_u32_e32 vcc_lo, 0, v46
	v_subrev_nc_u32_e32 v60, 28, v87
	v_sub_nc_u32_e32 v87, 29, v87
	v_lshlrev_b32_e32 v60, v60, v122
	v_cndmask_b32_e32 v87, v46, v87, vcc_lo
	v_and_b32_e32 v46, 0x80000000, v74
	v_and_b32_e32 v60, 7, v60
	v_lshl_add_u32 v87, v87, 23, 0x3b800000
	v_cndmask_b32_e32 v86, v86, v60, vcc_lo
	v_lshlrev_b32_e32 v86, 20, v86
	v_or3_b32 v46, v46, v87, v86
.LBB6_14161:                            ;   in Loop: Header=BB6_14082 Depth=3
	s_or_b32 exec_lo, exec_lo, s23
	s_waitcnt vmcnt(29) lgkmcnt(29)
	v_cmp_gt_i16_sdwa s23, v28, v61 src0_sel:BYTE_0 src1_sel:DWORD
	s_mov_b32 s16, 0
	s_and_saveexec_b32 s73, s23
	s_xor_b32 s23, exec_lo, s73
	s_cbranch_execz .LBB6_15250
; %bb.14162:                            ;   in Loop: Header=BB6_14082 Depth=3
	v_cmp_eq_u16_sdwa s74, v28, v62 src0_sel:BYTE_0 src1_sel:DWORD
	s_mov_b32 s16, -1
	s_and_saveexec_b32 s73, s74
; %bb.14163:                            ;   in Loop: Header=BB6_14082 Depth=3
	s_xor_b32 s16, exec_lo, -1
; %bb.14164:                            ;   in Loop: Header=BB6_14082 Depth=3
	s_or_b32 exec_lo, exec_lo, s73
	s_and_b32 s16, s16, exec_lo
	s_or_saveexec_b32 s23, s23
	v_mov_b32_e32 v86, 0x7f800001
	s_xor_b32 exec_lo, exec_lo, s23
	s_cbranch_execnz .LBB6_15251
.LBB6_14165:                            ;   in Loop: Header=BB6_14082 Depth=3
	s_or_b32 exec_lo, exec_lo, s23
	s_and_saveexec_b32 s23, s16
	s_cbranch_execz .LBB6_14167
.LBB6_14166:                            ;   in Loop: Header=BB6_14082 Depth=3
	v_and_b32_e32 v86, 7, v28
	v_lshrrev_b16 v60, 3, v28
	v_lshlrev_b32_e32 v105, 24, v28
	v_ffbh_u32_e32 v87, v86
	v_and_b32_e32 v60, 15, v60
	v_min_u32_e32 v87, 32, v87
	v_cmp_eq_u32_e32 vcc_lo, 0, v60
	v_subrev_nc_u32_e32 v74, 28, v87
	v_sub_nc_u32_e32 v87, 29, v87
	v_lshlrev_b32_e32 v74, v74, v28
	v_cndmask_b32_e32 v87, v60, v87, vcc_lo
	v_and_b32_e32 v60, 0x80000000, v105
	v_and_b32_e32 v74, 7, v74
	v_lshl_add_u32 v87, v87, 23, 0x3b800000
	v_cndmask_b32_e32 v86, v86, v74, vcc_lo
	v_lshlrev_b32_e32 v86, 20, v86
	v_or3_b32 v86, v60, v87, v86
.LBB6_14167:                            ;   in Loop: Header=BB6_14082 Depth=3
	s_or_b32 exec_lo, exec_lo, s23
	v_max_f32_e32 v86, v86, v86
	v_max_f32_e32 v87, v46, v46
	;; [unrolled: 1-line block ×3, first 2 shown]
	s_branch .LBB6_14182
.LBB6_14168:                            ;   in Loop: Header=BB6_14082 Depth=3
	s_and_b32 vcc_lo, exec_lo, s16
	s_cbranch_vccz .LBB6_14182
; %bb.14169:                            ;   in Loop: Header=BB6_14082 Depth=3
	v_cmp_gt_i16_sdwa s23, v122, v61 src0_sel:BYTE_0 src1_sel:DWORD
	s_mov_b32 s16, 0
	s_and_saveexec_b32 s73, s23
	s_xor_b32 s23, exec_lo, s73
	s_cbranch_execz .LBB6_15252
; %bb.14170:                            ;   in Loop: Header=BB6_14082 Depth=3
	v_cmp_eq_u16_sdwa s74, v122, v62 src0_sel:BYTE_0 src1_sel:DWORD
	s_mov_b32 s16, -1
	s_and_saveexec_b32 s73, s74
; %bb.14171:                            ;   in Loop: Header=BB6_14082 Depth=3
	s_xor_b32 s16, exec_lo, -1
; %bb.14172:                            ;   in Loop: Header=BB6_14082 Depth=3
	s_or_b32 exec_lo, exec_lo, s73
	s_and_b32 s16, s16, exec_lo
	s_or_saveexec_b32 s23, s23
	v_mov_b32_e32 v46, 0x7f800001
	s_xor_b32 exec_lo, exec_lo, s23
	s_cbranch_execnz .LBB6_15253
.LBB6_14173:                            ;   in Loop: Header=BB6_14082 Depth=3
	s_or_b32 exec_lo, exec_lo, s23
	s_and_saveexec_b32 s23, s16
	s_cbranch_execz .LBB6_14175
.LBB6_14174:                            ;   in Loop: Header=BB6_14082 Depth=3
	v_and_b32_e32 v86, 7, v122
	v_lshrrev_b16 v46, 3, v122
	v_lshlrev_b32_e32 v74, 24, v122
	v_ffbh_u32_e32 v87, v86
	v_and_b32_e32 v46, 15, v46
	v_min_u32_e32 v87, 32, v87
	v_cmp_eq_u32_e32 vcc_lo, 0, v46
	v_subrev_nc_u32_e32 v60, 28, v87
	v_sub_nc_u32_e32 v87, 29, v87
	v_lshlrev_b32_e32 v60, v60, v122
	v_cndmask_b32_e32 v87, v46, v87, vcc_lo
	v_and_b32_e32 v46, 0x80000000, v74
	v_and_b32_e32 v60, 7, v60
	v_lshl_add_u32 v87, v87, 23, 0x3b800000
	v_cndmask_b32_e32 v86, v86, v60, vcc_lo
	v_lshlrev_b32_e32 v86, 20, v86
	v_or3_b32 v46, v46, v87, v86
.LBB6_14175:                            ;   in Loop: Header=BB6_14082 Depth=3
	s_or_b32 exec_lo, exec_lo, s23
	s_waitcnt vmcnt(29) lgkmcnt(29)
	v_cmp_gt_i16_sdwa s23, v28, v61 src0_sel:BYTE_0 src1_sel:DWORD
	s_mov_b32 s16, 0
	s_and_saveexec_b32 s73, s23
	s_xor_b32 s23, exec_lo, s73
	s_cbranch_execz .LBB6_15254
; %bb.14176:                            ;   in Loop: Header=BB6_14082 Depth=3
	v_cmp_eq_u16_sdwa s74, v28, v62 src0_sel:BYTE_0 src1_sel:DWORD
	s_mov_b32 s16, -1
	s_and_saveexec_b32 s73, s74
; %bb.14177:                            ;   in Loop: Header=BB6_14082 Depth=3
	s_xor_b32 s16, exec_lo, -1
; %bb.14178:                            ;   in Loop: Header=BB6_14082 Depth=3
	s_or_b32 exec_lo, exec_lo, s73
	s_and_b32 s16, s16, exec_lo
	s_or_saveexec_b32 s23, s23
	v_mov_b32_e32 v86, 0x7f800001
	s_xor_b32 exec_lo, exec_lo, s23
	s_cbranch_execnz .LBB6_15255
.LBB6_14179:                            ;   in Loop: Header=BB6_14082 Depth=3
	s_or_b32 exec_lo, exec_lo, s23
	s_and_saveexec_b32 s23, s16
	s_cbranch_execz .LBB6_14181
.LBB6_14180:                            ;   in Loop: Header=BB6_14082 Depth=3
	v_and_b32_e32 v86, 7, v28
	v_lshrrev_b16 v60, 3, v28
	v_ffbh_u32_e32 v87, v86
	v_and_b32_e32 v60, 15, v60
	v_min_u32_e32 v87, 32, v87
	v_cmp_eq_u32_e32 vcc_lo, 0, v60
	v_subrev_nc_u32_e32 v74, 28, v87
	v_sub_nc_u32_e32 v87, 29, v87
	v_lshlrev_b32_e32 v74, v74, v28
	v_lshlrev_b32_e32 v28, 24, v28
	v_cndmask_b32_e32 v87, v60, v87, vcc_lo
	v_and_b32_e32 v74, 7, v74
	v_and_b32_e32 v28, 0x80000000, v28
	v_lshl_add_u32 v87, v87, 23, 0x3b800000
	v_cndmask_b32_e32 v86, v86, v74, vcc_lo
	v_lshlrev_b32_e32 v86, 20, v86
	v_or3_b32 v86, v28, v87, v86
.LBB6_14181:                            ;   in Loop: Header=BB6_14082 Depth=3
	s_or_b32 exec_lo, exec_lo, s23
	v_max_f32_e32 v28, v86, v86
	v_max_f32_e32 v86, v46, v46
	v_min_f32_e32 v46, v86, v28
.LBB6_14182:                            ;   in Loop: Header=BB6_14082 Depth=3
	s_waitcnt vmcnt(29) lgkmcnt(29)
	v_and_b32_e32 v28, 0x7f800000, v46
	v_cmp_ne_u32_e32 vcc_lo, 0x7f800000, v28
	v_mov_b32_e32 v28, 0x80
	s_and_saveexec_b32 s23, vcc_lo
	s_cbranch_execz .LBB6_14190
; %bb.14183:                            ;   in Loop: Header=BB6_14082 Depth=3
	v_mov_b32_e32 v28, 0
	s_mov_b32 s73, exec_lo
	v_cmpx_ne_u32_e32 0, v46
	s_cbranch_execz .LBB6_14189
; %bb.14184:                            ;   in Loop: Header=BB6_14082 Depth=3
	v_bfe_u32 v86, v46, 23, 8
	v_and_b32_e32 v28, 0x7fffff, v46
                                        ; implicit-def: $vgpr105
	v_cmp_gt_u32_e64 s16, 0x79, v86
	v_sub_nc_u32_e32 v87, 0x78, v86
	v_cmp_eq_u32_e32 vcc_lo, 0, v86
	v_or_b32_e32 v60, 0x800000, v28
	v_cndmask_b32_e64 v87, 0, v87, s16
	v_cndmask_b32_e32 v28, v60, v28, vcc_lo
	v_cndmask_b32_e64 v87, v87, 0x77, vcc_lo
	v_lshl_add_u32 v60, 0x100000, v87, -1
	v_lshlrev_b32_e64 v74, v87, 0x80000
	v_and_b32_e32 v60, v60, v28
	v_cmp_eq_u32_e64 s16, v60, v74
	v_lshrrev_b32_e32 v74, v87, v28
	v_add_nc_u32_e32 v28, 0xffffff89, v86
	v_lshrrev_b32_e32 v86, 23, v74
	v_cndmask_b32_e64 v28, v28, 0xffffff8a, vcc_lo
	v_xor_b32_e32 v60, 1, v86
	v_bfe_u32 v86, v74, 20, 1
	v_add_nc_u32_e32 v28, v87, v28
	v_add_nc_u32_e32 v86, -1, v86
	v_cndmask_b32_e64 v86, 0, v86, s16
	s_mov_b32 s16, exec_lo
	v_add_nc_u32_e32 v86, v86, v74
	v_and_b32_e32 v86, 0xfffff, v86
	v_add_nc_u32_e32 v74, v86, v74
	v_cmpx_ne_u32_e64 v28, v60
	s_xor_b32 s16, exec_lo, s16
; %bb.14185:                            ;   in Loop: Header=BB6_14082 Depth=3
	v_cmp_lt_u32_e32 vcc_lo, 0xffffff, v74
	v_sub_nc_u32_e32 v28, v28, v60
	v_cndmask_b32_e64 v86, 0, 1, vcc_lo
	v_add_co_ci_u32_e64 v105, null, 0, v28, vcc_lo
	v_lshrrev_b32_e32 v74, v86, v74
; %bb.14186:                            ;   in Loop: Header=BB6_14082 Depth=3
	s_andn2_saveexec_b32 s16, s16
; %bb.14187:                            ;   in Loop: Header=BB6_14082 Depth=3
	v_bfe_u32 v105, v74, 23, 1
; %bb.14188:                            ;   in Loop: Header=BB6_14082 Depth=3
	s_or_b32 exec_lo, exec_lo, s16
	v_lshrrev_b32_e32 v86, 20, v74
	v_cmp_gt_i32_e32 vcc_lo, 16, v105
	v_min_i32_e32 v87, 15, v105
	v_and_b32_sdwa v28, v46, v62 dst_sel:DWORD dst_unused:UNUSED_PAD src0_sel:BYTE_3 src1_sel:DWORD
	v_cndmask_b32_e32 v86, 7, v86, vcc_lo
	v_lshlrev_b32_e32 v87, 3, v87
	v_or_b32_e32 v46, v105, v86
	v_and_b32_e32 v86, 7, v86
	v_cmp_ne_u32_e32 vcc_lo, 0, v46
	v_or3_b32 v28, v87, v28, v86
	v_cndmask_b32_e32 v28, 0, v28, vcc_lo
.LBB6_14189:                            ;   in Loop: Header=BB6_14082 Depth=3
	s_or_b32 exec_lo, exec_lo, s73
.LBB6_14190:                            ;   in Loop: Header=BB6_14082 Depth=3
	s_or_b32 exec_lo, exec_lo, s23
	s_mov_b32 s16, -1
	s_andn2_b32 vcc_lo, exec_lo, s19
                                        ; implicit-def: $vgpr46
	s_cbranch_vccnz .LBB6_14204
; %bb.14191:                            ;   in Loop: Header=BB6_14082 Depth=3
	v_cmp_gt_i16_sdwa s23, v121, v61 src0_sel:BYTE_0 src1_sel:DWORD
	s_mov_b32 s16, 0
	s_and_saveexec_b32 s73, s23
	s_xor_b32 s23, exec_lo, s73
	s_cbranch_execz .LBB6_15256
; %bb.14192:                            ;   in Loop: Header=BB6_14082 Depth=3
	v_cmp_eq_u16_sdwa s74, v121, v62 src0_sel:BYTE_0 src1_sel:DWORD
	s_mov_b32 s16, -1
	s_and_saveexec_b32 s73, s74
; %bb.14193:                            ;   in Loop: Header=BB6_14082 Depth=3
	s_xor_b32 s16, exec_lo, -1
; %bb.14194:                            ;   in Loop: Header=BB6_14082 Depth=3
	s_or_b32 exec_lo, exec_lo, s73
	s_and_b32 s16, s16, exec_lo
	s_or_saveexec_b32 s23, s23
	v_mov_b32_e32 v46, 0x7f800001
	s_xor_b32 exec_lo, exec_lo, s23
	s_cbranch_execnz .LBB6_15257
.LBB6_14195:                            ;   in Loop: Header=BB6_14082 Depth=3
	s_or_b32 exec_lo, exec_lo, s23
	s_and_saveexec_b32 s23, s16
	s_cbranch_execz .LBB6_14197
.LBB6_14196:                            ;   in Loop: Header=BB6_14082 Depth=3
	v_and_b32_e32 v86, 7, v121
	v_lshrrev_b16 v46, 3, v121
	v_lshlrev_b32_e32 v74, 24, v121
	v_ffbh_u32_e32 v87, v86
	v_and_b32_e32 v46, 15, v46
	v_min_u32_e32 v87, 32, v87
	v_cmp_eq_u32_e32 vcc_lo, 0, v46
	v_subrev_nc_u32_e32 v60, 28, v87
	v_sub_nc_u32_e32 v87, 29, v87
	v_lshlrev_b32_e32 v60, v60, v121
	v_cndmask_b32_e32 v87, v46, v87, vcc_lo
	v_and_b32_e32 v46, 0x80000000, v74
	v_and_b32_e32 v60, 7, v60
	v_lshl_add_u32 v87, v87, 23, 0x3b800000
	v_cndmask_b32_e32 v86, v86, v60, vcc_lo
	v_lshlrev_b32_e32 v86, 20, v86
	v_or3_b32 v46, v46, v87, v86
.LBB6_14197:                            ;   in Loop: Header=BB6_14082 Depth=3
	s_or_b32 exec_lo, exec_lo, s23
	s_waitcnt vmcnt(28) lgkmcnt(28)
	v_cmp_gt_i16_sdwa s23, v32, v61 src0_sel:BYTE_0 src1_sel:DWORD
	s_mov_b32 s16, 0
	s_and_saveexec_b32 s73, s23
	s_xor_b32 s23, exec_lo, s73
	s_cbranch_execz .LBB6_15258
; %bb.14198:                            ;   in Loop: Header=BB6_14082 Depth=3
	v_cmp_eq_u16_sdwa s74, v32, v62 src0_sel:BYTE_0 src1_sel:DWORD
	s_mov_b32 s16, -1
	s_and_saveexec_b32 s73, s74
; %bb.14199:                            ;   in Loop: Header=BB6_14082 Depth=3
	s_xor_b32 s16, exec_lo, -1
; %bb.14200:                            ;   in Loop: Header=BB6_14082 Depth=3
	s_or_b32 exec_lo, exec_lo, s73
	s_and_b32 s16, s16, exec_lo
	s_or_saveexec_b32 s23, s23
	v_mov_b32_e32 v86, 0x7f800001
	s_xor_b32 exec_lo, exec_lo, s23
	s_cbranch_execnz .LBB6_15259
.LBB6_14201:                            ;   in Loop: Header=BB6_14082 Depth=3
	s_or_b32 exec_lo, exec_lo, s23
	s_and_saveexec_b32 s23, s16
	s_cbranch_execz .LBB6_14203
.LBB6_14202:                            ;   in Loop: Header=BB6_14082 Depth=3
	v_and_b32_e32 v86, 7, v32
	v_lshrrev_b16 v60, 3, v32
	v_lshlrev_b32_e32 v105, 24, v32
	v_ffbh_u32_e32 v87, v86
	v_and_b32_e32 v60, 15, v60
	v_min_u32_e32 v87, 32, v87
	v_cmp_eq_u32_e32 vcc_lo, 0, v60
	v_subrev_nc_u32_e32 v74, 28, v87
	v_sub_nc_u32_e32 v87, 29, v87
	v_lshlrev_b32_e32 v74, v74, v32
	v_cndmask_b32_e32 v87, v60, v87, vcc_lo
	v_and_b32_e32 v60, 0x80000000, v105
	v_and_b32_e32 v74, 7, v74
	v_lshl_add_u32 v87, v87, 23, 0x3b800000
	v_cndmask_b32_e32 v86, v86, v74, vcc_lo
	v_lshlrev_b32_e32 v86, 20, v86
	v_or3_b32 v86, v60, v87, v86
.LBB6_14203:                            ;   in Loop: Header=BB6_14082 Depth=3
	s_or_b32 exec_lo, exec_lo, s23
	v_max_f32_e32 v86, v86, v86
	v_max_f32_e32 v87, v46, v46
	;; [unrolled: 1-line block ×3, first 2 shown]
	s_branch .LBB6_14218
.LBB6_14204:                            ;   in Loop: Header=BB6_14082 Depth=3
	s_and_b32 vcc_lo, exec_lo, s16
	s_cbranch_vccz .LBB6_14218
; %bb.14205:                            ;   in Loop: Header=BB6_14082 Depth=3
	v_cmp_gt_i16_sdwa s23, v121, v61 src0_sel:BYTE_0 src1_sel:DWORD
	s_mov_b32 s16, 0
	s_and_saveexec_b32 s73, s23
	s_xor_b32 s23, exec_lo, s73
	s_cbranch_execz .LBB6_15260
; %bb.14206:                            ;   in Loop: Header=BB6_14082 Depth=3
	v_cmp_eq_u16_sdwa s74, v121, v62 src0_sel:BYTE_0 src1_sel:DWORD
	s_mov_b32 s16, -1
	s_and_saveexec_b32 s73, s74
; %bb.14207:                            ;   in Loop: Header=BB6_14082 Depth=3
	s_xor_b32 s16, exec_lo, -1
; %bb.14208:                            ;   in Loop: Header=BB6_14082 Depth=3
	s_or_b32 exec_lo, exec_lo, s73
	s_and_b32 s16, s16, exec_lo
	s_or_saveexec_b32 s23, s23
	v_mov_b32_e32 v46, 0x7f800001
	s_xor_b32 exec_lo, exec_lo, s23
	s_cbranch_execnz .LBB6_15261
.LBB6_14209:                            ;   in Loop: Header=BB6_14082 Depth=3
	s_or_b32 exec_lo, exec_lo, s23
	s_and_saveexec_b32 s23, s16
	s_cbranch_execz .LBB6_14211
.LBB6_14210:                            ;   in Loop: Header=BB6_14082 Depth=3
	v_and_b32_e32 v86, 7, v121
	v_lshrrev_b16 v46, 3, v121
	v_lshlrev_b32_e32 v74, 24, v121
	v_ffbh_u32_e32 v87, v86
	v_and_b32_e32 v46, 15, v46
	v_min_u32_e32 v87, 32, v87
	v_cmp_eq_u32_e32 vcc_lo, 0, v46
	v_subrev_nc_u32_e32 v60, 28, v87
	v_sub_nc_u32_e32 v87, 29, v87
	v_lshlrev_b32_e32 v60, v60, v121
	v_cndmask_b32_e32 v87, v46, v87, vcc_lo
	v_and_b32_e32 v46, 0x80000000, v74
	v_and_b32_e32 v60, 7, v60
	v_lshl_add_u32 v87, v87, 23, 0x3b800000
	v_cndmask_b32_e32 v86, v86, v60, vcc_lo
	v_lshlrev_b32_e32 v86, 20, v86
	v_or3_b32 v46, v46, v87, v86
.LBB6_14211:                            ;   in Loop: Header=BB6_14082 Depth=3
	s_or_b32 exec_lo, exec_lo, s23
	s_waitcnt vmcnt(28) lgkmcnt(28)
	v_cmp_gt_i16_sdwa s23, v32, v61 src0_sel:BYTE_0 src1_sel:DWORD
	s_mov_b32 s16, 0
	s_and_saveexec_b32 s73, s23
	s_xor_b32 s23, exec_lo, s73
	s_cbranch_execz .LBB6_15262
; %bb.14212:                            ;   in Loop: Header=BB6_14082 Depth=3
	v_cmp_eq_u16_sdwa s74, v32, v62 src0_sel:BYTE_0 src1_sel:DWORD
	s_mov_b32 s16, -1
	s_and_saveexec_b32 s73, s74
; %bb.14213:                            ;   in Loop: Header=BB6_14082 Depth=3
	s_xor_b32 s16, exec_lo, -1
; %bb.14214:                            ;   in Loop: Header=BB6_14082 Depth=3
	s_or_b32 exec_lo, exec_lo, s73
	s_and_b32 s16, s16, exec_lo
	s_or_saveexec_b32 s23, s23
	v_mov_b32_e32 v86, 0x7f800001
	s_xor_b32 exec_lo, exec_lo, s23
	s_cbranch_execnz .LBB6_15263
.LBB6_14215:                            ;   in Loop: Header=BB6_14082 Depth=3
	s_or_b32 exec_lo, exec_lo, s23
	s_and_saveexec_b32 s23, s16
	s_cbranch_execz .LBB6_14217
.LBB6_14216:                            ;   in Loop: Header=BB6_14082 Depth=3
	v_and_b32_e32 v86, 7, v32
	v_lshrrev_b16 v60, 3, v32
	v_ffbh_u32_e32 v87, v86
	v_and_b32_e32 v60, 15, v60
	v_min_u32_e32 v87, 32, v87
	v_cmp_eq_u32_e32 vcc_lo, 0, v60
	v_subrev_nc_u32_e32 v74, 28, v87
	v_sub_nc_u32_e32 v87, 29, v87
	v_lshlrev_b32_e32 v74, v74, v32
	v_lshlrev_b32_e32 v32, 24, v32
	v_cndmask_b32_e32 v87, v60, v87, vcc_lo
	v_and_b32_e32 v74, 7, v74
	v_and_b32_e32 v32, 0x80000000, v32
	v_lshl_add_u32 v87, v87, 23, 0x3b800000
	v_cndmask_b32_e32 v86, v86, v74, vcc_lo
	v_lshlrev_b32_e32 v86, 20, v86
	v_or3_b32 v86, v32, v87, v86
.LBB6_14217:                            ;   in Loop: Header=BB6_14082 Depth=3
	s_or_b32 exec_lo, exec_lo, s23
	v_max_f32_e32 v32, v86, v86
	v_max_f32_e32 v86, v46, v46
	v_min_f32_e32 v46, v86, v32
.LBB6_14218:                            ;   in Loop: Header=BB6_14082 Depth=3
	s_waitcnt vmcnt(28) lgkmcnt(28)
	v_and_b32_e32 v32, 0x7f800000, v46
	v_cmp_ne_u32_e32 vcc_lo, 0x7f800000, v32
	v_mov_b32_e32 v32, 0x80
	s_and_saveexec_b32 s23, vcc_lo
	s_cbranch_execz .LBB6_14226
; %bb.14219:                            ;   in Loop: Header=BB6_14082 Depth=3
	v_mov_b32_e32 v32, 0
	s_mov_b32 s73, exec_lo
	v_cmpx_ne_u32_e32 0, v46
	s_cbranch_execz .LBB6_14225
; %bb.14220:                            ;   in Loop: Header=BB6_14082 Depth=3
	v_bfe_u32 v86, v46, 23, 8
	v_and_b32_e32 v32, 0x7fffff, v46
                                        ; implicit-def: $vgpr105
	v_cmp_gt_u32_e64 s16, 0x79, v86
	v_sub_nc_u32_e32 v87, 0x78, v86
	v_cmp_eq_u32_e32 vcc_lo, 0, v86
	v_or_b32_e32 v60, 0x800000, v32
	v_cndmask_b32_e64 v87, 0, v87, s16
	v_cndmask_b32_e32 v32, v60, v32, vcc_lo
	v_cndmask_b32_e64 v87, v87, 0x77, vcc_lo
	v_lshl_add_u32 v60, 0x100000, v87, -1
	v_lshlrev_b32_e64 v74, v87, 0x80000
	v_and_b32_e32 v60, v60, v32
	v_cmp_eq_u32_e64 s16, v60, v74
	v_lshrrev_b32_e32 v74, v87, v32
	v_add_nc_u32_e32 v32, 0xffffff89, v86
	v_lshrrev_b32_e32 v86, 23, v74
	v_cndmask_b32_e64 v32, v32, 0xffffff8a, vcc_lo
	v_xor_b32_e32 v60, 1, v86
	v_bfe_u32 v86, v74, 20, 1
	v_add_nc_u32_e32 v32, v87, v32
	v_add_nc_u32_e32 v86, -1, v86
	v_cndmask_b32_e64 v86, 0, v86, s16
	s_mov_b32 s16, exec_lo
	v_add_nc_u32_e32 v86, v86, v74
	v_and_b32_e32 v86, 0xfffff, v86
	v_add_nc_u32_e32 v74, v86, v74
	v_cmpx_ne_u32_e64 v32, v60
	s_xor_b32 s16, exec_lo, s16
; %bb.14221:                            ;   in Loop: Header=BB6_14082 Depth=3
	v_cmp_lt_u32_e32 vcc_lo, 0xffffff, v74
	v_sub_nc_u32_e32 v32, v32, v60
	v_cndmask_b32_e64 v86, 0, 1, vcc_lo
	v_add_co_ci_u32_e64 v105, null, 0, v32, vcc_lo
	v_lshrrev_b32_e32 v74, v86, v74
; %bb.14222:                            ;   in Loop: Header=BB6_14082 Depth=3
	s_andn2_saveexec_b32 s16, s16
; %bb.14223:                            ;   in Loop: Header=BB6_14082 Depth=3
	v_bfe_u32 v105, v74, 23, 1
; %bb.14224:                            ;   in Loop: Header=BB6_14082 Depth=3
	s_or_b32 exec_lo, exec_lo, s16
	v_lshrrev_b32_e32 v86, 20, v74
	v_cmp_gt_i32_e32 vcc_lo, 16, v105
	v_min_i32_e32 v87, 15, v105
	v_and_b32_sdwa v32, v46, v62 dst_sel:DWORD dst_unused:UNUSED_PAD src0_sel:BYTE_3 src1_sel:DWORD
	v_cndmask_b32_e32 v86, 7, v86, vcc_lo
	v_lshlrev_b32_e32 v87, 3, v87
	v_or_b32_e32 v46, v105, v86
	v_and_b32_e32 v86, 7, v86
	v_cmp_ne_u32_e32 vcc_lo, 0, v46
	v_or3_b32 v32, v87, v32, v86
	v_cndmask_b32_e32 v32, 0, v32, vcc_lo
.LBB6_14225:                            ;   in Loop: Header=BB6_14082 Depth=3
	s_or_b32 exec_lo, exec_lo, s73
.LBB6_14226:                            ;   in Loop: Header=BB6_14082 Depth=3
	s_or_b32 exec_lo, exec_lo, s23
	s_mov_b32 s16, -1
	s_andn2_b32 vcc_lo, exec_lo, s19
                                        ; implicit-def: $vgpr46
	s_cbranch_vccnz .LBB6_14240
; %bb.14227:                            ;   in Loop: Header=BB6_14082 Depth=3
	v_cmp_gt_i16_sdwa s23, v88, v61 src0_sel:BYTE_0 src1_sel:DWORD
	s_mov_b32 s16, 0
	s_and_saveexec_b32 s73, s23
	s_xor_b32 s23, exec_lo, s73
	s_cbranch_execz .LBB6_15264
; %bb.14228:                            ;   in Loop: Header=BB6_14082 Depth=3
	v_cmp_eq_u16_sdwa s74, v88, v62 src0_sel:BYTE_0 src1_sel:DWORD
	s_mov_b32 s16, -1
	s_and_saveexec_b32 s73, s74
; %bb.14229:                            ;   in Loop: Header=BB6_14082 Depth=3
	s_xor_b32 s16, exec_lo, -1
; %bb.14230:                            ;   in Loop: Header=BB6_14082 Depth=3
	s_or_b32 exec_lo, exec_lo, s73
	s_and_b32 s16, s16, exec_lo
	s_or_saveexec_b32 s23, s23
	v_mov_b32_e32 v46, 0x7f800001
	s_xor_b32 exec_lo, exec_lo, s23
	s_cbranch_execnz .LBB6_15265
.LBB6_14231:                            ;   in Loop: Header=BB6_14082 Depth=3
	s_or_b32 exec_lo, exec_lo, s23
	s_and_saveexec_b32 s23, s16
	s_cbranch_execz .LBB6_14233
.LBB6_14232:                            ;   in Loop: Header=BB6_14082 Depth=3
	v_and_b32_e32 v86, 7, v88
	v_lshrrev_b16 v46, 3, v88
	v_lshlrev_b32_e32 v74, 24, v88
	v_ffbh_u32_e32 v87, v86
	v_and_b32_e32 v46, 15, v46
	v_min_u32_e32 v87, 32, v87
	v_cmp_eq_u32_e32 vcc_lo, 0, v46
	v_subrev_nc_u32_e32 v60, 28, v87
	v_sub_nc_u32_e32 v87, 29, v87
	v_lshlrev_b32_e32 v60, v60, v88
	v_cndmask_b32_e32 v87, v46, v87, vcc_lo
	v_and_b32_e32 v46, 0x80000000, v74
	v_and_b32_e32 v60, 7, v60
	v_lshl_add_u32 v87, v87, 23, 0x3b800000
	v_cndmask_b32_e32 v86, v86, v60, vcc_lo
	v_lshlrev_b32_e32 v86, 20, v86
	v_or3_b32 v46, v46, v87, v86
.LBB6_14233:                            ;   in Loop: Header=BB6_14082 Depth=3
	s_or_b32 exec_lo, exec_lo, s23
	s_waitcnt vmcnt(27) lgkmcnt(27)
	v_cmp_gt_i16_sdwa s23, v35, v61 src0_sel:BYTE_0 src1_sel:DWORD
	s_mov_b32 s16, 0
	s_and_saveexec_b32 s73, s23
	s_xor_b32 s23, exec_lo, s73
	s_cbranch_execz .LBB6_15266
; %bb.14234:                            ;   in Loop: Header=BB6_14082 Depth=3
	v_cmp_eq_u16_sdwa s74, v35, v62 src0_sel:BYTE_0 src1_sel:DWORD
	s_mov_b32 s16, -1
	s_and_saveexec_b32 s73, s74
; %bb.14235:                            ;   in Loop: Header=BB6_14082 Depth=3
	s_xor_b32 s16, exec_lo, -1
; %bb.14236:                            ;   in Loop: Header=BB6_14082 Depth=3
	s_or_b32 exec_lo, exec_lo, s73
	s_and_b32 s16, s16, exec_lo
	s_or_saveexec_b32 s23, s23
	v_mov_b32_e32 v86, 0x7f800001
	s_xor_b32 exec_lo, exec_lo, s23
	s_cbranch_execnz .LBB6_15267
.LBB6_14237:                            ;   in Loop: Header=BB6_14082 Depth=3
	s_or_b32 exec_lo, exec_lo, s23
	s_and_saveexec_b32 s23, s16
	s_cbranch_execz .LBB6_14239
.LBB6_14238:                            ;   in Loop: Header=BB6_14082 Depth=3
	v_and_b32_e32 v86, 7, v35
	v_lshrrev_b16 v60, 3, v35
	v_lshlrev_b32_e32 v105, 24, v35
	v_ffbh_u32_e32 v87, v86
	v_and_b32_e32 v60, 15, v60
	v_min_u32_e32 v87, 32, v87
	v_cmp_eq_u32_e32 vcc_lo, 0, v60
	v_subrev_nc_u32_e32 v74, 28, v87
	v_sub_nc_u32_e32 v87, 29, v87
	v_lshlrev_b32_e32 v74, v74, v35
	v_cndmask_b32_e32 v87, v60, v87, vcc_lo
	v_and_b32_e32 v60, 0x80000000, v105
	v_and_b32_e32 v74, 7, v74
	v_lshl_add_u32 v87, v87, 23, 0x3b800000
	v_cndmask_b32_e32 v86, v86, v74, vcc_lo
	v_lshlrev_b32_e32 v86, 20, v86
	v_or3_b32 v86, v60, v87, v86
.LBB6_14239:                            ;   in Loop: Header=BB6_14082 Depth=3
	s_or_b32 exec_lo, exec_lo, s23
	v_max_f32_e32 v86, v86, v86
	v_max_f32_e32 v87, v46, v46
	;; [unrolled: 1-line block ×3, first 2 shown]
	s_branch .LBB6_14254
.LBB6_14240:                            ;   in Loop: Header=BB6_14082 Depth=3
	s_and_b32 vcc_lo, exec_lo, s16
	s_cbranch_vccz .LBB6_14254
; %bb.14241:                            ;   in Loop: Header=BB6_14082 Depth=3
	v_cmp_gt_i16_sdwa s23, v88, v61 src0_sel:BYTE_0 src1_sel:DWORD
	s_mov_b32 s16, 0
	s_and_saveexec_b32 s73, s23
	s_xor_b32 s23, exec_lo, s73
	s_cbranch_execz .LBB6_15268
; %bb.14242:                            ;   in Loop: Header=BB6_14082 Depth=3
	v_cmp_eq_u16_sdwa s74, v88, v62 src0_sel:BYTE_0 src1_sel:DWORD
	s_mov_b32 s16, -1
	s_and_saveexec_b32 s73, s74
; %bb.14243:                            ;   in Loop: Header=BB6_14082 Depth=3
	s_xor_b32 s16, exec_lo, -1
; %bb.14244:                            ;   in Loop: Header=BB6_14082 Depth=3
	s_or_b32 exec_lo, exec_lo, s73
	s_and_b32 s16, s16, exec_lo
	s_or_saveexec_b32 s23, s23
	v_mov_b32_e32 v46, 0x7f800001
	s_xor_b32 exec_lo, exec_lo, s23
	s_cbranch_execnz .LBB6_15269
.LBB6_14245:                            ;   in Loop: Header=BB6_14082 Depth=3
	s_or_b32 exec_lo, exec_lo, s23
	s_and_saveexec_b32 s23, s16
	s_cbranch_execz .LBB6_14247
.LBB6_14246:                            ;   in Loop: Header=BB6_14082 Depth=3
	v_and_b32_e32 v86, 7, v88
	v_lshrrev_b16 v46, 3, v88
	v_lshlrev_b32_e32 v74, 24, v88
	v_ffbh_u32_e32 v87, v86
	v_and_b32_e32 v46, 15, v46
	v_min_u32_e32 v87, 32, v87
	v_cmp_eq_u32_e32 vcc_lo, 0, v46
	v_subrev_nc_u32_e32 v60, 28, v87
	v_sub_nc_u32_e32 v87, 29, v87
	v_lshlrev_b32_e32 v60, v60, v88
	v_cndmask_b32_e32 v87, v46, v87, vcc_lo
	v_and_b32_e32 v46, 0x80000000, v74
	v_and_b32_e32 v60, 7, v60
	v_lshl_add_u32 v87, v87, 23, 0x3b800000
	v_cndmask_b32_e32 v86, v86, v60, vcc_lo
	v_lshlrev_b32_e32 v86, 20, v86
	v_or3_b32 v46, v46, v87, v86
.LBB6_14247:                            ;   in Loop: Header=BB6_14082 Depth=3
	s_or_b32 exec_lo, exec_lo, s23
	s_waitcnt vmcnt(27) lgkmcnt(27)
	v_cmp_gt_i16_sdwa s23, v35, v61 src0_sel:BYTE_0 src1_sel:DWORD
	s_mov_b32 s16, 0
	s_and_saveexec_b32 s73, s23
	s_xor_b32 s23, exec_lo, s73
	s_cbranch_execz .LBB6_15270
; %bb.14248:                            ;   in Loop: Header=BB6_14082 Depth=3
	v_cmp_eq_u16_sdwa s74, v35, v62 src0_sel:BYTE_0 src1_sel:DWORD
	s_mov_b32 s16, -1
	s_and_saveexec_b32 s73, s74
; %bb.14249:                            ;   in Loop: Header=BB6_14082 Depth=3
	s_xor_b32 s16, exec_lo, -1
; %bb.14250:                            ;   in Loop: Header=BB6_14082 Depth=3
	s_or_b32 exec_lo, exec_lo, s73
	s_and_b32 s16, s16, exec_lo
	s_or_saveexec_b32 s23, s23
	v_mov_b32_e32 v86, 0x7f800001
	s_xor_b32 exec_lo, exec_lo, s23
	s_cbranch_execnz .LBB6_15271
.LBB6_14251:                            ;   in Loop: Header=BB6_14082 Depth=3
	s_or_b32 exec_lo, exec_lo, s23
	s_and_saveexec_b32 s23, s16
	s_cbranch_execz .LBB6_14253
.LBB6_14252:                            ;   in Loop: Header=BB6_14082 Depth=3
	v_and_b32_e32 v86, 7, v35
	v_lshrrev_b16 v60, 3, v35
	v_ffbh_u32_e32 v87, v86
	v_and_b32_e32 v60, 15, v60
	v_min_u32_e32 v87, 32, v87
	v_cmp_eq_u32_e32 vcc_lo, 0, v60
	v_subrev_nc_u32_e32 v74, 28, v87
	v_sub_nc_u32_e32 v87, 29, v87
	v_lshlrev_b32_e32 v74, v74, v35
	v_lshlrev_b32_e32 v35, 24, v35
	v_cndmask_b32_e32 v87, v60, v87, vcc_lo
	v_and_b32_e32 v74, 7, v74
	v_and_b32_e32 v35, 0x80000000, v35
	v_lshl_add_u32 v87, v87, 23, 0x3b800000
	v_cndmask_b32_e32 v86, v86, v74, vcc_lo
	v_lshlrev_b32_e32 v86, 20, v86
	v_or3_b32 v86, v35, v87, v86
.LBB6_14253:                            ;   in Loop: Header=BB6_14082 Depth=3
	s_or_b32 exec_lo, exec_lo, s23
	v_max_f32_e32 v35, v86, v86
	v_max_f32_e32 v86, v46, v46
	v_min_f32_e32 v46, v86, v35
.LBB6_14254:                            ;   in Loop: Header=BB6_14082 Depth=3
	s_waitcnt vmcnt(27) lgkmcnt(27)
	v_and_b32_e32 v35, 0x7f800000, v46
	v_cmp_ne_u32_e32 vcc_lo, 0x7f800000, v35
	v_mov_b32_e32 v35, 0x80
	s_and_saveexec_b32 s23, vcc_lo
	s_cbranch_execz .LBB6_14262
; %bb.14255:                            ;   in Loop: Header=BB6_14082 Depth=3
	v_mov_b32_e32 v35, 0
	s_mov_b32 s73, exec_lo
	v_cmpx_ne_u32_e32 0, v46
	s_cbranch_execz .LBB6_14261
; %bb.14256:                            ;   in Loop: Header=BB6_14082 Depth=3
	v_bfe_u32 v86, v46, 23, 8
	v_and_b32_e32 v35, 0x7fffff, v46
                                        ; implicit-def: $vgpr88
	v_cmp_gt_u32_e64 s16, 0x79, v86
	v_sub_nc_u32_e32 v87, 0x78, v86
	v_cmp_eq_u32_e32 vcc_lo, 0, v86
	v_or_b32_e32 v60, 0x800000, v35
	v_cndmask_b32_e64 v87, 0, v87, s16
	v_cndmask_b32_e32 v35, v60, v35, vcc_lo
	v_cndmask_b32_e64 v87, v87, 0x77, vcc_lo
	v_lshl_add_u32 v60, 0x100000, v87, -1
	v_lshlrev_b32_e64 v74, v87, 0x80000
	v_and_b32_e32 v60, v60, v35
	v_cmp_eq_u32_e64 s16, v60, v74
	v_lshrrev_b32_e32 v74, v87, v35
	v_add_nc_u32_e32 v35, 0xffffff89, v86
	v_lshrrev_b32_e32 v86, 23, v74
	v_cndmask_b32_e64 v35, v35, 0xffffff8a, vcc_lo
	v_xor_b32_e32 v60, 1, v86
	v_bfe_u32 v86, v74, 20, 1
	v_add_nc_u32_e32 v35, v87, v35
	v_add_nc_u32_e32 v86, -1, v86
	v_cndmask_b32_e64 v86, 0, v86, s16
	s_mov_b32 s16, exec_lo
	v_add_nc_u32_e32 v86, v86, v74
	v_and_b32_e32 v86, 0xfffff, v86
	v_add_nc_u32_e32 v74, v86, v74
	v_cmpx_ne_u32_e64 v35, v60
	s_xor_b32 s16, exec_lo, s16
; %bb.14257:                            ;   in Loop: Header=BB6_14082 Depth=3
	v_cmp_lt_u32_e32 vcc_lo, 0xffffff, v74
	v_sub_nc_u32_e32 v35, v35, v60
	v_cndmask_b32_e64 v86, 0, 1, vcc_lo
	v_add_co_ci_u32_e64 v88, null, 0, v35, vcc_lo
	v_lshrrev_b32_e32 v74, v86, v74
; %bb.14258:                            ;   in Loop: Header=BB6_14082 Depth=3
	s_andn2_saveexec_b32 s16, s16
; %bb.14259:                            ;   in Loop: Header=BB6_14082 Depth=3
	v_bfe_u32 v88, v74, 23, 1
; %bb.14260:                            ;   in Loop: Header=BB6_14082 Depth=3
	s_or_b32 exec_lo, exec_lo, s16
	v_lshrrev_b32_e32 v86, 20, v74
	v_cmp_gt_i32_e32 vcc_lo, 16, v88
	v_min_i32_e32 v87, 15, v88
	v_and_b32_sdwa v35, v46, v62 dst_sel:DWORD dst_unused:UNUSED_PAD src0_sel:BYTE_3 src1_sel:DWORD
	v_cndmask_b32_e32 v86, 7, v86, vcc_lo
	v_lshlrev_b32_e32 v87, 3, v87
	v_or_b32_e32 v46, v88, v86
	v_and_b32_e32 v86, 7, v86
	v_cmp_ne_u32_e32 vcc_lo, 0, v46
	v_or3_b32 v35, v87, v35, v86
	v_cndmask_b32_e32 v35, 0, v35, vcc_lo
.LBB6_14261:                            ;   in Loop: Header=BB6_14082 Depth=3
	s_or_b32 exec_lo, exec_lo, s73
.LBB6_14262:                            ;   in Loop: Header=BB6_14082 Depth=3
	s_or_b32 exec_lo, exec_lo, s23
	s_mov_b32 s16, -1
	s_andn2_b32 vcc_lo, exec_lo, s19
                                        ; implicit-def: $vgpr46
	s_cbranch_vccnz .LBB6_14276
; %bb.14263:                            ;   in Loop: Header=BB6_14082 Depth=3
	v_cmp_gt_i16_sdwa s23, v120, v61 src0_sel:BYTE_0 src1_sel:DWORD
	s_mov_b32 s16, 0
	s_and_saveexec_b32 s73, s23
	s_xor_b32 s23, exec_lo, s73
	s_cbranch_execz .LBB6_15272
; %bb.14264:                            ;   in Loop: Header=BB6_14082 Depth=3
	v_cmp_eq_u16_sdwa s74, v120, v62 src0_sel:BYTE_0 src1_sel:DWORD
	s_mov_b32 s16, -1
	s_and_saveexec_b32 s73, s74
; %bb.14265:                            ;   in Loop: Header=BB6_14082 Depth=3
	s_xor_b32 s16, exec_lo, -1
; %bb.14266:                            ;   in Loop: Header=BB6_14082 Depth=3
	s_or_b32 exec_lo, exec_lo, s73
	s_and_b32 s16, s16, exec_lo
	s_or_saveexec_b32 s23, s23
	v_mov_b32_e32 v46, 0x7f800001
	s_xor_b32 exec_lo, exec_lo, s23
	s_cbranch_execnz .LBB6_15273
.LBB6_14267:                            ;   in Loop: Header=BB6_14082 Depth=3
	s_or_b32 exec_lo, exec_lo, s23
	s_and_saveexec_b32 s23, s16
	s_cbranch_execz .LBB6_14269
.LBB6_14268:                            ;   in Loop: Header=BB6_14082 Depth=3
	v_and_b32_e32 v86, 7, v120
	v_lshrrev_b16 v46, 3, v120
	v_lshlrev_b32_e32 v74, 24, v120
	v_ffbh_u32_e32 v87, v86
	v_and_b32_e32 v46, 15, v46
	v_min_u32_e32 v87, 32, v87
	v_cmp_eq_u32_e32 vcc_lo, 0, v46
	v_subrev_nc_u32_e32 v60, 28, v87
	v_sub_nc_u32_e32 v87, 29, v87
	v_lshlrev_b32_e32 v60, v60, v120
	v_cndmask_b32_e32 v87, v46, v87, vcc_lo
	v_and_b32_e32 v46, 0x80000000, v74
	v_and_b32_e32 v60, 7, v60
	v_lshl_add_u32 v87, v87, 23, 0x3b800000
	v_cndmask_b32_e32 v86, v86, v60, vcc_lo
	v_lshlrev_b32_e32 v86, 20, v86
	v_or3_b32 v46, v46, v87, v86
.LBB6_14269:                            ;   in Loop: Header=BB6_14082 Depth=3
	s_or_b32 exec_lo, exec_lo, s23
	s_waitcnt vmcnt(26) lgkmcnt(26)
	v_cmp_gt_i16_sdwa s23, v38, v61 src0_sel:BYTE_0 src1_sel:DWORD
	s_mov_b32 s16, 0
	s_and_saveexec_b32 s73, s23
	s_xor_b32 s23, exec_lo, s73
	s_cbranch_execz .LBB6_15274
; %bb.14270:                            ;   in Loop: Header=BB6_14082 Depth=3
	v_cmp_eq_u16_sdwa s74, v38, v62 src0_sel:BYTE_0 src1_sel:DWORD
	s_mov_b32 s16, -1
	s_and_saveexec_b32 s73, s74
; %bb.14271:                            ;   in Loop: Header=BB6_14082 Depth=3
	s_xor_b32 s16, exec_lo, -1
; %bb.14272:                            ;   in Loop: Header=BB6_14082 Depth=3
	s_or_b32 exec_lo, exec_lo, s73
	s_and_b32 s16, s16, exec_lo
	s_or_saveexec_b32 s23, s23
	v_mov_b32_e32 v86, 0x7f800001
	s_xor_b32 exec_lo, exec_lo, s23
	s_cbranch_execnz .LBB6_15275
.LBB6_14273:                            ;   in Loop: Header=BB6_14082 Depth=3
	s_or_b32 exec_lo, exec_lo, s23
	s_and_saveexec_b32 s23, s16
	s_cbranch_execz .LBB6_14275
.LBB6_14274:                            ;   in Loop: Header=BB6_14082 Depth=3
	v_and_b32_e32 v86, 7, v38
	v_lshrrev_b16 v60, 3, v38
	v_lshlrev_b32_e32 v88, 24, v38
	v_ffbh_u32_e32 v87, v86
	v_and_b32_e32 v60, 15, v60
	v_min_u32_e32 v87, 32, v87
	v_cmp_eq_u32_e32 vcc_lo, 0, v60
	v_subrev_nc_u32_e32 v74, 28, v87
	v_sub_nc_u32_e32 v87, 29, v87
	v_lshlrev_b32_e32 v74, v74, v38
	v_cndmask_b32_e32 v87, v60, v87, vcc_lo
	v_and_b32_e32 v60, 0x80000000, v88
	v_and_b32_e32 v74, 7, v74
	v_lshl_add_u32 v87, v87, 23, 0x3b800000
	v_cndmask_b32_e32 v86, v86, v74, vcc_lo
	v_lshlrev_b32_e32 v86, 20, v86
	v_or3_b32 v86, v60, v87, v86
.LBB6_14275:                            ;   in Loop: Header=BB6_14082 Depth=3
	s_or_b32 exec_lo, exec_lo, s23
	v_max_f32_e32 v86, v86, v86
	v_max_f32_e32 v87, v46, v46
	;; [unrolled: 1-line block ×3, first 2 shown]
	s_branch .LBB6_14290
.LBB6_14276:                            ;   in Loop: Header=BB6_14082 Depth=3
	s_and_b32 vcc_lo, exec_lo, s16
	s_cbranch_vccz .LBB6_14290
; %bb.14277:                            ;   in Loop: Header=BB6_14082 Depth=3
	v_cmp_gt_i16_sdwa s23, v120, v61 src0_sel:BYTE_0 src1_sel:DWORD
	s_mov_b32 s16, 0
	s_and_saveexec_b32 s73, s23
	s_xor_b32 s23, exec_lo, s73
	s_cbranch_execz .LBB6_15276
; %bb.14278:                            ;   in Loop: Header=BB6_14082 Depth=3
	v_cmp_eq_u16_sdwa s74, v120, v62 src0_sel:BYTE_0 src1_sel:DWORD
	s_mov_b32 s16, -1
	s_and_saveexec_b32 s73, s74
; %bb.14279:                            ;   in Loop: Header=BB6_14082 Depth=3
	s_xor_b32 s16, exec_lo, -1
; %bb.14280:                            ;   in Loop: Header=BB6_14082 Depth=3
	s_or_b32 exec_lo, exec_lo, s73
	s_and_b32 s16, s16, exec_lo
	s_or_saveexec_b32 s23, s23
	v_mov_b32_e32 v46, 0x7f800001
	s_xor_b32 exec_lo, exec_lo, s23
	s_cbranch_execnz .LBB6_15277
.LBB6_14281:                            ;   in Loop: Header=BB6_14082 Depth=3
	s_or_b32 exec_lo, exec_lo, s23
	s_and_saveexec_b32 s23, s16
	s_cbranch_execz .LBB6_14283
.LBB6_14282:                            ;   in Loop: Header=BB6_14082 Depth=3
	v_and_b32_e32 v86, 7, v120
	v_lshrrev_b16 v46, 3, v120
	v_lshlrev_b32_e32 v74, 24, v120
	v_ffbh_u32_e32 v87, v86
	v_and_b32_e32 v46, 15, v46
	v_min_u32_e32 v87, 32, v87
	v_cmp_eq_u32_e32 vcc_lo, 0, v46
	v_subrev_nc_u32_e32 v60, 28, v87
	v_sub_nc_u32_e32 v87, 29, v87
	v_lshlrev_b32_e32 v60, v60, v120
	v_cndmask_b32_e32 v87, v46, v87, vcc_lo
	v_and_b32_e32 v46, 0x80000000, v74
	v_and_b32_e32 v60, 7, v60
	v_lshl_add_u32 v87, v87, 23, 0x3b800000
	v_cndmask_b32_e32 v86, v86, v60, vcc_lo
	v_lshlrev_b32_e32 v86, 20, v86
	v_or3_b32 v46, v46, v87, v86
.LBB6_14283:                            ;   in Loop: Header=BB6_14082 Depth=3
	s_or_b32 exec_lo, exec_lo, s23
	s_waitcnt vmcnt(26) lgkmcnt(26)
	v_cmp_gt_i16_sdwa s23, v38, v61 src0_sel:BYTE_0 src1_sel:DWORD
	s_mov_b32 s16, 0
	s_and_saveexec_b32 s73, s23
	s_xor_b32 s23, exec_lo, s73
	s_cbranch_execz .LBB6_15278
; %bb.14284:                            ;   in Loop: Header=BB6_14082 Depth=3
	v_cmp_eq_u16_sdwa s74, v38, v62 src0_sel:BYTE_0 src1_sel:DWORD
	s_mov_b32 s16, -1
	s_and_saveexec_b32 s73, s74
; %bb.14285:                            ;   in Loop: Header=BB6_14082 Depth=3
	s_xor_b32 s16, exec_lo, -1
; %bb.14286:                            ;   in Loop: Header=BB6_14082 Depth=3
	s_or_b32 exec_lo, exec_lo, s73
	s_and_b32 s16, s16, exec_lo
	s_or_saveexec_b32 s23, s23
	v_mov_b32_e32 v86, 0x7f800001
	s_xor_b32 exec_lo, exec_lo, s23
	s_cbranch_execnz .LBB6_15279
.LBB6_14287:                            ;   in Loop: Header=BB6_14082 Depth=3
	s_or_b32 exec_lo, exec_lo, s23
	s_and_saveexec_b32 s23, s16
	s_cbranch_execz .LBB6_14289
.LBB6_14288:                            ;   in Loop: Header=BB6_14082 Depth=3
	v_and_b32_e32 v86, 7, v38
	v_lshrrev_b16 v60, 3, v38
	v_ffbh_u32_e32 v87, v86
	v_and_b32_e32 v60, 15, v60
	v_min_u32_e32 v87, 32, v87
	v_cmp_eq_u32_e32 vcc_lo, 0, v60
	v_subrev_nc_u32_e32 v74, 28, v87
	v_sub_nc_u32_e32 v87, 29, v87
	v_lshlrev_b32_e32 v74, v74, v38
	v_lshlrev_b32_e32 v38, 24, v38
	v_cndmask_b32_e32 v87, v60, v87, vcc_lo
	v_and_b32_e32 v74, 7, v74
	v_and_b32_e32 v38, 0x80000000, v38
	v_lshl_add_u32 v87, v87, 23, 0x3b800000
	v_cndmask_b32_e32 v86, v86, v74, vcc_lo
	v_lshlrev_b32_e32 v86, 20, v86
	v_or3_b32 v86, v38, v87, v86
.LBB6_14289:                            ;   in Loop: Header=BB6_14082 Depth=3
	s_or_b32 exec_lo, exec_lo, s23
	v_max_f32_e32 v38, v86, v86
	v_max_f32_e32 v86, v46, v46
	v_min_f32_e32 v46, v86, v38
.LBB6_14290:                            ;   in Loop: Header=BB6_14082 Depth=3
	s_waitcnt vmcnt(26) lgkmcnt(26)
	v_and_b32_e32 v38, 0x7f800000, v46
	v_cmp_ne_u32_e32 vcc_lo, 0x7f800000, v38
	v_mov_b32_e32 v38, 0x80
	s_and_saveexec_b32 s23, vcc_lo
	s_cbranch_execz .LBB6_14298
; %bb.14291:                            ;   in Loop: Header=BB6_14082 Depth=3
	v_mov_b32_e32 v38, 0
	s_mov_b32 s73, exec_lo
	v_cmpx_ne_u32_e32 0, v46
	s_cbranch_execz .LBB6_14297
; %bb.14292:                            ;   in Loop: Header=BB6_14082 Depth=3
	v_bfe_u32 v86, v46, 23, 8
	v_and_b32_e32 v38, 0x7fffff, v46
                                        ; implicit-def: $vgpr88
	v_cmp_gt_u32_e64 s16, 0x79, v86
	v_sub_nc_u32_e32 v87, 0x78, v86
	v_cmp_eq_u32_e32 vcc_lo, 0, v86
	v_or_b32_e32 v60, 0x800000, v38
	v_cndmask_b32_e64 v87, 0, v87, s16
	v_cndmask_b32_e32 v38, v60, v38, vcc_lo
	v_cndmask_b32_e64 v87, v87, 0x77, vcc_lo
	v_lshl_add_u32 v60, 0x100000, v87, -1
	v_lshlrev_b32_e64 v74, v87, 0x80000
	v_and_b32_e32 v60, v60, v38
	v_cmp_eq_u32_e64 s16, v60, v74
	v_lshrrev_b32_e32 v74, v87, v38
	v_add_nc_u32_e32 v38, 0xffffff89, v86
	v_lshrrev_b32_e32 v86, 23, v74
	v_cndmask_b32_e64 v38, v38, 0xffffff8a, vcc_lo
	v_xor_b32_e32 v60, 1, v86
	v_bfe_u32 v86, v74, 20, 1
	v_add_nc_u32_e32 v38, v87, v38
	v_add_nc_u32_e32 v86, -1, v86
	v_cndmask_b32_e64 v86, 0, v86, s16
	s_mov_b32 s16, exec_lo
	v_add_nc_u32_e32 v86, v86, v74
	v_and_b32_e32 v86, 0xfffff, v86
	v_add_nc_u32_e32 v74, v86, v74
	v_cmpx_ne_u32_e64 v38, v60
	s_xor_b32 s16, exec_lo, s16
; %bb.14293:                            ;   in Loop: Header=BB6_14082 Depth=3
	v_cmp_lt_u32_e32 vcc_lo, 0xffffff, v74
	v_sub_nc_u32_e32 v38, v38, v60
	v_cndmask_b32_e64 v86, 0, 1, vcc_lo
	v_add_co_ci_u32_e64 v88, null, 0, v38, vcc_lo
	v_lshrrev_b32_e32 v74, v86, v74
; %bb.14294:                            ;   in Loop: Header=BB6_14082 Depth=3
	s_andn2_saveexec_b32 s16, s16
; %bb.14295:                            ;   in Loop: Header=BB6_14082 Depth=3
	v_bfe_u32 v88, v74, 23, 1
; %bb.14296:                            ;   in Loop: Header=BB6_14082 Depth=3
	s_or_b32 exec_lo, exec_lo, s16
	v_lshrrev_b32_e32 v86, 20, v74
	v_cmp_gt_i32_e32 vcc_lo, 16, v88
	v_min_i32_e32 v87, 15, v88
	v_and_b32_sdwa v38, v46, v62 dst_sel:DWORD dst_unused:UNUSED_PAD src0_sel:BYTE_3 src1_sel:DWORD
	v_cndmask_b32_e32 v86, 7, v86, vcc_lo
	v_lshlrev_b32_e32 v87, 3, v87
	v_or_b32_e32 v46, v88, v86
	v_and_b32_e32 v86, 7, v86
	v_cmp_ne_u32_e32 vcc_lo, 0, v46
	v_or3_b32 v38, v87, v38, v86
	v_cndmask_b32_e32 v38, 0, v38, vcc_lo
.LBB6_14297:                            ;   in Loop: Header=BB6_14082 Depth=3
	s_or_b32 exec_lo, exec_lo, s73
.LBB6_14298:                            ;   in Loop: Header=BB6_14082 Depth=3
	s_or_b32 exec_lo, exec_lo, s23
	s_mov_b32 s16, -1
	s_andn2_b32 vcc_lo, exec_lo, s19
                                        ; implicit-def: $vgpr46
	s_cbranch_vccnz .LBB6_14312
; %bb.14299:                            ;   in Loop: Header=BB6_14082 Depth=3
	v_cmp_gt_i16_sdwa s23, v111, v61 src0_sel:BYTE_0 src1_sel:DWORD
	s_mov_b32 s16, 0
	s_and_saveexec_b32 s73, s23
	s_xor_b32 s23, exec_lo, s73
	s_cbranch_execz .LBB6_15280
; %bb.14300:                            ;   in Loop: Header=BB6_14082 Depth=3
	v_cmp_eq_u16_sdwa s74, v111, v62 src0_sel:BYTE_0 src1_sel:DWORD
	s_mov_b32 s16, -1
	s_and_saveexec_b32 s73, s74
; %bb.14301:                            ;   in Loop: Header=BB6_14082 Depth=3
	s_xor_b32 s16, exec_lo, -1
; %bb.14302:                            ;   in Loop: Header=BB6_14082 Depth=3
	s_or_b32 exec_lo, exec_lo, s73
	s_and_b32 s16, s16, exec_lo
	s_or_saveexec_b32 s23, s23
	v_mov_b32_e32 v46, 0x7f800001
	s_xor_b32 exec_lo, exec_lo, s23
	s_cbranch_execnz .LBB6_15281
.LBB6_14303:                            ;   in Loop: Header=BB6_14082 Depth=3
	s_or_b32 exec_lo, exec_lo, s23
	s_and_saveexec_b32 s23, s16
	s_cbranch_execz .LBB6_14305
.LBB6_14304:                            ;   in Loop: Header=BB6_14082 Depth=3
	v_and_b32_e32 v86, 7, v111
	v_lshrrev_b16 v46, 3, v111
	v_lshlrev_b32_e32 v74, 24, v111
	v_ffbh_u32_e32 v87, v86
	v_and_b32_e32 v46, 15, v46
	v_min_u32_e32 v87, 32, v87
	v_cmp_eq_u32_e32 vcc_lo, 0, v46
	v_subrev_nc_u32_e32 v60, 28, v87
	v_sub_nc_u32_e32 v87, 29, v87
	v_lshlrev_b32_e32 v60, v60, v111
	v_cndmask_b32_e32 v87, v46, v87, vcc_lo
	v_and_b32_e32 v46, 0x80000000, v74
	v_and_b32_e32 v60, 7, v60
	v_lshl_add_u32 v87, v87, 23, 0x3b800000
	v_cndmask_b32_e32 v86, v86, v60, vcc_lo
	v_lshlrev_b32_e32 v86, 20, v86
	v_or3_b32 v46, v46, v87, v86
.LBB6_14305:                            ;   in Loop: Header=BB6_14082 Depth=3
	s_or_b32 exec_lo, exec_lo, s23
	s_waitcnt vmcnt(25) lgkmcnt(25)
	v_cmp_gt_i16_sdwa s23, v49, v61 src0_sel:BYTE_0 src1_sel:DWORD
	s_mov_b32 s16, 0
	s_and_saveexec_b32 s73, s23
	s_xor_b32 s23, exec_lo, s73
	s_cbranch_execz .LBB6_15282
; %bb.14306:                            ;   in Loop: Header=BB6_14082 Depth=3
	v_cmp_eq_u16_sdwa s74, v49, v62 src0_sel:BYTE_0 src1_sel:DWORD
	s_mov_b32 s16, -1
	s_and_saveexec_b32 s73, s74
; %bb.14307:                            ;   in Loop: Header=BB6_14082 Depth=3
	s_xor_b32 s16, exec_lo, -1
; %bb.14308:                            ;   in Loop: Header=BB6_14082 Depth=3
	s_or_b32 exec_lo, exec_lo, s73
	s_and_b32 s16, s16, exec_lo
	s_or_saveexec_b32 s23, s23
	v_mov_b32_e32 v86, 0x7f800001
	s_xor_b32 exec_lo, exec_lo, s23
	s_cbranch_execnz .LBB6_15283
.LBB6_14309:                            ;   in Loop: Header=BB6_14082 Depth=3
	s_or_b32 exec_lo, exec_lo, s23
	s_and_saveexec_b32 s23, s16
	s_cbranch_execz .LBB6_14311
.LBB6_14310:                            ;   in Loop: Header=BB6_14082 Depth=3
	v_and_b32_e32 v86, 7, v49
	v_lshrrev_b16 v60, 3, v49
	v_lshlrev_b32_e32 v88, 24, v49
	v_ffbh_u32_e32 v87, v86
	v_and_b32_e32 v60, 15, v60
	v_min_u32_e32 v87, 32, v87
	v_cmp_eq_u32_e32 vcc_lo, 0, v60
	v_subrev_nc_u32_e32 v74, 28, v87
	v_sub_nc_u32_e32 v87, 29, v87
	v_lshlrev_b32_e32 v74, v74, v49
	v_cndmask_b32_e32 v87, v60, v87, vcc_lo
	v_and_b32_e32 v60, 0x80000000, v88
	v_and_b32_e32 v74, 7, v74
	v_lshl_add_u32 v87, v87, 23, 0x3b800000
	v_cndmask_b32_e32 v86, v86, v74, vcc_lo
	v_lshlrev_b32_e32 v86, 20, v86
	v_or3_b32 v86, v60, v87, v86
.LBB6_14311:                            ;   in Loop: Header=BB6_14082 Depth=3
	s_or_b32 exec_lo, exec_lo, s23
	v_max_f32_e32 v86, v86, v86
	v_max_f32_e32 v87, v46, v46
	;; [unrolled: 1-line block ×3, first 2 shown]
	s_branch .LBB6_14326
.LBB6_14312:                            ;   in Loop: Header=BB6_14082 Depth=3
	s_and_b32 vcc_lo, exec_lo, s16
	s_cbranch_vccz .LBB6_14326
; %bb.14313:                            ;   in Loop: Header=BB6_14082 Depth=3
	v_cmp_gt_i16_sdwa s23, v111, v61 src0_sel:BYTE_0 src1_sel:DWORD
	s_mov_b32 s16, 0
	s_and_saveexec_b32 s73, s23
	s_xor_b32 s23, exec_lo, s73
	s_cbranch_execz .LBB6_15284
; %bb.14314:                            ;   in Loop: Header=BB6_14082 Depth=3
	v_cmp_eq_u16_sdwa s74, v111, v62 src0_sel:BYTE_0 src1_sel:DWORD
	s_mov_b32 s16, -1
	s_and_saveexec_b32 s73, s74
; %bb.14315:                            ;   in Loop: Header=BB6_14082 Depth=3
	s_xor_b32 s16, exec_lo, -1
; %bb.14316:                            ;   in Loop: Header=BB6_14082 Depth=3
	s_or_b32 exec_lo, exec_lo, s73
	s_and_b32 s16, s16, exec_lo
	s_or_saveexec_b32 s23, s23
	v_mov_b32_e32 v46, 0x7f800001
	s_xor_b32 exec_lo, exec_lo, s23
	s_cbranch_execnz .LBB6_15285
.LBB6_14317:                            ;   in Loop: Header=BB6_14082 Depth=3
	s_or_b32 exec_lo, exec_lo, s23
	s_and_saveexec_b32 s23, s16
	s_cbranch_execz .LBB6_14319
.LBB6_14318:                            ;   in Loop: Header=BB6_14082 Depth=3
	v_and_b32_e32 v86, 7, v111
	v_lshrrev_b16 v46, 3, v111
	v_lshlrev_b32_e32 v74, 24, v111
	v_ffbh_u32_e32 v87, v86
	v_and_b32_e32 v46, 15, v46
	v_min_u32_e32 v87, 32, v87
	v_cmp_eq_u32_e32 vcc_lo, 0, v46
	v_subrev_nc_u32_e32 v60, 28, v87
	v_sub_nc_u32_e32 v87, 29, v87
	v_lshlrev_b32_e32 v60, v60, v111
	v_cndmask_b32_e32 v87, v46, v87, vcc_lo
	v_and_b32_e32 v46, 0x80000000, v74
	v_and_b32_e32 v60, 7, v60
	v_lshl_add_u32 v87, v87, 23, 0x3b800000
	v_cndmask_b32_e32 v86, v86, v60, vcc_lo
	v_lshlrev_b32_e32 v86, 20, v86
	v_or3_b32 v46, v46, v87, v86
.LBB6_14319:                            ;   in Loop: Header=BB6_14082 Depth=3
	s_or_b32 exec_lo, exec_lo, s23
	s_waitcnt vmcnt(25) lgkmcnt(25)
	v_cmp_gt_i16_sdwa s23, v49, v61 src0_sel:BYTE_0 src1_sel:DWORD
	s_mov_b32 s16, 0
	s_and_saveexec_b32 s73, s23
	s_xor_b32 s23, exec_lo, s73
	s_cbranch_execz .LBB6_15286
; %bb.14320:                            ;   in Loop: Header=BB6_14082 Depth=3
	v_cmp_eq_u16_sdwa s74, v49, v62 src0_sel:BYTE_0 src1_sel:DWORD
	s_mov_b32 s16, -1
	s_and_saveexec_b32 s73, s74
; %bb.14321:                            ;   in Loop: Header=BB6_14082 Depth=3
	s_xor_b32 s16, exec_lo, -1
; %bb.14322:                            ;   in Loop: Header=BB6_14082 Depth=3
	s_or_b32 exec_lo, exec_lo, s73
	s_and_b32 s16, s16, exec_lo
	s_or_saveexec_b32 s23, s23
	v_mov_b32_e32 v86, 0x7f800001
	s_xor_b32 exec_lo, exec_lo, s23
	s_cbranch_execnz .LBB6_15287
.LBB6_14323:                            ;   in Loop: Header=BB6_14082 Depth=3
	s_or_b32 exec_lo, exec_lo, s23
	s_and_saveexec_b32 s23, s16
	s_cbranch_execz .LBB6_14325
.LBB6_14324:                            ;   in Loop: Header=BB6_14082 Depth=3
	v_and_b32_e32 v86, 7, v49
	v_lshrrev_b16 v60, 3, v49
	v_ffbh_u32_e32 v87, v86
	v_and_b32_e32 v60, 15, v60
	v_min_u32_e32 v87, 32, v87
	v_cmp_eq_u32_e32 vcc_lo, 0, v60
	v_subrev_nc_u32_e32 v74, 28, v87
	v_sub_nc_u32_e32 v87, 29, v87
	v_lshlrev_b32_e32 v74, v74, v49
	v_lshlrev_b32_e32 v49, 24, v49
	v_cndmask_b32_e32 v87, v60, v87, vcc_lo
	v_and_b32_e32 v74, 7, v74
	v_and_b32_e32 v49, 0x80000000, v49
	v_lshl_add_u32 v87, v87, 23, 0x3b800000
	v_cndmask_b32_e32 v86, v86, v74, vcc_lo
	v_lshlrev_b32_e32 v86, 20, v86
	v_or3_b32 v86, v49, v87, v86
.LBB6_14325:                            ;   in Loop: Header=BB6_14082 Depth=3
	s_or_b32 exec_lo, exec_lo, s23
	v_max_f32_e32 v49, v86, v86
	v_max_f32_e32 v86, v46, v46
	v_min_f32_e32 v46, v86, v49
.LBB6_14326:                            ;   in Loop: Header=BB6_14082 Depth=3
	s_waitcnt vmcnt(25) lgkmcnt(25)
	v_and_b32_e32 v49, 0x7f800000, v46
	v_cmp_ne_u32_e32 vcc_lo, 0x7f800000, v49
	v_mov_b32_e32 v49, 0x80
	s_and_saveexec_b32 s23, vcc_lo
	s_cbranch_execz .LBB6_14334
; %bb.14327:                            ;   in Loop: Header=BB6_14082 Depth=3
	v_mov_b32_e32 v49, 0
	s_mov_b32 s73, exec_lo
	v_cmpx_ne_u32_e32 0, v46
	s_cbranch_execz .LBB6_14333
; %bb.14328:                            ;   in Loop: Header=BB6_14082 Depth=3
	v_bfe_u32 v86, v46, 23, 8
	v_and_b32_e32 v49, 0x7fffff, v46
                                        ; implicit-def: $vgpr88
	v_cmp_gt_u32_e64 s16, 0x79, v86
	v_sub_nc_u32_e32 v87, 0x78, v86
	v_cmp_eq_u32_e32 vcc_lo, 0, v86
	v_or_b32_e32 v60, 0x800000, v49
	v_cndmask_b32_e64 v87, 0, v87, s16
	v_cndmask_b32_e32 v49, v60, v49, vcc_lo
	v_cndmask_b32_e64 v87, v87, 0x77, vcc_lo
	v_lshl_add_u32 v60, 0x100000, v87, -1
	v_lshlrev_b32_e64 v74, v87, 0x80000
	v_and_b32_e32 v60, v60, v49
	v_cmp_eq_u32_e64 s16, v60, v74
	v_lshrrev_b32_e32 v74, v87, v49
	v_add_nc_u32_e32 v49, 0xffffff89, v86
	v_lshrrev_b32_e32 v86, 23, v74
	v_cndmask_b32_e64 v49, v49, 0xffffff8a, vcc_lo
	v_xor_b32_e32 v60, 1, v86
	v_bfe_u32 v86, v74, 20, 1
	v_add_nc_u32_e32 v49, v87, v49
	v_add_nc_u32_e32 v86, -1, v86
	v_cndmask_b32_e64 v86, 0, v86, s16
	s_mov_b32 s16, exec_lo
	v_add_nc_u32_e32 v86, v86, v74
	v_and_b32_e32 v86, 0xfffff, v86
	v_add_nc_u32_e32 v74, v86, v74
	v_cmpx_ne_u32_e64 v49, v60
	s_xor_b32 s16, exec_lo, s16
; %bb.14329:                            ;   in Loop: Header=BB6_14082 Depth=3
	v_cmp_lt_u32_e32 vcc_lo, 0xffffff, v74
	v_sub_nc_u32_e32 v49, v49, v60
	v_cndmask_b32_e64 v86, 0, 1, vcc_lo
	v_add_co_ci_u32_e64 v88, null, 0, v49, vcc_lo
	v_lshrrev_b32_e32 v74, v86, v74
; %bb.14330:                            ;   in Loop: Header=BB6_14082 Depth=3
	s_andn2_saveexec_b32 s16, s16
; %bb.14331:                            ;   in Loop: Header=BB6_14082 Depth=3
	v_bfe_u32 v88, v74, 23, 1
; %bb.14332:                            ;   in Loop: Header=BB6_14082 Depth=3
	s_or_b32 exec_lo, exec_lo, s16
	v_lshrrev_b32_e32 v86, 20, v74
	v_cmp_gt_i32_e32 vcc_lo, 16, v88
	v_min_i32_e32 v87, 15, v88
	v_and_b32_sdwa v49, v46, v62 dst_sel:DWORD dst_unused:UNUSED_PAD src0_sel:BYTE_3 src1_sel:DWORD
	v_cndmask_b32_e32 v86, 7, v86, vcc_lo
	v_lshlrev_b32_e32 v87, 3, v87
	v_or_b32_e32 v46, v88, v86
	v_and_b32_e32 v86, 7, v86
	v_cmp_ne_u32_e32 vcc_lo, 0, v46
	v_or3_b32 v49, v87, v49, v86
	v_cndmask_b32_e32 v49, 0, v49, vcc_lo
.LBB6_14333:                            ;   in Loop: Header=BB6_14082 Depth=3
	s_or_b32 exec_lo, exec_lo, s73
.LBB6_14334:                            ;   in Loop: Header=BB6_14082 Depth=3
	s_or_b32 exec_lo, exec_lo, s23
	s_mov_b32 s16, -1
	s_andn2_b32 vcc_lo, exec_lo, s19
                                        ; implicit-def: $vgpr46
	s_cbranch_vccnz .LBB6_14348
; %bb.14335:                            ;   in Loop: Header=BB6_14082 Depth=3
	v_cmp_gt_i16_sdwa s23, v99, v61 src0_sel:BYTE_0 src1_sel:DWORD
	s_mov_b32 s16, 0
	s_and_saveexec_b32 s73, s23
	s_xor_b32 s23, exec_lo, s73
	s_cbranch_execz .LBB6_15288
; %bb.14336:                            ;   in Loop: Header=BB6_14082 Depth=3
	v_cmp_eq_u16_sdwa s74, v99, v62 src0_sel:BYTE_0 src1_sel:DWORD
	s_mov_b32 s16, -1
	s_and_saveexec_b32 s73, s74
; %bb.14337:                            ;   in Loop: Header=BB6_14082 Depth=3
	s_xor_b32 s16, exec_lo, -1
; %bb.14338:                            ;   in Loop: Header=BB6_14082 Depth=3
	s_or_b32 exec_lo, exec_lo, s73
	s_and_b32 s16, s16, exec_lo
	s_or_saveexec_b32 s23, s23
	v_mov_b32_e32 v46, 0x7f800001
	s_xor_b32 exec_lo, exec_lo, s23
	s_cbranch_execnz .LBB6_15289
.LBB6_14339:                            ;   in Loop: Header=BB6_14082 Depth=3
	s_or_b32 exec_lo, exec_lo, s23
	s_and_saveexec_b32 s23, s16
	s_cbranch_execz .LBB6_14341
.LBB6_14340:                            ;   in Loop: Header=BB6_14082 Depth=3
	v_and_b32_e32 v86, 7, v99
	v_lshrrev_b16 v46, 3, v99
	v_lshlrev_b32_e32 v74, 24, v99
	v_ffbh_u32_e32 v87, v86
	v_and_b32_e32 v46, 15, v46
	v_min_u32_e32 v87, 32, v87
	v_cmp_eq_u32_e32 vcc_lo, 0, v46
	v_subrev_nc_u32_e32 v60, 28, v87
	v_sub_nc_u32_e32 v87, 29, v87
	v_lshlrev_b32_e32 v60, v60, v99
	v_cndmask_b32_e32 v87, v46, v87, vcc_lo
	v_and_b32_e32 v46, 0x80000000, v74
	v_and_b32_e32 v60, 7, v60
	v_lshl_add_u32 v87, v87, 23, 0x3b800000
	v_cndmask_b32_e32 v86, v86, v60, vcc_lo
	v_lshlrev_b32_e32 v86, 20, v86
	v_or3_b32 v46, v46, v87, v86
.LBB6_14341:                            ;   in Loop: Header=BB6_14082 Depth=3
	s_or_b32 exec_lo, exec_lo, s23
	s_waitcnt vmcnt(24) lgkmcnt(24)
	v_cmp_gt_i16_sdwa s23, v51, v61 src0_sel:BYTE_0 src1_sel:DWORD
	s_mov_b32 s16, 0
	s_and_saveexec_b32 s73, s23
	s_xor_b32 s23, exec_lo, s73
	s_cbranch_execz .LBB6_15290
; %bb.14342:                            ;   in Loop: Header=BB6_14082 Depth=3
	v_cmp_eq_u16_sdwa s74, v51, v62 src0_sel:BYTE_0 src1_sel:DWORD
	s_mov_b32 s16, -1
	s_and_saveexec_b32 s73, s74
; %bb.14343:                            ;   in Loop: Header=BB6_14082 Depth=3
	s_xor_b32 s16, exec_lo, -1
; %bb.14344:                            ;   in Loop: Header=BB6_14082 Depth=3
	s_or_b32 exec_lo, exec_lo, s73
	s_and_b32 s16, s16, exec_lo
	s_or_saveexec_b32 s23, s23
	v_mov_b32_e32 v86, 0x7f800001
	s_xor_b32 exec_lo, exec_lo, s23
	s_cbranch_execnz .LBB6_15291
.LBB6_14345:                            ;   in Loop: Header=BB6_14082 Depth=3
	s_or_b32 exec_lo, exec_lo, s23
	s_and_saveexec_b32 s23, s16
	s_cbranch_execz .LBB6_14347
.LBB6_14346:                            ;   in Loop: Header=BB6_14082 Depth=3
	v_and_b32_e32 v86, 7, v51
	v_lshrrev_b16 v60, 3, v51
	v_lshlrev_b32_e32 v88, 24, v51
	v_ffbh_u32_e32 v87, v86
	v_and_b32_e32 v60, 15, v60
	v_min_u32_e32 v87, 32, v87
	v_cmp_eq_u32_e32 vcc_lo, 0, v60
	v_subrev_nc_u32_e32 v74, 28, v87
	v_sub_nc_u32_e32 v87, 29, v87
	v_lshlrev_b32_e32 v74, v74, v51
	v_cndmask_b32_e32 v87, v60, v87, vcc_lo
	v_and_b32_e32 v60, 0x80000000, v88
	v_and_b32_e32 v74, 7, v74
	v_lshl_add_u32 v87, v87, 23, 0x3b800000
	v_cndmask_b32_e32 v86, v86, v74, vcc_lo
	v_lshlrev_b32_e32 v86, 20, v86
	v_or3_b32 v86, v60, v87, v86
.LBB6_14347:                            ;   in Loop: Header=BB6_14082 Depth=3
	s_or_b32 exec_lo, exec_lo, s23
	v_max_f32_e32 v86, v86, v86
	v_max_f32_e32 v87, v46, v46
	;; [unrolled: 1-line block ×3, first 2 shown]
	s_branch .LBB6_14362
.LBB6_14348:                            ;   in Loop: Header=BB6_14082 Depth=3
	s_and_b32 vcc_lo, exec_lo, s16
	s_cbranch_vccz .LBB6_14362
; %bb.14349:                            ;   in Loop: Header=BB6_14082 Depth=3
	v_cmp_gt_i16_sdwa s23, v99, v61 src0_sel:BYTE_0 src1_sel:DWORD
	s_mov_b32 s16, 0
	s_and_saveexec_b32 s73, s23
	s_xor_b32 s23, exec_lo, s73
	s_cbranch_execz .LBB6_15292
; %bb.14350:                            ;   in Loop: Header=BB6_14082 Depth=3
	v_cmp_eq_u16_sdwa s74, v99, v62 src0_sel:BYTE_0 src1_sel:DWORD
	s_mov_b32 s16, -1
	s_and_saveexec_b32 s73, s74
; %bb.14351:                            ;   in Loop: Header=BB6_14082 Depth=3
	s_xor_b32 s16, exec_lo, -1
; %bb.14352:                            ;   in Loop: Header=BB6_14082 Depth=3
	s_or_b32 exec_lo, exec_lo, s73
	s_and_b32 s16, s16, exec_lo
	s_or_saveexec_b32 s23, s23
	v_mov_b32_e32 v46, 0x7f800001
	s_xor_b32 exec_lo, exec_lo, s23
	s_cbranch_execnz .LBB6_15293
.LBB6_14353:                            ;   in Loop: Header=BB6_14082 Depth=3
	s_or_b32 exec_lo, exec_lo, s23
	s_and_saveexec_b32 s23, s16
	s_cbranch_execz .LBB6_14355
.LBB6_14354:                            ;   in Loop: Header=BB6_14082 Depth=3
	v_and_b32_e32 v86, 7, v99
	v_lshrrev_b16 v46, 3, v99
	v_ffbh_u32_e32 v87, v86
	v_and_b32_e32 v46, 15, v46
	v_min_u32_e32 v87, 32, v87
	v_cmp_eq_u32_e32 vcc_lo, 0, v46
	v_subrev_nc_u32_e32 v60, 28, v87
	v_sub_nc_u32_e32 v87, 29, v87
	v_lshlrev_b32_e32 v60, v60, v99
	v_lshlrev_b32_e32 v99, 24, v99
	v_cndmask_b32_e32 v87, v46, v87, vcc_lo
	v_and_b32_e32 v60, 7, v60
	v_and_b32_e32 v99, 0x80000000, v99
	v_lshl_add_u32 v87, v87, 23, 0x3b800000
	v_cndmask_b32_e32 v86, v86, v60, vcc_lo
	v_lshlrev_b32_e32 v86, 20, v86
	v_or3_b32 v46, v99, v87, v86
.LBB6_14355:                            ;   in Loop: Header=BB6_14082 Depth=3
	s_or_b32 exec_lo, exec_lo, s23
	s_waitcnt vmcnt(24) lgkmcnt(24)
	v_cmp_gt_i16_sdwa s23, v51, v61 src0_sel:BYTE_0 src1_sel:DWORD
	s_mov_b32 s16, 0
	s_and_saveexec_b32 s73, s23
	s_xor_b32 s23, exec_lo, s73
	s_cbranch_execz .LBB6_15294
; %bb.14356:                            ;   in Loop: Header=BB6_14082 Depth=3
	v_cmp_eq_u16_sdwa s74, v51, v62 src0_sel:BYTE_0 src1_sel:DWORD
	s_mov_b32 s16, -1
	s_and_saveexec_b32 s73, s74
; %bb.14357:                            ;   in Loop: Header=BB6_14082 Depth=3
	s_xor_b32 s16, exec_lo, -1
; %bb.14358:                            ;   in Loop: Header=BB6_14082 Depth=3
	s_or_b32 exec_lo, exec_lo, s73
	s_and_b32 s16, s16, exec_lo
	s_or_saveexec_b32 s23, s23
	v_mov_b32_e32 v86, 0x7f800001
	s_xor_b32 exec_lo, exec_lo, s23
	s_cbranch_execnz .LBB6_15295
.LBB6_14359:                            ;   in Loop: Header=BB6_14082 Depth=3
	s_or_b32 exec_lo, exec_lo, s23
	s_and_saveexec_b32 s23, s16
	s_cbranch_execz .LBB6_14361
.LBB6_14360:                            ;   in Loop: Header=BB6_14082 Depth=3
	v_and_b32_e32 v86, 7, v51
	v_lshrrev_b16 v99, 3, v51
	v_ffbh_u32_e32 v87, v86
	v_and_b32_e32 v99, 15, v99
	v_min_u32_e32 v87, 32, v87
	v_cmp_eq_u32_e32 vcc_lo, 0, v99
	v_subrev_nc_u32_e32 v60, 28, v87
	v_sub_nc_u32_e32 v87, 29, v87
	v_lshlrev_b32_e32 v60, v60, v51
	v_lshlrev_b32_e32 v51, 24, v51
	v_cndmask_b32_e32 v87, v99, v87, vcc_lo
	v_and_b32_e32 v60, 7, v60
	v_and_b32_e32 v51, 0x80000000, v51
	v_lshl_add_u32 v87, v87, 23, 0x3b800000
	v_cndmask_b32_e32 v86, v86, v60, vcc_lo
	v_lshlrev_b32_e32 v86, 20, v86
	v_or3_b32 v86, v51, v87, v86
.LBB6_14361:                            ;   in Loop: Header=BB6_14082 Depth=3
	s_or_b32 exec_lo, exec_lo, s23
	v_max_f32_e32 v51, v86, v86
	v_max_f32_e32 v86, v46, v46
	v_min_f32_e32 v46, v86, v51
.LBB6_14362:                            ;   in Loop: Header=BB6_14082 Depth=3
	s_waitcnt vmcnt(24) lgkmcnt(24)
	v_and_b32_e32 v51, 0x7f800000, v46
	v_cmp_ne_u32_e32 vcc_lo, 0x7f800000, v51
	v_mov_b32_e32 v51, 0x80
	s_and_saveexec_b32 s23, vcc_lo
	s_cbranch_execz .LBB6_14370
; %bb.14363:                            ;   in Loop: Header=BB6_14082 Depth=3
	v_mov_b32_e32 v51, 0
	s_mov_b32 s73, exec_lo
	v_cmpx_ne_u32_e32 0, v46
	s_cbranch_execz .LBB6_14369
; %bb.14364:                            ;   in Loop: Header=BB6_14082 Depth=3
	v_bfe_u32 v86, v46, 23, 8
	v_and_b32_e32 v51, 0x7fffff, v46
                                        ; implicit-def: $vgpr74
	v_cmp_gt_u32_e64 s16, 0x79, v86
	v_sub_nc_u32_e32 v87, 0x78, v86
	v_cmp_eq_u32_e32 vcc_lo, 0, v86
	v_or_b32_e32 v99, 0x800000, v51
	v_cndmask_b32_e64 v87, 0, v87, s16
	v_cndmask_b32_e32 v51, v99, v51, vcc_lo
	v_cndmask_b32_e64 v87, v87, 0x77, vcc_lo
	v_lshl_add_u32 v99, 0x100000, v87, -1
	v_lshlrev_b32_e64 v60, v87, 0x80000
	v_and_b32_e32 v99, v99, v51
	v_cmp_eq_u32_e64 s16, v99, v60
	v_lshrrev_b32_e32 v60, v87, v51
	v_add_nc_u32_e32 v51, 0xffffff89, v86
	v_lshrrev_b32_e32 v86, 23, v60
	v_cndmask_b32_e64 v51, v51, 0xffffff8a, vcc_lo
	v_xor_b32_e32 v99, 1, v86
	v_bfe_u32 v86, v60, 20, 1
	v_add_nc_u32_e32 v51, v87, v51
	v_add_nc_u32_e32 v86, -1, v86
	v_cndmask_b32_e64 v86, 0, v86, s16
	s_mov_b32 s16, exec_lo
	v_add_nc_u32_e32 v86, v86, v60
	v_and_b32_e32 v86, 0xfffff, v86
	v_add_nc_u32_e32 v60, v86, v60
	v_cmpx_ne_u32_e64 v51, v99
	s_xor_b32 s16, exec_lo, s16
; %bb.14365:                            ;   in Loop: Header=BB6_14082 Depth=3
	v_cmp_lt_u32_e32 vcc_lo, 0xffffff, v60
	v_sub_nc_u32_e32 v51, v51, v99
	v_cndmask_b32_e64 v86, 0, 1, vcc_lo
	v_add_co_ci_u32_e64 v74, null, 0, v51, vcc_lo
	v_lshrrev_b32_e32 v60, v86, v60
; %bb.14366:                            ;   in Loop: Header=BB6_14082 Depth=3
	s_andn2_saveexec_b32 s16, s16
; %bb.14367:                            ;   in Loop: Header=BB6_14082 Depth=3
	v_bfe_u32 v74, v60, 23, 1
; %bb.14368:                            ;   in Loop: Header=BB6_14082 Depth=3
	s_or_b32 exec_lo, exec_lo, s16
	v_lshrrev_b32_e32 v86, 20, v60
	v_cmp_gt_i32_e32 vcc_lo, 16, v74
	v_min_i32_e32 v87, 15, v74
	v_and_b32_sdwa v51, v46, v62 dst_sel:DWORD dst_unused:UNUSED_PAD src0_sel:BYTE_3 src1_sel:DWORD
	v_cndmask_b32_e32 v86, 7, v86, vcc_lo
	v_lshlrev_b32_e32 v87, 3, v87
	v_or_b32_e32 v99, v74, v86
	v_and_b32_e32 v86, 7, v86
	v_cmp_ne_u32_e32 vcc_lo, 0, v99
	v_or3_b32 v51, v87, v51, v86
	v_cndmask_b32_e32 v51, 0, v51, vcc_lo
.LBB6_14369:                            ;   in Loop: Header=BB6_14082 Depth=3
	s_or_b32 exec_lo, exec_lo, s73
.LBB6_14370:                            ;   in Loop: Header=BB6_14082 Depth=3
	s_or_b32 exec_lo, exec_lo, s23
	s_mov_b32 s16, -1
	s_andn2_b32 vcc_lo, exec_lo, s19
                                        ; implicit-def: $vgpr99
	s_cbranch_vccnz .LBB6_14384
; %bb.14371:                            ;   in Loop: Header=BB6_14082 Depth=3
	v_cmp_gt_i16_sdwa s23, v1, v61 src0_sel:BYTE_0 src1_sel:DWORD
	s_mov_b32 s16, 0
	s_and_saveexec_b32 s73, s23
	s_xor_b32 s23, exec_lo, s73
	s_cbranch_execz .LBB6_15296
; %bb.14372:                            ;   in Loop: Header=BB6_14082 Depth=3
	v_cmp_eq_u16_sdwa s74, v1, v62 src0_sel:BYTE_0 src1_sel:DWORD
	s_mov_b32 s16, -1
	s_and_saveexec_b32 s73, s74
; %bb.14373:                            ;   in Loop: Header=BB6_14082 Depth=3
	s_xor_b32 s16, exec_lo, -1
; %bb.14374:                            ;   in Loop: Header=BB6_14082 Depth=3
	s_or_b32 exec_lo, exec_lo, s73
	s_and_b32 s16, s16, exec_lo
	s_or_saveexec_b32 s23, s23
	v_mov_b32_e32 v99, 0x7f800001
	s_xor_b32 exec_lo, exec_lo, s23
	s_cbranch_execnz .LBB6_15297
.LBB6_14375:                            ;   in Loop: Header=BB6_14082 Depth=3
	s_or_b32 exec_lo, exec_lo, s23
	s_and_saveexec_b32 s23, s16
	s_cbranch_execz .LBB6_14377
.LBB6_14376:                            ;   in Loop: Header=BB6_14082 Depth=3
	v_and_b32_e32 v86, 7, v1
	v_lshrrev_b16 v99, 3, v1
	v_lshlrev_b32_e32 v60, 24, v1
	v_ffbh_u32_e32 v87, v86
	v_and_b32_e32 v99, 15, v99
	v_min_u32_e32 v87, 32, v87
	v_cmp_eq_u32_e32 vcc_lo, 0, v99
	v_subrev_nc_u32_e32 v46, 28, v87
	v_sub_nc_u32_e32 v87, 29, v87
	v_lshlrev_b32_e32 v46, v46, v1
	v_cndmask_b32_e32 v87, v99, v87, vcc_lo
	v_and_b32_e32 v99, 0x80000000, v60
	v_and_b32_e32 v46, 7, v46
	v_lshl_add_u32 v87, v87, 23, 0x3b800000
	v_cndmask_b32_e32 v86, v86, v46, vcc_lo
	v_lshlrev_b32_e32 v86, 20, v86
	v_or3_b32 v99, v99, v87, v86
.LBB6_14377:                            ;   in Loop: Header=BB6_14082 Depth=3
	s_or_b32 exec_lo, exec_lo, s23
	s_waitcnt vmcnt(23) lgkmcnt(23)
	v_cmp_gt_i16_sdwa s23, v98, v61 src0_sel:BYTE_0 src1_sel:DWORD
	s_mov_b32 s16, 0
	s_and_saveexec_b32 s73, s23
	s_xor_b32 s23, exec_lo, s73
	s_cbranch_execz .LBB6_15298
; %bb.14378:                            ;   in Loop: Header=BB6_14082 Depth=3
	v_cmp_eq_u16_sdwa s74, v98, v62 src0_sel:BYTE_0 src1_sel:DWORD
	s_mov_b32 s16, -1
	s_and_saveexec_b32 s73, s74
; %bb.14379:                            ;   in Loop: Header=BB6_14082 Depth=3
	s_xor_b32 s16, exec_lo, -1
; %bb.14380:                            ;   in Loop: Header=BB6_14082 Depth=3
	s_or_b32 exec_lo, exec_lo, s73
	s_and_b32 s16, s16, exec_lo
	s_or_saveexec_b32 s23, s23
	v_mov_b32_e32 v86, 0x7f800001
	s_xor_b32 exec_lo, exec_lo, s23
	s_cbranch_execnz .LBB6_15299
.LBB6_14381:                            ;   in Loop: Header=BB6_14082 Depth=3
	s_or_b32 exec_lo, exec_lo, s23
	s_and_saveexec_b32 s23, s16
	s_cbranch_execz .LBB6_14383
.LBB6_14382:                            ;   in Loop: Header=BB6_14082 Depth=3
	v_and_b32_e32 v86, 7, v98
	v_lshrrev_b16 v46, 3, v98
	v_lshlrev_b32_e32 v74, 24, v98
	v_ffbh_u32_e32 v87, v86
	v_and_b32_e32 v46, 15, v46
	v_min_u32_e32 v87, 32, v87
	v_cmp_eq_u32_e32 vcc_lo, 0, v46
	v_subrev_nc_u32_e32 v60, 28, v87
	v_sub_nc_u32_e32 v87, 29, v87
	v_lshlrev_b32_e32 v60, v60, v98
	v_cndmask_b32_e32 v87, v46, v87, vcc_lo
	v_and_b32_e32 v46, 0x80000000, v74
	v_and_b32_e32 v60, 7, v60
	v_lshl_add_u32 v87, v87, 23, 0x3b800000
	v_cndmask_b32_e32 v86, v86, v60, vcc_lo
	v_lshlrev_b32_e32 v86, 20, v86
	v_or3_b32 v86, v46, v87, v86
.LBB6_14383:                            ;   in Loop: Header=BB6_14082 Depth=3
	s_or_b32 exec_lo, exec_lo, s23
	v_max_f32_e32 v86, v86, v86
	v_max_f32_e32 v87, v99, v99
	;; [unrolled: 1-line block ×3, first 2 shown]
	s_branch .LBB6_14398
.LBB6_14384:                            ;   in Loop: Header=BB6_14082 Depth=3
	s_and_b32 vcc_lo, exec_lo, s16
	s_cbranch_vccz .LBB6_14398
; %bb.14385:                            ;   in Loop: Header=BB6_14082 Depth=3
	v_cmp_gt_i16_sdwa s23, v1, v61 src0_sel:BYTE_0 src1_sel:DWORD
	s_mov_b32 s16, 0
	s_and_saveexec_b32 s73, s23
	s_xor_b32 s23, exec_lo, s73
	s_cbranch_execz .LBB6_15300
; %bb.14386:                            ;   in Loop: Header=BB6_14082 Depth=3
	v_cmp_eq_u16_sdwa s74, v1, v62 src0_sel:BYTE_0 src1_sel:DWORD
	s_mov_b32 s16, -1
	s_and_saveexec_b32 s73, s74
; %bb.14387:                            ;   in Loop: Header=BB6_14082 Depth=3
	s_xor_b32 s16, exec_lo, -1
; %bb.14388:                            ;   in Loop: Header=BB6_14082 Depth=3
	s_or_b32 exec_lo, exec_lo, s73
	s_and_b32 s16, s16, exec_lo
	s_or_saveexec_b32 s23, s23
	v_mov_b32_e32 v99, 0x7f800001
	s_xor_b32 exec_lo, exec_lo, s23
	s_cbranch_execnz .LBB6_15301
.LBB6_14389:                            ;   in Loop: Header=BB6_14082 Depth=3
	s_or_b32 exec_lo, exec_lo, s23
	s_and_saveexec_b32 s23, s16
	s_cbranch_execz .LBB6_14391
.LBB6_14390:                            ;   in Loop: Header=BB6_14082 Depth=3
	v_and_b32_e32 v86, 7, v1
	v_lshrrev_b16 v99, 3, v1
	v_ffbh_u32_e32 v87, v86
	v_and_b32_e32 v99, 15, v99
	v_min_u32_e32 v87, 32, v87
	v_cmp_eq_u32_e32 vcc_lo, 0, v99
	v_subrev_nc_u32_e32 v46, 28, v87
	v_sub_nc_u32_e32 v87, 29, v87
	v_lshlrev_b32_e32 v46, v46, v1
	v_lshlrev_b32_e32 v1, 24, v1
	v_cndmask_b32_e32 v87, v99, v87, vcc_lo
	v_and_b32_e32 v46, 7, v46
	v_and_b32_e32 v1, 0x80000000, v1
	v_lshl_add_u32 v87, v87, 23, 0x3b800000
	v_cndmask_b32_e32 v86, v86, v46, vcc_lo
	v_lshlrev_b32_e32 v86, 20, v86
	v_or3_b32 v99, v1, v87, v86
.LBB6_14391:                            ;   in Loop: Header=BB6_14082 Depth=3
	s_or_b32 exec_lo, exec_lo, s23
	s_waitcnt vmcnt(23) lgkmcnt(23)
	v_cmp_gt_i16_sdwa s23, v98, v61 src0_sel:BYTE_0 src1_sel:DWORD
	s_mov_b32 s16, 0
	s_and_saveexec_b32 s73, s23
	s_xor_b32 s23, exec_lo, s73
	s_cbranch_execz .LBB6_15302
; %bb.14392:                            ;   in Loop: Header=BB6_14082 Depth=3
	v_cmp_eq_u16_sdwa s74, v98, v62 src0_sel:BYTE_0 src1_sel:DWORD
	s_mov_b32 s16, -1
	s_and_saveexec_b32 s73, s74
; %bb.14393:                            ;   in Loop: Header=BB6_14082 Depth=3
	s_xor_b32 s16, exec_lo, -1
; %bb.14394:                            ;   in Loop: Header=BB6_14082 Depth=3
	s_or_b32 exec_lo, exec_lo, s73
	s_and_b32 s16, s16, exec_lo
	s_or_saveexec_b32 s23, s23
	v_mov_b32_e32 v1, 0x7f800001
	s_xor_b32 exec_lo, exec_lo, s23
	s_cbranch_execnz .LBB6_15303
.LBB6_14395:                            ;   in Loop: Header=BB6_14082 Depth=3
	s_or_b32 exec_lo, exec_lo, s23
	s_and_saveexec_b32 s23, s16
	s_cbranch_execz .LBB6_14397
.LBB6_14396:                            ;   in Loop: Header=BB6_14082 Depth=3
	v_and_b32_e32 v1, 7, v98
	v_lshrrev_b16 v87, 3, v98
	v_ffbh_u32_e32 v86, v1
	v_and_b32_e32 v87, 15, v87
	v_min_u32_e32 v86, 32, v86
	v_cmp_eq_u32_e32 vcc_lo, 0, v87
	v_subrev_nc_u32_e32 v46, 28, v86
	v_sub_nc_u32_e32 v86, 29, v86
	v_lshlrev_b32_e32 v46, v46, v98
	v_lshlrev_b32_e32 v98, 24, v98
	v_cndmask_b32_e32 v86, v87, v86, vcc_lo
	v_and_b32_e32 v46, 7, v46
	v_and_b32_e32 v87, 0x80000000, v98
	v_lshl_add_u32 v86, v86, 23, 0x3b800000
	v_cndmask_b32_e32 v1, v1, v46, vcc_lo
	v_lshlrev_b32_e32 v1, 20, v1
	v_or3_b32 v1, v87, v86, v1
.LBB6_14397:                            ;   in Loop: Header=BB6_14082 Depth=3
	s_or_b32 exec_lo, exec_lo, s23
	v_max_f32_e32 v1, v1, v1
	v_max_f32_e32 v86, v99, v99
	v_min_f32_e32 v99, v86, v1
.LBB6_14398:                            ;   in Loop: Header=BB6_14082 Depth=3
	v_and_b32_e32 v1, 0x7f800000, v99
	v_cmp_ne_u32_e32 vcc_lo, 0x7f800000, v1
	v_mov_b32_e32 v1, 0x80
	s_and_saveexec_b32 s23, vcc_lo
	s_cbranch_execz .LBB6_14406
; %bb.14399:                            ;   in Loop: Header=BB6_14082 Depth=3
	v_mov_b32_e32 v1, 0
	s_mov_b32 s73, exec_lo
	v_cmpx_ne_u32_e32 0, v99
	s_cbranch_execz .LBB6_14405
; %bb.14400:                            ;   in Loop: Header=BB6_14082 Depth=3
	v_bfe_u32 v86, v99, 23, 8
	v_and_b32_e32 v1, 0x7fffff, v99
                                        ; implicit-def: $vgpr60
	v_cmp_gt_u32_e64 s16, 0x79, v86
	v_sub_nc_u32_e32 v87, 0x78, v86
	v_cmp_eq_u32_e32 vcc_lo, 0, v86
	s_waitcnt vmcnt(23) lgkmcnt(23)
	v_or_b32_e32 v98, 0x800000, v1
	v_cndmask_b32_e64 v87, 0, v87, s16
	v_cndmask_b32_e32 v1, v98, v1, vcc_lo
	v_cndmask_b32_e64 v87, v87, 0x77, vcc_lo
	v_lshl_add_u32 v98, 0x100000, v87, -1
	v_lshlrev_b32_e64 v46, v87, 0x80000
	v_and_b32_e32 v98, v98, v1
	v_cmp_eq_u32_e64 s16, v98, v46
	v_lshrrev_b32_e32 v46, v87, v1
	v_add_nc_u32_e32 v1, 0xffffff89, v86
	v_lshrrev_b32_e32 v86, 23, v46
	v_cndmask_b32_e64 v1, v1, 0xffffff8a, vcc_lo
	v_xor_b32_e32 v98, 1, v86
	v_bfe_u32 v86, v46, 20, 1
	v_add_nc_u32_e32 v1, v87, v1
	v_add_nc_u32_e32 v86, -1, v86
	v_cndmask_b32_e64 v86, 0, v86, s16
	s_mov_b32 s16, exec_lo
	v_add_nc_u32_e32 v86, v86, v46
	v_and_b32_e32 v86, 0xfffff, v86
	v_add_nc_u32_e32 v46, v86, v46
	v_cmpx_ne_u32_e64 v1, v98
	s_xor_b32 s16, exec_lo, s16
; %bb.14401:                            ;   in Loop: Header=BB6_14082 Depth=3
	v_cmp_lt_u32_e32 vcc_lo, 0xffffff, v46
	v_sub_nc_u32_e32 v1, v1, v98
	v_cndmask_b32_e64 v86, 0, 1, vcc_lo
	v_add_co_ci_u32_e64 v60, null, 0, v1, vcc_lo
	v_lshrrev_b32_e32 v46, v86, v46
; %bb.14402:                            ;   in Loop: Header=BB6_14082 Depth=3
	s_andn2_saveexec_b32 s16, s16
; %bb.14403:                            ;   in Loop: Header=BB6_14082 Depth=3
	v_bfe_u32 v60, v46, 23, 1
; %bb.14404:                            ;   in Loop: Header=BB6_14082 Depth=3
	s_or_b32 exec_lo, exec_lo, s16
	v_lshrrev_b32_e32 v86, 20, v46
	v_cmp_gt_i32_e32 vcc_lo, 16, v60
	v_min_i32_e32 v87, 15, v60
	v_and_b32_sdwa v1, v99, v62 dst_sel:DWORD dst_unused:UNUSED_PAD src0_sel:BYTE_3 src1_sel:DWORD
	v_cndmask_b32_e32 v86, 7, v86, vcc_lo
	v_lshlrev_b32_e32 v87, 3, v87
	v_or_b32_e32 v98, v60, v86
	v_and_b32_e32 v86, 7, v86
	v_cmp_ne_u32_e32 vcc_lo, 0, v98
	v_or3_b32 v1, v87, v1, v86
	v_cndmask_b32_e32 v1, 0, v1, vcc_lo
.LBB6_14405:                            ;   in Loop: Header=BB6_14082 Depth=3
	s_or_b32 exec_lo, exec_lo, s73
.LBB6_14406:                            ;   in Loop: Header=BB6_14082 Depth=3
	s_or_b32 exec_lo, exec_lo, s23
	s_mov_b32 s16, -1
	s_andn2_b32 vcc_lo, exec_lo, s19
                                        ; implicit-def: $vgpr98
	s_cbranch_vccnz .LBB6_14420
; %bb.14407:                            ;   in Loop: Header=BB6_14082 Depth=3
	v_cmp_gt_i16_sdwa s23, v82, v61 src0_sel:BYTE_0 src1_sel:DWORD
	s_mov_b32 s16, 0
	s_and_saveexec_b32 s73, s23
	s_xor_b32 s23, exec_lo, s73
	s_cbranch_execz .LBB6_15304
; %bb.14408:                            ;   in Loop: Header=BB6_14082 Depth=3
	v_cmp_eq_u16_sdwa s74, v82, v62 src0_sel:BYTE_0 src1_sel:DWORD
	s_mov_b32 s16, -1
	s_and_saveexec_b32 s73, s74
; %bb.14409:                            ;   in Loop: Header=BB6_14082 Depth=3
	s_xor_b32 s16, exec_lo, -1
; %bb.14410:                            ;   in Loop: Header=BB6_14082 Depth=3
	s_or_b32 exec_lo, exec_lo, s73
	s_and_b32 s16, s16, exec_lo
	s_or_saveexec_b32 s23, s23
	s_waitcnt vmcnt(23) lgkmcnt(23)
	v_mov_b32_e32 v98, 0x7f800001
	s_xor_b32 exec_lo, exec_lo, s23
	s_cbranch_execnz .LBB6_15305
.LBB6_14411:                            ;   in Loop: Header=BB6_14082 Depth=3
	s_or_b32 exec_lo, exec_lo, s23
	s_and_saveexec_b32 s23, s16
	s_cbranch_execz .LBB6_14413
.LBB6_14412:                            ;   in Loop: Header=BB6_14082 Depth=3
	v_and_b32_e32 v86, 7, v82
	v_lshrrev_b16 v98, 3, v82
	v_lshlrev_b32_e32 v46, 24, v82
	v_ffbh_u32_e32 v87, v86
	v_and_b32_e32 v98, 15, v98
	v_min_u32_e32 v87, 32, v87
	v_cmp_eq_u32_e32 vcc_lo, 0, v98
	v_subrev_nc_u32_e32 v99, 28, v87
	v_sub_nc_u32_e32 v87, 29, v87
	v_lshlrev_b32_e32 v99, v99, v82
	v_cndmask_b32_e32 v87, v98, v87, vcc_lo
	v_and_b32_e32 v98, 0x80000000, v46
	v_and_b32_e32 v99, 7, v99
	v_lshl_add_u32 v87, v87, 23, 0x3b800000
	v_cndmask_b32_e32 v86, v86, v99, vcc_lo
	v_lshlrev_b32_e32 v86, 20, v86
	v_or3_b32 v98, v98, v87, v86
.LBB6_14413:                            ;   in Loop: Header=BB6_14082 Depth=3
	s_or_b32 exec_lo, exec_lo, s23
	s_waitcnt vmcnt(22) lgkmcnt(22)
	v_cmp_gt_i16_sdwa s23, v110, v61 src0_sel:BYTE_0 src1_sel:DWORD
	s_mov_b32 s16, 0
	s_and_saveexec_b32 s73, s23
	s_xor_b32 s23, exec_lo, s73
	s_cbranch_execz .LBB6_15306
; %bb.14414:                            ;   in Loop: Header=BB6_14082 Depth=3
	v_cmp_eq_u16_sdwa s74, v110, v62 src0_sel:BYTE_0 src1_sel:DWORD
	s_mov_b32 s16, -1
	s_and_saveexec_b32 s73, s74
; %bb.14415:                            ;   in Loop: Header=BB6_14082 Depth=3
	s_xor_b32 s16, exec_lo, -1
; %bb.14416:                            ;   in Loop: Header=BB6_14082 Depth=3
	s_or_b32 exec_lo, exec_lo, s73
	s_and_b32 s16, s16, exec_lo
	s_or_saveexec_b32 s23, s23
	v_mov_b32_e32 v86, 0x7f800001
	s_xor_b32 exec_lo, exec_lo, s23
	s_cbranch_execnz .LBB6_15307
.LBB6_14417:                            ;   in Loop: Header=BB6_14082 Depth=3
	s_or_b32 exec_lo, exec_lo, s23
	s_and_saveexec_b32 s23, s16
	s_cbranch_execz .LBB6_14419
.LBB6_14418:                            ;   in Loop: Header=BB6_14082 Depth=3
	v_and_b32_e32 v86, 7, v110
	v_lshrrev_b16 v99, 3, v110
	v_lshlrev_b32_e32 v60, 24, v110
	v_ffbh_u32_e32 v87, v86
	v_and_b32_e32 v99, 15, v99
	v_min_u32_e32 v87, 32, v87
	v_cmp_eq_u32_e32 vcc_lo, 0, v99
	v_subrev_nc_u32_e32 v46, 28, v87
	v_sub_nc_u32_e32 v87, 29, v87
	v_lshlrev_b32_e32 v46, v46, v110
	v_cndmask_b32_e32 v87, v99, v87, vcc_lo
	v_and_b32_e32 v99, 0x80000000, v60
	v_and_b32_e32 v46, 7, v46
	v_lshl_add_u32 v87, v87, 23, 0x3b800000
	v_cndmask_b32_e32 v86, v86, v46, vcc_lo
	v_lshlrev_b32_e32 v86, 20, v86
	v_or3_b32 v86, v99, v87, v86
.LBB6_14419:                            ;   in Loop: Header=BB6_14082 Depth=3
	s_or_b32 exec_lo, exec_lo, s23
	v_max_f32_e32 v86, v86, v86
	v_max_f32_e32 v87, v98, v98
	;; [unrolled: 1-line block ×3, first 2 shown]
	s_branch .LBB6_14434
.LBB6_14420:                            ;   in Loop: Header=BB6_14082 Depth=3
	s_and_b32 vcc_lo, exec_lo, s16
	s_cbranch_vccz .LBB6_14434
; %bb.14421:                            ;   in Loop: Header=BB6_14082 Depth=3
	v_cmp_gt_i16_sdwa s23, v82, v61 src0_sel:BYTE_0 src1_sel:DWORD
	s_mov_b32 s16, 0
	s_and_saveexec_b32 s73, s23
	s_xor_b32 s23, exec_lo, s73
	s_cbranch_execz .LBB6_15308
; %bb.14422:                            ;   in Loop: Header=BB6_14082 Depth=3
	v_cmp_eq_u16_sdwa s74, v82, v62 src0_sel:BYTE_0 src1_sel:DWORD
	s_mov_b32 s16, -1
	s_and_saveexec_b32 s73, s74
; %bb.14423:                            ;   in Loop: Header=BB6_14082 Depth=3
	s_xor_b32 s16, exec_lo, -1
; %bb.14424:                            ;   in Loop: Header=BB6_14082 Depth=3
	s_or_b32 exec_lo, exec_lo, s73
	s_and_b32 s16, s16, exec_lo
	s_or_saveexec_b32 s23, s23
	s_waitcnt vmcnt(23) lgkmcnt(23)
	v_mov_b32_e32 v98, 0x7f800001
	s_xor_b32 exec_lo, exec_lo, s23
	s_cbranch_execnz .LBB6_15309
.LBB6_14425:                            ;   in Loop: Header=BB6_14082 Depth=3
	s_or_b32 exec_lo, exec_lo, s23
	s_and_saveexec_b32 s23, s16
	s_cbranch_execz .LBB6_14427
.LBB6_14426:                            ;   in Loop: Header=BB6_14082 Depth=3
	v_and_b32_e32 v86, 7, v82
	v_lshrrev_b16 v98, 3, v82
	v_ffbh_u32_e32 v87, v86
	v_and_b32_e32 v98, 15, v98
	v_min_u32_e32 v87, 32, v87
	v_cmp_eq_u32_e32 vcc_lo, 0, v98
	v_subrev_nc_u32_e32 v99, 28, v87
	v_sub_nc_u32_e32 v87, 29, v87
	v_lshlrev_b32_e32 v99, v99, v82
	v_lshlrev_b32_e32 v82, 24, v82
	v_cndmask_b32_e32 v87, v98, v87, vcc_lo
	v_and_b32_e32 v99, 7, v99
	v_and_b32_e32 v82, 0x80000000, v82
	v_lshl_add_u32 v87, v87, 23, 0x3b800000
	v_cndmask_b32_e32 v86, v86, v99, vcc_lo
	v_lshlrev_b32_e32 v86, 20, v86
	v_or3_b32 v98, v82, v87, v86
.LBB6_14427:                            ;   in Loop: Header=BB6_14082 Depth=3
	s_or_b32 exec_lo, exec_lo, s23
	s_waitcnt vmcnt(22) lgkmcnt(22)
	v_cmp_gt_i16_sdwa s23, v110, v61 src0_sel:BYTE_0 src1_sel:DWORD
	s_mov_b32 s16, 0
	s_and_saveexec_b32 s73, s23
	s_xor_b32 s23, exec_lo, s73
	s_cbranch_execz .LBB6_15310
; %bb.14428:                            ;   in Loop: Header=BB6_14082 Depth=3
	v_cmp_eq_u16_sdwa s74, v110, v62 src0_sel:BYTE_0 src1_sel:DWORD
	s_mov_b32 s16, -1
	s_and_saveexec_b32 s73, s74
; %bb.14429:                            ;   in Loop: Header=BB6_14082 Depth=3
	s_xor_b32 s16, exec_lo, -1
; %bb.14430:                            ;   in Loop: Header=BB6_14082 Depth=3
	s_or_b32 exec_lo, exec_lo, s73
	s_and_b32 s16, s16, exec_lo
	s_or_saveexec_b32 s23, s23
	v_mov_b32_e32 v82, 0x7f800001
	s_xor_b32 exec_lo, exec_lo, s23
	s_cbranch_execnz .LBB6_15311
.LBB6_14431:                            ;   in Loop: Header=BB6_14082 Depth=3
	s_or_b32 exec_lo, exec_lo, s23
	s_and_saveexec_b32 s23, s16
	s_cbranch_execz .LBB6_14433
.LBB6_14432:                            ;   in Loop: Header=BB6_14082 Depth=3
	v_and_b32_e32 v82, 7, v110
	v_lshrrev_b16 v87, 3, v110
	v_lshlrev_b32_e32 v46, 24, v110
	v_ffbh_u32_e32 v86, v82
	v_and_b32_e32 v87, 15, v87
	v_min_u32_e32 v86, 32, v86
	v_cmp_eq_u32_e32 vcc_lo, 0, v87
	v_subrev_nc_u32_e32 v99, 28, v86
	v_sub_nc_u32_e32 v86, 29, v86
	v_lshlrev_b32_e32 v99, v99, v110
	v_cndmask_b32_e32 v86, v87, v86, vcc_lo
	v_and_b32_e32 v87, 0x80000000, v46
	v_and_b32_e32 v99, 7, v99
	v_lshl_add_u32 v86, v86, 23, 0x3b800000
	v_cndmask_b32_e32 v82, v82, v99, vcc_lo
	v_lshlrev_b32_e32 v82, 20, v82
	v_or3_b32 v82, v87, v86, v82
.LBB6_14433:                            ;   in Loop: Header=BB6_14082 Depth=3
	s_or_b32 exec_lo, exec_lo, s23
	v_max_f32_e32 v82, v82, v82
	v_max_f32_e32 v86, v98, v98
	v_min_f32_e32 v98, v86, v82
.LBB6_14434:                            ;   in Loop: Header=BB6_14082 Depth=3
	s_waitcnt vmcnt(23) lgkmcnt(23)
	v_and_b32_e32 v82, 0x7f800000, v98
	v_cmp_ne_u32_e32 vcc_lo, 0x7f800000, v82
	v_mov_b32_e32 v82, 0x80
	s_and_saveexec_b32 s23, vcc_lo
	s_cbranch_execz .LBB6_14442
; %bb.14435:                            ;   in Loop: Header=BB6_14082 Depth=3
	v_mov_b32_e32 v82, 0
	s_mov_b32 s73, exec_lo
	v_cmpx_ne_u32_e32 0, v98
	s_cbranch_execz .LBB6_14441
; %bb.14436:                            ;   in Loop: Header=BB6_14082 Depth=3
	v_bfe_u32 v86, v98, 23, 8
	v_and_b32_e32 v82, 0x7fffff, v98
                                        ; implicit-def: $vgpr60
	v_cmp_gt_u32_e64 s16, 0x79, v86
	v_sub_nc_u32_e32 v87, 0x78, v86
	v_cmp_eq_u32_e32 vcc_lo, 0, v86
	v_or_b32_e32 v99, 0x800000, v82
	v_cndmask_b32_e64 v87, 0, v87, s16
	v_cndmask_b32_e32 v82, v99, v82, vcc_lo
	v_cndmask_b32_e64 v87, v87, 0x77, vcc_lo
	v_lshl_add_u32 v99, 0x100000, v87, -1
	v_lshlrev_b32_e64 v46, v87, 0x80000
	v_and_b32_e32 v99, v99, v82
	v_cmp_eq_u32_e64 s16, v99, v46
	v_lshrrev_b32_e32 v46, v87, v82
	v_add_nc_u32_e32 v82, 0xffffff89, v86
	v_lshrrev_b32_e32 v86, 23, v46
	v_cndmask_b32_e64 v82, v82, 0xffffff8a, vcc_lo
	v_xor_b32_e32 v99, 1, v86
	v_bfe_u32 v86, v46, 20, 1
	v_add_nc_u32_e32 v82, v87, v82
	v_add_nc_u32_e32 v86, -1, v86
	v_cndmask_b32_e64 v86, 0, v86, s16
	s_mov_b32 s16, exec_lo
	v_add_nc_u32_e32 v86, v86, v46
	v_and_b32_e32 v86, 0xfffff, v86
	v_add_nc_u32_e32 v46, v86, v46
	v_cmpx_ne_u32_e64 v82, v99
	s_xor_b32 s16, exec_lo, s16
; %bb.14437:                            ;   in Loop: Header=BB6_14082 Depth=3
	v_cmp_lt_u32_e32 vcc_lo, 0xffffff, v46
	v_sub_nc_u32_e32 v82, v82, v99
	v_cndmask_b32_e64 v86, 0, 1, vcc_lo
	v_add_co_ci_u32_e64 v60, null, 0, v82, vcc_lo
	v_lshrrev_b32_e32 v46, v86, v46
; %bb.14438:                            ;   in Loop: Header=BB6_14082 Depth=3
	s_andn2_saveexec_b32 s16, s16
; %bb.14439:                            ;   in Loop: Header=BB6_14082 Depth=3
	v_bfe_u32 v60, v46, 23, 1
; %bb.14440:                            ;   in Loop: Header=BB6_14082 Depth=3
	s_or_b32 exec_lo, exec_lo, s16
	v_lshrrev_b32_e32 v86, 20, v46
	v_cmp_gt_i32_e32 vcc_lo, 16, v60
	v_min_i32_e32 v87, 15, v60
	v_and_b32_sdwa v82, v98, v62 dst_sel:DWORD dst_unused:UNUSED_PAD src0_sel:BYTE_3 src1_sel:DWORD
	v_cndmask_b32_e32 v86, 7, v86, vcc_lo
	v_lshlrev_b32_e32 v87, 3, v87
	v_or_b32_e32 v98, v60, v86
	v_and_b32_e32 v86, 7, v86
	v_cmp_ne_u32_e32 vcc_lo, 0, v98
	v_or3_b32 v82, v87, v82, v86
	v_cndmask_b32_e32 v82, 0, v82, vcc_lo
.LBB6_14441:                            ;   in Loop: Header=BB6_14082 Depth=3
	s_or_b32 exec_lo, exec_lo, s73
.LBB6_14442:                            ;   in Loop: Header=BB6_14082 Depth=3
	s_or_b32 exec_lo, exec_lo, s23
	s_mov_b32 s16, -1
	s_andn2_b32 vcc_lo, exec_lo, s19
                                        ; implicit-def: $vgpr98
	s_cbranch_vccnz .LBB6_14456
; %bb.14443:                            ;   in Loop: Header=BB6_14082 Depth=3
	v_cmp_gt_i16_sdwa s23, v85, v61 src0_sel:BYTE_0 src1_sel:DWORD
	s_mov_b32 s16, 0
	s_and_saveexec_b32 s73, s23
	s_xor_b32 s23, exec_lo, s73
	s_cbranch_execz .LBB6_15312
; %bb.14444:                            ;   in Loop: Header=BB6_14082 Depth=3
	v_cmp_eq_u16_sdwa s74, v85, v62 src0_sel:BYTE_0 src1_sel:DWORD
	s_mov_b32 s16, -1
	s_and_saveexec_b32 s73, s74
; %bb.14445:                            ;   in Loop: Header=BB6_14082 Depth=3
	s_xor_b32 s16, exec_lo, -1
; %bb.14446:                            ;   in Loop: Header=BB6_14082 Depth=3
	s_or_b32 exec_lo, exec_lo, s73
	s_and_b32 s16, s16, exec_lo
	s_or_saveexec_b32 s23, s23
	v_mov_b32_e32 v98, 0x7f800001
	s_xor_b32 exec_lo, exec_lo, s23
	s_cbranch_execnz .LBB6_15313
.LBB6_14447:                            ;   in Loop: Header=BB6_14082 Depth=3
	s_or_b32 exec_lo, exec_lo, s23
	s_and_saveexec_b32 s23, s16
	s_cbranch_execz .LBB6_14449
.LBB6_14448:                            ;   in Loop: Header=BB6_14082 Depth=3
	v_and_b32_e32 v86, 7, v85
	v_lshrrev_b16 v98, 3, v85
	v_lshlrev_b32_e32 v46, 24, v85
	v_ffbh_u32_e32 v87, v86
	v_and_b32_e32 v98, 15, v98
	v_min_u32_e32 v87, 32, v87
	v_cmp_eq_u32_e32 vcc_lo, 0, v98
	v_subrev_nc_u32_e32 v99, 28, v87
	v_sub_nc_u32_e32 v87, 29, v87
	v_lshlrev_b32_e32 v99, v99, v85
	v_cndmask_b32_e32 v87, v98, v87, vcc_lo
	v_and_b32_e32 v98, 0x80000000, v46
	v_and_b32_e32 v99, 7, v99
	v_lshl_add_u32 v87, v87, 23, 0x3b800000
	v_cndmask_b32_e32 v86, v86, v99, vcc_lo
	v_lshlrev_b32_e32 v86, 20, v86
	v_or3_b32 v98, v98, v87, v86
.LBB6_14449:                            ;   in Loop: Header=BB6_14082 Depth=3
	s_or_b32 exec_lo, exec_lo, s23
	s_waitcnt vmcnt(21) lgkmcnt(21)
	v_cmp_gt_i16_sdwa s23, v109, v61 src0_sel:BYTE_0 src1_sel:DWORD
	s_mov_b32 s16, 0
	s_and_saveexec_b32 s73, s23
	s_xor_b32 s23, exec_lo, s73
	s_cbranch_execz .LBB6_15314
; %bb.14450:                            ;   in Loop: Header=BB6_14082 Depth=3
	v_cmp_eq_u16_sdwa s74, v109, v62 src0_sel:BYTE_0 src1_sel:DWORD
	s_mov_b32 s16, -1
	s_and_saveexec_b32 s73, s74
; %bb.14451:                            ;   in Loop: Header=BB6_14082 Depth=3
	s_xor_b32 s16, exec_lo, -1
; %bb.14452:                            ;   in Loop: Header=BB6_14082 Depth=3
	s_or_b32 exec_lo, exec_lo, s73
	s_and_b32 s16, s16, exec_lo
	s_or_saveexec_b32 s23, s23
	v_mov_b32_e32 v86, 0x7f800001
	s_xor_b32 exec_lo, exec_lo, s23
	s_cbranch_execnz .LBB6_15315
.LBB6_14453:                            ;   in Loop: Header=BB6_14082 Depth=3
	s_or_b32 exec_lo, exec_lo, s23
	s_and_saveexec_b32 s23, s16
	s_cbranch_execz .LBB6_14455
.LBB6_14454:                            ;   in Loop: Header=BB6_14082 Depth=3
	v_and_b32_e32 v86, 7, v109
	v_lshrrev_b16 v99, 3, v109
	v_lshlrev_b32_e32 v60, 24, v109
	v_ffbh_u32_e32 v87, v86
	v_and_b32_e32 v99, 15, v99
	v_min_u32_e32 v87, 32, v87
	v_cmp_eq_u32_e32 vcc_lo, 0, v99
	v_subrev_nc_u32_e32 v46, 28, v87
	v_sub_nc_u32_e32 v87, 29, v87
	v_lshlrev_b32_e32 v46, v46, v109
	v_cndmask_b32_e32 v87, v99, v87, vcc_lo
	v_and_b32_e32 v99, 0x80000000, v60
	v_and_b32_e32 v46, 7, v46
	v_lshl_add_u32 v87, v87, 23, 0x3b800000
	v_cndmask_b32_e32 v86, v86, v46, vcc_lo
	v_lshlrev_b32_e32 v86, 20, v86
	v_or3_b32 v86, v99, v87, v86
.LBB6_14455:                            ;   in Loop: Header=BB6_14082 Depth=3
	s_or_b32 exec_lo, exec_lo, s23
	v_max_f32_e32 v86, v86, v86
	v_max_f32_e32 v87, v98, v98
	;; [unrolled: 1-line block ×3, first 2 shown]
	s_branch .LBB6_14470
.LBB6_14456:                            ;   in Loop: Header=BB6_14082 Depth=3
	s_and_b32 vcc_lo, exec_lo, s16
	s_cbranch_vccz .LBB6_14470
; %bb.14457:                            ;   in Loop: Header=BB6_14082 Depth=3
	v_cmp_gt_i16_sdwa s23, v85, v61 src0_sel:BYTE_0 src1_sel:DWORD
	s_mov_b32 s16, 0
	s_and_saveexec_b32 s73, s23
	s_xor_b32 s23, exec_lo, s73
	s_cbranch_execz .LBB6_15316
; %bb.14458:                            ;   in Loop: Header=BB6_14082 Depth=3
	v_cmp_eq_u16_sdwa s74, v85, v62 src0_sel:BYTE_0 src1_sel:DWORD
	s_mov_b32 s16, -1
	s_and_saveexec_b32 s73, s74
; %bb.14459:                            ;   in Loop: Header=BB6_14082 Depth=3
	s_xor_b32 s16, exec_lo, -1
; %bb.14460:                            ;   in Loop: Header=BB6_14082 Depth=3
	s_or_b32 exec_lo, exec_lo, s73
	s_and_b32 s16, s16, exec_lo
	s_or_saveexec_b32 s23, s23
	v_mov_b32_e32 v98, 0x7f800001
	s_xor_b32 exec_lo, exec_lo, s23
	s_cbranch_execnz .LBB6_15317
.LBB6_14461:                            ;   in Loop: Header=BB6_14082 Depth=3
	s_or_b32 exec_lo, exec_lo, s23
	s_and_saveexec_b32 s23, s16
	s_cbranch_execz .LBB6_14463
.LBB6_14462:                            ;   in Loop: Header=BB6_14082 Depth=3
	v_and_b32_e32 v86, 7, v85
	v_lshrrev_b16 v98, 3, v85
	v_ffbh_u32_e32 v87, v86
	v_and_b32_e32 v98, 15, v98
	v_min_u32_e32 v87, 32, v87
	v_cmp_eq_u32_e32 vcc_lo, 0, v98
	v_subrev_nc_u32_e32 v99, 28, v87
	v_sub_nc_u32_e32 v87, 29, v87
	v_lshlrev_b32_e32 v99, v99, v85
	v_lshlrev_b32_e32 v85, 24, v85
	v_cndmask_b32_e32 v87, v98, v87, vcc_lo
	v_and_b32_e32 v99, 7, v99
	v_and_b32_e32 v85, 0x80000000, v85
	v_lshl_add_u32 v87, v87, 23, 0x3b800000
	v_cndmask_b32_e32 v86, v86, v99, vcc_lo
	v_lshlrev_b32_e32 v86, 20, v86
	v_or3_b32 v98, v85, v87, v86
.LBB6_14463:                            ;   in Loop: Header=BB6_14082 Depth=3
	s_or_b32 exec_lo, exec_lo, s23
	s_waitcnt vmcnt(21) lgkmcnt(21)
	v_cmp_gt_i16_sdwa s23, v109, v61 src0_sel:BYTE_0 src1_sel:DWORD
	s_mov_b32 s16, 0
	s_and_saveexec_b32 s73, s23
	s_xor_b32 s23, exec_lo, s73
	s_cbranch_execz .LBB6_15318
; %bb.14464:                            ;   in Loop: Header=BB6_14082 Depth=3
	v_cmp_eq_u16_sdwa s74, v109, v62 src0_sel:BYTE_0 src1_sel:DWORD
	s_mov_b32 s16, -1
	s_and_saveexec_b32 s73, s74
; %bb.14465:                            ;   in Loop: Header=BB6_14082 Depth=3
	s_xor_b32 s16, exec_lo, -1
; %bb.14466:                            ;   in Loop: Header=BB6_14082 Depth=3
	s_or_b32 exec_lo, exec_lo, s73
	s_and_b32 s16, s16, exec_lo
	s_or_saveexec_b32 s23, s23
	v_mov_b32_e32 v85, 0x7f800001
	s_xor_b32 exec_lo, exec_lo, s23
	s_cbranch_execnz .LBB6_15319
.LBB6_14467:                            ;   in Loop: Header=BB6_14082 Depth=3
	s_or_b32 exec_lo, exec_lo, s23
	s_and_saveexec_b32 s23, s16
	s_cbranch_execz .LBB6_14469
.LBB6_14468:                            ;   in Loop: Header=BB6_14082 Depth=3
	v_and_b32_e32 v85, 7, v109
	v_lshrrev_b16 v87, 3, v109
	v_lshlrev_b32_e32 v46, 24, v109
	v_ffbh_u32_e32 v86, v85
	v_and_b32_e32 v87, 15, v87
	v_min_u32_e32 v86, 32, v86
	v_cmp_eq_u32_e32 vcc_lo, 0, v87
	v_subrev_nc_u32_e32 v99, 28, v86
	v_sub_nc_u32_e32 v86, 29, v86
	v_lshlrev_b32_e32 v99, v99, v109
	v_cndmask_b32_e32 v86, v87, v86, vcc_lo
	v_and_b32_e32 v87, 0x80000000, v46
	v_and_b32_e32 v99, 7, v99
	v_lshl_add_u32 v86, v86, 23, 0x3b800000
	v_cndmask_b32_e32 v85, v85, v99, vcc_lo
	v_lshlrev_b32_e32 v85, 20, v85
	v_or3_b32 v85, v87, v86, v85
.LBB6_14469:                            ;   in Loop: Header=BB6_14082 Depth=3
	s_or_b32 exec_lo, exec_lo, s23
	v_max_f32_e32 v85, v85, v85
	v_max_f32_e32 v86, v98, v98
	v_min_f32_e32 v98, v86, v85
.LBB6_14470:                            ;   in Loop: Header=BB6_14082 Depth=3
	v_and_b32_e32 v85, 0x7f800000, v98
	v_cmp_ne_u32_e32 vcc_lo, 0x7f800000, v85
	v_mov_b32_e32 v85, 0x80
	s_and_saveexec_b32 s23, vcc_lo
	s_cbranch_execz .LBB6_14478
; %bb.14471:                            ;   in Loop: Header=BB6_14082 Depth=3
	v_mov_b32_e32 v85, 0
	s_mov_b32 s73, exec_lo
	v_cmpx_ne_u32_e32 0, v98
	s_cbranch_execz .LBB6_14477
; %bb.14472:                            ;   in Loop: Header=BB6_14082 Depth=3
	v_bfe_u32 v86, v98, 23, 8
	v_and_b32_e32 v85, 0x7fffff, v98
                                        ; implicit-def: $vgpr60
	v_cmp_gt_u32_e64 s16, 0x79, v86
	v_sub_nc_u32_e32 v87, 0x78, v86
	v_cmp_eq_u32_e32 vcc_lo, 0, v86
	v_or_b32_e32 v99, 0x800000, v85
	v_cndmask_b32_e64 v87, 0, v87, s16
	v_cndmask_b32_e32 v85, v99, v85, vcc_lo
	v_cndmask_b32_e64 v87, v87, 0x77, vcc_lo
	v_lshl_add_u32 v99, 0x100000, v87, -1
	v_lshlrev_b32_e64 v46, v87, 0x80000
	v_and_b32_e32 v99, v99, v85
	v_cmp_eq_u32_e64 s16, v99, v46
	v_lshrrev_b32_e32 v46, v87, v85
	v_add_nc_u32_e32 v85, 0xffffff89, v86
	v_lshrrev_b32_e32 v86, 23, v46
	v_cndmask_b32_e64 v85, v85, 0xffffff8a, vcc_lo
	v_xor_b32_e32 v99, 1, v86
	v_bfe_u32 v86, v46, 20, 1
	v_add_nc_u32_e32 v85, v87, v85
	v_add_nc_u32_e32 v86, -1, v86
	v_cndmask_b32_e64 v86, 0, v86, s16
	s_mov_b32 s16, exec_lo
	v_add_nc_u32_e32 v86, v86, v46
	v_and_b32_e32 v86, 0xfffff, v86
	v_add_nc_u32_e32 v46, v86, v46
	v_cmpx_ne_u32_e64 v85, v99
	s_xor_b32 s16, exec_lo, s16
; %bb.14473:                            ;   in Loop: Header=BB6_14082 Depth=3
	v_cmp_lt_u32_e32 vcc_lo, 0xffffff, v46
	v_sub_nc_u32_e32 v85, v85, v99
	v_cndmask_b32_e64 v86, 0, 1, vcc_lo
	v_add_co_ci_u32_e64 v60, null, 0, v85, vcc_lo
	v_lshrrev_b32_e32 v46, v86, v46
; %bb.14474:                            ;   in Loop: Header=BB6_14082 Depth=3
	s_andn2_saveexec_b32 s16, s16
; %bb.14475:                            ;   in Loop: Header=BB6_14082 Depth=3
	v_bfe_u32 v60, v46, 23, 1
; %bb.14476:                            ;   in Loop: Header=BB6_14082 Depth=3
	s_or_b32 exec_lo, exec_lo, s16
	v_lshrrev_b32_e32 v86, 20, v46
	v_cmp_gt_i32_e32 vcc_lo, 16, v60
	v_min_i32_e32 v87, 15, v60
	v_and_b32_sdwa v85, v98, v62 dst_sel:DWORD dst_unused:UNUSED_PAD src0_sel:BYTE_3 src1_sel:DWORD
	v_cndmask_b32_e32 v86, 7, v86, vcc_lo
	v_lshlrev_b32_e32 v87, 3, v87
	v_or_b32_e32 v98, v60, v86
	v_and_b32_e32 v86, 7, v86
	v_cmp_ne_u32_e32 vcc_lo, 0, v98
	v_or3_b32 v85, v87, v85, v86
	v_cndmask_b32_e32 v85, 0, v85, vcc_lo
.LBB6_14477:                            ;   in Loop: Header=BB6_14082 Depth=3
	s_or_b32 exec_lo, exec_lo, s73
.LBB6_14478:                            ;   in Loop: Header=BB6_14082 Depth=3
	s_or_b32 exec_lo, exec_lo, s23
	s_mov_b32 s16, -1
	s_andn2_b32 vcc_lo, exec_lo, s19
                                        ; implicit-def: $vgpr98
	s_cbranch_vccnz .LBB6_14492
; %bb.14479:                            ;   in Loop: Header=BB6_14082 Depth=3
	v_cmp_gt_i16_sdwa s23, v112, v61 src0_sel:BYTE_0 src1_sel:DWORD
	s_mov_b32 s16, 0
	s_and_saveexec_b32 s73, s23
	s_xor_b32 s23, exec_lo, s73
	s_cbranch_execz .LBB6_15320
; %bb.14480:                            ;   in Loop: Header=BB6_14082 Depth=3
	v_cmp_eq_u16_sdwa s74, v112, v62 src0_sel:BYTE_0 src1_sel:DWORD
	s_mov_b32 s16, -1
	s_and_saveexec_b32 s73, s74
; %bb.14481:                            ;   in Loop: Header=BB6_14082 Depth=3
	s_xor_b32 s16, exec_lo, -1
; %bb.14482:                            ;   in Loop: Header=BB6_14082 Depth=3
	s_or_b32 exec_lo, exec_lo, s73
	s_and_b32 s16, s16, exec_lo
	s_or_saveexec_b32 s23, s23
	v_mov_b32_e32 v98, 0x7f800001
	s_xor_b32 exec_lo, exec_lo, s23
	s_cbranch_execnz .LBB6_15321
.LBB6_14483:                            ;   in Loop: Header=BB6_14082 Depth=3
	s_or_b32 exec_lo, exec_lo, s23
	s_and_saveexec_b32 s23, s16
	s_cbranch_execz .LBB6_14485
.LBB6_14484:                            ;   in Loop: Header=BB6_14082 Depth=3
	v_and_b32_e32 v86, 7, v112
	v_lshrrev_b16 v98, 3, v112
	v_lshlrev_b32_e32 v46, 24, v112
	v_ffbh_u32_e32 v87, v86
	v_and_b32_e32 v98, 15, v98
	v_min_u32_e32 v87, 32, v87
	v_cmp_eq_u32_e32 vcc_lo, 0, v98
	v_subrev_nc_u32_e32 v99, 28, v87
	v_sub_nc_u32_e32 v87, 29, v87
	v_lshlrev_b32_e32 v99, v99, v112
	v_cndmask_b32_e32 v87, v98, v87, vcc_lo
	v_and_b32_e32 v98, 0x80000000, v46
	v_and_b32_e32 v99, 7, v99
	v_lshl_add_u32 v87, v87, 23, 0x3b800000
	v_cndmask_b32_e32 v86, v86, v99, vcc_lo
	v_lshlrev_b32_e32 v86, 20, v86
	v_or3_b32 v98, v98, v87, v86
.LBB6_14485:                            ;   in Loop: Header=BB6_14082 Depth=3
	s_or_b32 exec_lo, exec_lo, s23
	s_waitcnt vmcnt(20) lgkmcnt(20)
	v_cmp_gt_i16_sdwa s23, v108, v61 src0_sel:BYTE_0 src1_sel:DWORD
	s_mov_b32 s16, 0
	s_and_saveexec_b32 s73, s23
	s_xor_b32 s23, exec_lo, s73
	s_cbranch_execz .LBB6_15322
; %bb.14486:                            ;   in Loop: Header=BB6_14082 Depth=3
	v_cmp_eq_u16_sdwa s74, v108, v62 src0_sel:BYTE_0 src1_sel:DWORD
	s_mov_b32 s16, -1
	s_and_saveexec_b32 s73, s74
; %bb.14487:                            ;   in Loop: Header=BB6_14082 Depth=3
	s_xor_b32 s16, exec_lo, -1
; %bb.14488:                            ;   in Loop: Header=BB6_14082 Depth=3
	s_or_b32 exec_lo, exec_lo, s73
	s_and_b32 s16, s16, exec_lo
	s_or_saveexec_b32 s23, s23
	v_mov_b32_e32 v86, 0x7f800001
	s_xor_b32 exec_lo, exec_lo, s23
	s_cbranch_execnz .LBB6_15323
.LBB6_14489:                            ;   in Loop: Header=BB6_14082 Depth=3
	s_or_b32 exec_lo, exec_lo, s23
	s_and_saveexec_b32 s23, s16
	s_cbranch_execz .LBB6_14491
.LBB6_14490:                            ;   in Loop: Header=BB6_14082 Depth=3
	v_and_b32_e32 v86, 7, v108
	v_lshrrev_b16 v99, 3, v108
	v_lshlrev_b32_e32 v60, 24, v108
	v_ffbh_u32_e32 v87, v86
	v_and_b32_e32 v99, 15, v99
	v_min_u32_e32 v87, 32, v87
	v_cmp_eq_u32_e32 vcc_lo, 0, v99
	v_subrev_nc_u32_e32 v46, 28, v87
	v_sub_nc_u32_e32 v87, 29, v87
	v_lshlrev_b32_e32 v46, v46, v108
	v_cndmask_b32_e32 v87, v99, v87, vcc_lo
	v_and_b32_e32 v99, 0x80000000, v60
	v_and_b32_e32 v46, 7, v46
	v_lshl_add_u32 v87, v87, 23, 0x3b800000
	v_cndmask_b32_e32 v86, v86, v46, vcc_lo
	v_lshlrev_b32_e32 v86, 20, v86
	v_or3_b32 v86, v99, v87, v86
.LBB6_14491:                            ;   in Loop: Header=BB6_14082 Depth=3
	s_or_b32 exec_lo, exec_lo, s23
	v_max_f32_e32 v86, v86, v86
	v_max_f32_e32 v87, v98, v98
	;; [unrolled: 1-line block ×3, first 2 shown]
	s_branch .LBB6_14506
.LBB6_14492:                            ;   in Loop: Header=BB6_14082 Depth=3
	s_and_b32 vcc_lo, exec_lo, s16
	s_cbranch_vccz .LBB6_14506
; %bb.14493:                            ;   in Loop: Header=BB6_14082 Depth=3
	v_cmp_gt_i16_sdwa s23, v112, v61 src0_sel:BYTE_0 src1_sel:DWORD
	s_mov_b32 s16, 0
	s_and_saveexec_b32 s73, s23
	s_xor_b32 s23, exec_lo, s73
	s_cbranch_execz .LBB6_15324
; %bb.14494:                            ;   in Loop: Header=BB6_14082 Depth=3
	v_cmp_eq_u16_sdwa s74, v112, v62 src0_sel:BYTE_0 src1_sel:DWORD
	s_mov_b32 s16, -1
	s_and_saveexec_b32 s73, s74
; %bb.14495:                            ;   in Loop: Header=BB6_14082 Depth=3
	s_xor_b32 s16, exec_lo, -1
; %bb.14496:                            ;   in Loop: Header=BB6_14082 Depth=3
	s_or_b32 exec_lo, exec_lo, s73
	s_and_b32 s16, s16, exec_lo
	s_or_saveexec_b32 s23, s23
	v_mov_b32_e32 v98, 0x7f800001
	s_xor_b32 exec_lo, exec_lo, s23
	s_cbranch_execnz .LBB6_15325
.LBB6_14497:                            ;   in Loop: Header=BB6_14082 Depth=3
	s_or_b32 exec_lo, exec_lo, s23
	s_and_saveexec_b32 s23, s16
	s_cbranch_execz .LBB6_14499
.LBB6_14498:                            ;   in Loop: Header=BB6_14082 Depth=3
	v_and_b32_e32 v86, 7, v112
	v_lshrrev_b16 v98, 3, v112
	v_ffbh_u32_e32 v87, v86
	v_and_b32_e32 v98, 15, v98
	v_min_u32_e32 v87, 32, v87
	v_cmp_eq_u32_e32 vcc_lo, 0, v98
	v_subrev_nc_u32_e32 v99, 28, v87
	v_sub_nc_u32_e32 v87, 29, v87
	v_lshlrev_b32_e32 v99, v99, v112
	v_lshlrev_b32_e32 v112, 24, v112
	v_cndmask_b32_e32 v87, v98, v87, vcc_lo
	v_and_b32_e32 v99, 7, v99
	v_and_b32_e32 v98, 0x80000000, v112
	v_lshl_add_u32 v87, v87, 23, 0x3b800000
	v_cndmask_b32_e32 v86, v86, v99, vcc_lo
	v_lshlrev_b32_e32 v86, 20, v86
	v_or3_b32 v98, v98, v87, v86
.LBB6_14499:                            ;   in Loop: Header=BB6_14082 Depth=3
	s_or_b32 exec_lo, exec_lo, s23
	s_waitcnt vmcnt(20) lgkmcnt(20)
	v_cmp_gt_i16_sdwa s23, v108, v61 src0_sel:BYTE_0 src1_sel:DWORD
	s_mov_b32 s16, 0
	s_and_saveexec_b32 s73, s23
	s_xor_b32 s23, exec_lo, s73
	s_cbranch_execz .LBB6_15326
; %bb.14500:                            ;   in Loop: Header=BB6_14082 Depth=3
	v_cmp_eq_u16_sdwa s74, v108, v62 src0_sel:BYTE_0 src1_sel:DWORD
	s_mov_b32 s16, -1
	s_and_saveexec_b32 s73, s74
; %bb.14501:                            ;   in Loop: Header=BB6_14082 Depth=3
	s_xor_b32 s16, exec_lo, -1
; %bb.14502:                            ;   in Loop: Header=BB6_14082 Depth=3
	s_or_b32 exec_lo, exec_lo, s73
	s_and_b32 s16, s16, exec_lo
	s_or_saveexec_b32 s23, s23
	v_mov_b32_e32 v86, 0x7f800001
	s_xor_b32 exec_lo, exec_lo, s23
	s_cbranch_execnz .LBB6_15327
.LBB6_14503:                            ;   in Loop: Header=BB6_14082 Depth=3
	s_or_b32 exec_lo, exec_lo, s23
	s_and_saveexec_b32 s23, s16
	s_cbranch_execz .LBB6_14505
.LBB6_14504:                            ;   in Loop: Header=BB6_14082 Depth=3
	v_and_b32_e32 v86, 7, v108
	v_lshrrev_b16 v99, 3, v108
	v_lshlrev_b32_e32 v46, 24, v108
	v_ffbh_u32_e32 v87, v86
	v_and_b32_e32 v99, 15, v99
	v_min_u32_e32 v87, 32, v87
	v_cmp_eq_u32_e32 vcc_lo, 0, v99
	v_subrev_nc_u32_e32 v112, 28, v87
	v_sub_nc_u32_e32 v87, 29, v87
	v_lshlrev_b32_e32 v112, v112, v108
	v_cndmask_b32_e32 v87, v99, v87, vcc_lo
	v_and_b32_e32 v99, 0x80000000, v46
	v_and_b32_e32 v112, 7, v112
	v_lshl_add_u32 v87, v87, 23, 0x3b800000
	v_cndmask_b32_e32 v86, v86, v112, vcc_lo
	v_lshlrev_b32_e32 v86, 20, v86
	v_or3_b32 v86, v99, v87, v86
.LBB6_14505:                            ;   in Loop: Header=BB6_14082 Depth=3
	s_or_b32 exec_lo, exec_lo, s23
	v_max_f32_e32 v86, v86, v86
	v_max_f32_e32 v87, v98, v98
	v_min_f32_e32 v98, v87, v86
.LBB6_14506:                            ;   in Loop: Header=BB6_14082 Depth=3
	v_and_b32_e32 v86, 0x7f800000, v98
	v_mov_b32_e32 v112, 0x80
	s_mov_b32 s23, exec_lo
	v_cmpx_ne_u32_e32 0x7f800000, v86
	s_cbranch_execz .LBB6_14514
; %bb.14507:                            ;   in Loop: Header=BB6_14082 Depth=3
	v_mov_b32_e32 v112, 0
	s_mov_b32 s73, exec_lo
	v_cmpx_ne_u32_e32 0, v98
	s_cbranch_execz .LBB6_14513
; %bb.14508:                            ;   in Loop: Header=BB6_14082 Depth=3
	v_bfe_u32 v87, v98, 23, 8
	v_and_b32_e32 v86, 0x7fffff, v98
                                        ; implicit-def: $vgpr60
	v_cmp_gt_u32_e64 s16, 0x79, v87
	v_sub_nc_u32_e32 v99, 0x78, v87
	v_cmp_eq_u32_e32 vcc_lo, 0, v87
	v_or_b32_e32 v112, 0x800000, v86
	v_add_nc_u32_e32 v87, 0xffffff89, v87
	v_cndmask_b32_e64 v99, 0, v99, s16
	v_cndmask_b32_e32 v86, v112, v86, vcc_lo
	v_cndmask_b32_e64 v87, v87, 0xffffff8a, vcc_lo
	v_cndmask_b32_e64 v99, v99, 0x77, vcc_lo
	v_lshl_add_u32 v112, 0x100000, v99, -1
	v_lshlrev_b32_e64 v46, v99, 0x80000
	v_and_b32_e32 v112, v112, v86
	v_lshrrev_b32_e32 v86, v99, v86
	v_add_nc_u32_e32 v99, v99, v87
	v_cmp_eq_u32_e64 s16, v112, v46
	v_lshrrev_b32_e32 v87, 23, v86
	v_xor_b32_e32 v112, 1, v87
	v_bfe_u32 v87, v86, 20, 1
	v_add_nc_u32_e32 v87, -1, v87
	v_cndmask_b32_e64 v87, 0, v87, s16
	s_mov_b32 s16, exec_lo
	v_add_nc_u32_e32 v87, v87, v86
	v_and_b32_e32 v87, 0xfffff, v87
	v_add_nc_u32_e32 v46, v87, v86
	v_cmpx_ne_u32_e64 v99, v112
	s_xor_b32 s16, exec_lo, s16
; %bb.14509:                            ;   in Loop: Header=BB6_14082 Depth=3
	v_cmp_lt_u32_e32 vcc_lo, 0xffffff, v46
	v_sub_nc_u32_e32 v86, v99, v112
	v_cndmask_b32_e64 v87, 0, 1, vcc_lo
	v_add_co_ci_u32_e64 v60, null, 0, v86, vcc_lo
	v_lshrrev_b32_e32 v46, v87, v46
; %bb.14510:                            ;   in Loop: Header=BB6_14082 Depth=3
	s_andn2_saveexec_b32 s16, s16
; %bb.14511:                            ;   in Loop: Header=BB6_14082 Depth=3
	v_bfe_u32 v60, v46, 23, 1
; %bb.14512:                            ;   in Loop: Header=BB6_14082 Depth=3
	s_or_b32 exec_lo, exec_lo, s16
	v_lshrrev_b32_e32 v87, 20, v46
	v_cmp_gt_i32_e32 vcc_lo, 16, v60
	v_and_b32_sdwa v86, v98, v62 dst_sel:DWORD dst_unused:UNUSED_PAD src0_sel:BYTE_3 src1_sel:DWORD
	v_min_i32_e32 v98, 15, v60
	v_cndmask_b32_e32 v87, 7, v87, vcc_lo
	v_lshlrev_b32_e32 v98, 3, v98
	v_or_b32_e32 v99, v60, v87
	v_and_b32_e32 v87, 7, v87
	v_cmp_ne_u32_e32 vcc_lo, 0, v99
	v_or3_b32 v86, v98, v86, v87
	v_cndmask_b32_e32 v112, 0, v86, vcc_lo
.LBB6_14513:                            ;   in Loop: Header=BB6_14082 Depth=3
	s_or_b32 exec_lo, exec_lo, s73
.LBB6_14514:                            ;   in Loop: Header=BB6_14082 Depth=3
	s_or_b32 exec_lo, exec_lo, s23
	s_mov_b32 s16, -1
	s_andn2_b32 vcc_lo, exec_lo, s19
                                        ; implicit-def: $vgpr98
	s_cbranch_vccnz .LBB6_14528
; %bb.14515:                            ;   in Loop: Header=BB6_14082 Depth=3
	v_cmp_gt_i16_sdwa s23, v115, v61 src0_sel:BYTE_0 src1_sel:DWORD
	s_mov_b32 s16, 0
	s_and_saveexec_b32 s73, s23
	s_xor_b32 s23, exec_lo, s73
	s_cbranch_execz .LBB6_15328
; %bb.14516:                            ;   in Loop: Header=BB6_14082 Depth=3
	v_cmp_eq_u16_sdwa s74, v115, v62 src0_sel:BYTE_0 src1_sel:DWORD
	s_mov_b32 s16, -1
	s_and_saveexec_b32 s73, s74
; %bb.14517:                            ;   in Loop: Header=BB6_14082 Depth=3
	s_xor_b32 s16, exec_lo, -1
; %bb.14518:                            ;   in Loop: Header=BB6_14082 Depth=3
	s_or_b32 exec_lo, exec_lo, s73
	s_and_b32 s16, s16, exec_lo
	s_or_saveexec_b32 s23, s23
	v_mov_b32_e32 v98, 0x7f800001
	s_xor_b32 exec_lo, exec_lo, s23
	s_cbranch_execnz .LBB6_15329
.LBB6_14519:                            ;   in Loop: Header=BB6_14082 Depth=3
	s_or_b32 exec_lo, exec_lo, s23
	s_and_saveexec_b32 s23, s16
	s_cbranch_execz .LBB6_14521
.LBB6_14520:                            ;   in Loop: Header=BB6_14082 Depth=3
	v_and_b32_e32 v86, 7, v115
	v_lshrrev_b16 v98, 3, v115
	v_lshlrev_b32_e32 v46, 24, v115
	v_ffbh_u32_e32 v87, v86
	v_and_b32_e32 v98, 15, v98
	v_min_u32_e32 v87, 32, v87
	v_cmp_eq_u32_e32 vcc_lo, 0, v98
	v_subrev_nc_u32_e32 v99, 28, v87
	v_sub_nc_u32_e32 v87, 29, v87
	v_lshlrev_b32_e32 v99, v99, v115
	v_cndmask_b32_e32 v87, v98, v87, vcc_lo
	v_and_b32_e32 v98, 0x80000000, v46
	v_and_b32_e32 v99, 7, v99
	v_lshl_add_u32 v87, v87, 23, 0x3b800000
	v_cndmask_b32_e32 v86, v86, v99, vcc_lo
	v_lshlrev_b32_e32 v86, 20, v86
	v_or3_b32 v98, v98, v87, v86
.LBB6_14521:                            ;   in Loop: Header=BB6_14082 Depth=3
	s_or_b32 exec_lo, exec_lo, s23
	s_waitcnt vmcnt(19) lgkmcnt(19)
	v_cmp_gt_i16_sdwa s23, v107, v61 src0_sel:BYTE_0 src1_sel:DWORD
	s_mov_b32 s16, 0
	s_and_saveexec_b32 s73, s23
	s_xor_b32 s23, exec_lo, s73
	s_cbranch_execz .LBB6_15330
; %bb.14522:                            ;   in Loop: Header=BB6_14082 Depth=3
	v_cmp_eq_u16_sdwa s74, v107, v62 src0_sel:BYTE_0 src1_sel:DWORD
	s_mov_b32 s16, -1
	s_and_saveexec_b32 s73, s74
; %bb.14523:                            ;   in Loop: Header=BB6_14082 Depth=3
	s_xor_b32 s16, exec_lo, -1
; %bb.14524:                            ;   in Loop: Header=BB6_14082 Depth=3
	s_or_b32 exec_lo, exec_lo, s73
	s_and_b32 s16, s16, exec_lo
	s_or_saveexec_b32 s23, s23
	v_mov_b32_e32 v86, 0x7f800001
	s_xor_b32 exec_lo, exec_lo, s23
	s_cbranch_execnz .LBB6_15331
.LBB6_14525:                            ;   in Loop: Header=BB6_14082 Depth=3
	s_or_b32 exec_lo, exec_lo, s23
	s_and_saveexec_b32 s23, s16
	s_cbranch_execz .LBB6_14527
.LBB6_14526:                            ;   in Loop: Header=BB6_14082 Depth=3
	v_and_b32_e32 v86, 7, v107
	v_lshrrev_b16 v99, 3, v107
	v_lshlrev_b32_e32 v60, 24, v107
	v_ffbh_u32_e32 v87, v86
	v_and_b32_e32 v99, 15, v99
	v_min_u32_e32 v87, 32, v87
	v_cmp_eq_u32_e32 vcc_lo, 0, v99
	v_subrev_nc_u32_e32 v46, 28, v87
	v_sub_nc_u32_e32 v87, 29, v87
	v_lshlrev_b32_e32 v46, v46, v107
	v_cndmask_b32_e32 v87, v99, v87, vcc_lo
	v_and_b32_e32 v99, 0x80000000, v60
	v_and_b32_e32 v46, 7, v46
	v_lshl_add_u32 v87, v87, 23, 0x3b800000
	v_cndmask_b32_e32 v86, v86, v46, vcc_lo
	v_lshlrev_b32_e32 v86, 20, v86
	v_or3_b32 v86, v99, v87, v86
.LBB6_14527:                            ;   in Loop: Header=BB6_14082 Depth=3
	s_or_b32 exec_lo, exec_lo, s23
	v_max_f32_e32 v86, v86, v86
	v_max_f32_e32 v87, v98, v98
	;; [unrolled: 1-line block ×3, first 2 shown]
	s_branch .LBB6_14542
.LBB6_14528:                            ;   in Loop: Header=BB6_14082 Depth=3
	s_and_b32 vcc_lo, exec_lo, s16
	s_cbranch_vccz .LBB6_14542
; %bb.14529:                            ;   in Loop: Header=BB6_14082 Depth=3
	v_cmp_gt_i16_sdwa s23, v115, v61 src0_sel:BYTE_0 src1_sel:DWORD
	s_mov_b32 s16, 0
	s_and_saveexec_b32 s73, s23
	s_xor_b32 s23, exec_lo, s73
	s_cbranch_execz .LBB6_15332
; %bb.14530:                            ;   in Loop: Header=BB6_14082 Depth=3
	v_cmp_eq_u16_sdwa s74, v115, v62 src0_sel:BYTE_0 src1_sel:DWORD
	s_mov_b32 s16, -1
	s_and_saveexec_b32 s73, s74
; %bb.14531:                            ;   in Loop: Header=BB6_14082 Depth=3
	s_xor_b32 s16, exec_lo, -1
; %bb.14532:                            ;   in Loop: Header=BB6_14082 Depth=3
	s_or_b32 exec_lo, exec_lo, s73
	s_and_b32 s16, s16, exec_lo
	s_or_saveexec_b32 s23, s23
	v_mov_b32_e32 v98, 0x7f800001
	s_xor_b32 exec_lo, exec_lo, s23
	s_cbranch_execnz .LBB6_15333
.LBB6_14533:                            ;   in Loop: Header=BB6_14082 Depth=3
	s_or_b32 exec_lo, exec_lo, s23
	s_and_saveexec_b32 s23, s16
	s_cbranch_execz .LBB6_14535
.LBB6_14534:                            ;   in Loop: Header=BB6_14082 Depth=3
	v_and_b32_e32 v86, 7, v115
	v_lshrrev_b16 v98, 3, v115
	v_ffbh_u32_e32 v87, v86
	v_and_b32_e32 v98, 15, v98
	v_min_u32_e32 v87, 32, v87
	v_cmp_eq_u32_e32 vcc_lo, 0, v98
	v_subrev_nc_u32_e32 v99, 28, v87
	v_sub_nc_u32_e32 v87, 29, v87
	v_lshlrev_b32_e32 v99, v99, v115
	v_lshlrev_b32_e32 v115, 24, v115
	v_cndmask_b32_e32 v87, v98, v87, vcc_lo
	v_and_b32_e32 v99, 7, v99
	v_and_b32_e32 v98, 0x80000000, v115
	v_lshl_add_u32 v87, v87, 23, 0x3b800000
	v_cndmask_b32_e32 v86, v86, v99, vcc_lo
	v_lshlrev_b32_e32 v86, 20, v86
	v_or3_b32 v98, v98, v87, v86
.LBB6_14535:                            ;   in Loop: Header=BB6_14082 Depth=3
	s_or_b32 exec_lo, exec_lo, s23
	s_waitcnt vmcnt(19) lgkmcnt(19)
	v_cmp_gt_i16_sdwa s23, v107, v61 src0_sel:BYTE_0 src1_sel:DWORD
	s_mov_b32 s16, 0
	s_and_saveexec_b32 s73, s23
	s_xor_b32 s23, exec_lo, s73
	s_cbranch_execz .LBB6_15334
; %bb.14536:                            ;   in Loop: Header=BB6_14082 Depth=3
	v_cmp_eq_u16_sdwa s74, v107, v62 src0_sel:BYTE_0 src1_sel:DWORD
	s_mov_b32 s16, -1
	s_and_saveexec_b32 s73, s74
; %bb.14537:                            ;   in Loop: Header=BB6_14082 Depth=3
	s_xor_b32 s16, exec_lo, -1
; %bb.14538:                            ;   in Loop: Header=BB6_14082 Depth=3
	s_or_b32 exec_lo, exec_lo, s73
	s_and_b32 s16, s16, exec_lo
	s_or_saveexec_b32 s23, s23
	v_mov_b32_e32 v86, 0x7f800001
	s_xor_b32 exec_lo, exec_lo, s23
	s_cbranch_execnz .LBB6_15335
.LBB6_14539:                            ;   in Loop: Header=BB6_14082 Depth=3
	s_or_b32 exec_lo, exec_lo, s23
	s_and_saveexec_b32 s23, s16
	s_cbranch_execz .LBB6_14541
.LBB6_14540:                            ;   in Loop: Header=BB6_14082 Depth=3
	v_and_b32_e32 v86, 7, v107
	v_lshrrev_b16 v99, 3, v107
	v_lshlrev_b32_e32 v46, 24, v107
	v_ffbh_u32_e32 v87, v86
	v_and_b32_e32 v99, 15, v99
	v_min_u32_e32 v87, 32, v87
	v_cmp_eq_u32_e32 vcc_lo, 0, v99
	v_subrev_nc_u32_e32 v115, 28, v87
	v_sub_nc_u32_e32 v87, 29, v87
	v_lshlrev_b32_e32 v115, v115, v107
	v_cndmask_b32_e32 v87, v99, v87, vcc_lo
	v_and_b32_e32 v99, 0x80000000, v46
	v_and_b32_e32 v115, 7, v115
	v_lshl_add_u32 v87, v87, 23, 0x3b800000
	v_cndmask_b32_e32 v86, v86, v115, vcc_lo
	v_lshlrev_b32_e32 v86, 20, v86
	v_or3_b32 v86, v99, v87, v86
.LBB6_14541:                            ;   in Loop: Header=BB6_14082 Depth=3
	s_or_b32 exec_lo, exec_lo, s23
	v_max_f32_e32 v86, v86, v86
	v_max_f32_e32 v87, v98, v98
	v_min_f32_e32 v98, v87, v86
.LBB6_14542:                            ;   in Loop: Header=BB6_14082 Depth=3
	v_and_b32_e32 v86, 0x7f800000, v98
	v_mov_b32_e32 v115, 0x80
	s_mov_b32 s23, exec_lo
	v_cmpx_ne_u32_e32 0x7f800000, v86
	s_cbranch_execz .LBB6_14550
; %bb.14543:                            ;   in Loop: Header=BB6_14082 Depth=3
	v_mov_b32_e32 v115, 0
	s_mov_b32 s73, exec_lo
	v_cmpx_ne_u32_e32 0, v98
	s_cbranch_execz .LBB6_14549
; %bb.14544:                            ;   in Loop: Header=BB6_14082 Depth=3
	v_bfe_u32 v87, v98, 23, 8
	v_and_b32_e32 v86, 0x7fffff, v98
                                        ; implicit-def: $vgpr60
	v_cmp_gt_u32_e64 s16, 0x79, v87
	v_sub_nc_u32_e32 v99, 0x78, v87
	v_cmp_eq_u32_e32 vcc_lo, 0, v87
	v_or_b32_e32 v115, 0x800000, v86
	v_add_nc_u32_e32 v87, 0xffffff89, v87
	v_cndmask_b32_e64 v99, 0, v99, s16
	v_cndmask_b32_e32 v86, v115, v86, vcc_lo
	v_cndmask_b32_e64 v87, v87, 0xffffff8a, vcc_lo
	v_cndmask_b32_e64 v99, v99, 0x77, vcc_lo
	v_lshl_add_u32 v115, 0x100000, v99, -1
	v_lshlrev_b32_e64 v46, v99, 0x80000
	v_and_b32_e32 v115, v115, v86
	v_lshrrev_b32_e32 v86, v99, v86
	v_add_nc_u32_e32 v99, v99, v87
	v_cmp_eq_u32_e64 s16, v115, v46
	v_lshrrev_b32_e32 v87, 23, v86
	v_xor_b32_e32 v115, 1, v87
	v_bfe_u32 v87, v86, 20, 1
	v_add_nc_u32_e32 v87, -1, v87
	v_cndmask_b32_e64 v87, 0, v87, s16
	s_mov_b32 s16, exec_lo
	v_add_nc_u32_e32 v87, v87, v86
	v_and_b32_e32 v87, 0xfffff, v87
	v_add_nc_u32_e32 v46, v87, v86
	v_cmpx_ne_u32_e64 v99, v115
	s_xor_b32 s16, exec_lo, s16
; %bb.14545:                            ;   in Loop: Header=BB6_14082 Depth=3
	v_cmp_lt_u32_e32 vcc_lo, 0xffffff, v46
	v_sub_nc_u32_e32 v86, v99, v115
	v_cndmask_b32_e64 v87, 0, 1, vcc_lo
	v_add_co_ci_u32_e64 v60, null, 0, v86, vcc_lo
	v_lshrrev_b32_e32 v46, v87, v46
; %bb.14546:                            ;   in Loop: Header=BB6_14082 Depth=3
	s_andn2_saveexec_b32 s16, s16
; %bb.14547:                            ;   in Loop: Header=BB6_14082 Depth=3
	v_bfe_u32 v60, v46, 23, 1
; %bb.14548:                            ;   in Loop: Header=BB6_14082 Depth=3
	s_or_b32 exec_lo, exec_lo, s16
	v_lshrrev_b32_e32 v87, 20, v46
	v_cmp_gt_i32_e32 vcc_lo, 16, v60
	v_and_b32_sdwa v86, v98, v62 dst_sel:DWORD dst_unused:UNUSED_PAD src0_sel:BYTE_3 src1_sel:DWORD
	v_min_i32_e32 v98, 15, v60
	v_cndmask_b32_e32 v87, 7, v87, vcc_lo
	v_lshlrev_b32_e32 v98, 3, v98
	v_or_b32_e32 v99, v60, v87
	v_and_b32_e32 v87, 7, v87
	v_cmp_ne_u32_e32 vcc_lo, 0, v99
	v_or3_b32 v86, v98, v86, v87
	v_cndmask_b32_e32 v115, 0, v86, vcc_lo
.LBB6_14549:                            ;   in Loop: Header=BB6_14082 Depth=3
	s_or_b32 exec_lo, exec_lo, s73
.LBB6_14550:                            ;   in Loop: Header=BB6_14082 Depth=3
	s_or_b32 exec_lo, exec_lo, s23
	s_mov_b32 s16, -1
	s_andn2_b32 vcc_lo, exec_lo, s19
                                        ; implicit-def: $vgpr98
	s_cbranch_vccnz .LBB6_14564
; %bb.14551:                            ;   in Loop: Header=BB6_14082 Depth=3
	v_cmp_gt_i16_sdwa s23, v118, v61 src0_sel:BYTE_0 src1_sel:DWORD
	s_mov_b32 s16, 0
	s_and_saveexec_b32 s73, s23
	s_xor_b32 s23, exec_lo, s73
	s_cbranch_execz .LBB6_15336
; %bb.14552:                            ;   in Loop: Header=BB6_14082 Depth=3
	v_cmp_eq_u16_sdwa s74, v118, v62 src0_sel:BYTE_0 src1_sel:DWORD
	s_mov_b32 s16, -1
	s_and_saveexec_b32 s73, s74
; %bb.14553:                            ;   in Loop: Header=BB6_14082 Depth=3
	s_xor_b32 s16, exec_lo, -1
; %bb.14554:                            ;   in Loop: Header=BB6_14082 Depth=3
	s_or_b32 exec_lo, exec_lo, s73
	s_and_b32 s16, s16, exec_lo
	s_or_saveexec_b32 s23, s23
	v_mov_b32_e32 v98, 0x7f800001
	s_xor_b32 exec_lo, exec_lo, s23
	s_cbranch_execnz .LBB6_15337
.LBB6_14555:                            ;   in Loop: Header=BB6_14082 Depth=3
	s_or_b32 exec_lo, exec_lo, s23
	s_and_saveexec_b32 s23, s16
	s_cbranch_execz .LBB6_14557
.LBB6_14556:                            ;   in Loop: Header=BB6_14082 Depth=3
	v_and_b32_e32 v86, 7, v118
	v_lshrrev_b16 v98, 3, v118
	v_lshlrev_b32_e32 v46, 24, v118
	v_ffbh_u32_e32 v87, v86
	v_and_b32_e32 v98, 15, v98
	v_min_u32_e32 v87, 32, v87
	v_cmp_eq_u32_e32 vcc_lo, 0, v98
	v_subrev_nc_u32_e32 v99, 28, v87
	v_sub_nc_u32_e32 v87, 29, v87
	v_lshlrev_b32_e32 v99, v99, v118
	v_cndmask_b32_e32 v87, v98, v87, vcc_lo
	v_and_b32_e32 v98, 0x80000000, v46
	v_and_b32_e32 v99, 7, v99
	v_lshl_add_u32 v87, v87, 23, 0x3b800000
	v_cndmask_b32_e32 v86, v86, v99, vcc_lo
	v_lshlrev_b32_e32 v86, 20, v86
	v_or3_b32 v98, v98, v87, v86
.LBB6_14557:                            ;   in Loop: Header=BB6_14082 Depth=3
	s_or_b32 exec_lo, exec_lo, s23
	s_waitcnt vmcnt(18) lgkmcnt(18)
	v_cmp_gt_i16_sdwa s23, v57, v61 src0_sel:BYTE_0 src1_sel:DWORD
	s_mov_b32 s16, 0
	s_and_saveexec_b32 s73, s23
	s_xor_b32 s23, exec_lo, s73
	s_cbranch_execz .LBB6_15338
; %bb.14558:                            ;   in Loop: Header=BB6_14082 Depth=3
	v_cmp_eq_u16_sdwa s74, v57, v62 src0_sel:BYTE_0 src1_sel:DWORD
	s_mov_b32 s16, -1
	s_and_saveexec_b32 s73, s74
; %bb.14559:                            ;   in Loop: Header=BB6_14082 Depth=3
	s_xor_b32 s16, exec_lo, -1
; %bb.14560:                            ;   in Loop: Header=BB6_14082 Depth=3
	s_or_b32 exec_lo, exec_lo, s73
	s_and_b32 s16, s16, exec_lo
	s_or_saveexec_b32 s23, s23
	v_mov_b32_e32 v86, 0x7f800001
	s_xor_b32 exec_lo, exec_lo, s23
	s_cbranch_execnz .LBB6_15339
.LBB6_14561:                            ;   in Loop: Header=BB6_14082 Depth=3
	s_or_b32 exec_lo, exec_lo, s23
	s_and_saveexec_b32 s23, s16
	s_cbranch_execz .LBB6_14563
.LBB6_14562:                            ;   in Loop: Header=BB6_14082 Depth=3
	v_and_b32_e32 v86, 7, v57
	v_lshrrev_b16 v99, 3, v57
	v_lshlrev_b32_e32 v60, 24, v57
	v_ffbh_u32_e32 v87, v86
	v_and_b32_e32 v99, 15, v99
	v_min_u32_e32 v87, 32, v87
	v_cmp_eq_u32_e32 vcc_lo, 0, v99
	v_subrev_nc_u32_e32 v46, 28, v87
	v_sub_nc_u32_e32 v87, 29, v87
	v_lshlrev_b32_e32 v46, v46, v57
	v_cndmask_b32_e32 v87, v99, v87, vcc_lo
	v_and_b32_e32 v99, 0x80000000, v60
	v_and_b32_e32 v46, 7, v46
	v_lshl_add_u32 v87, v87, 23, 0x3b800000
	v_cndmask_b32_e32 v86, v86, v46, vcc_lo
	v_lshlrev_b32_e32 v86, 20, v86
	v_or3_b32 v86, v99, v87, v86
.LBB6_14563:                            ;   in Loop: Header=BB6_14082 Depth=3
	s_or_b32 exec_lo, exec_lo, s23
	v_max_f32_e32 v86, v86, v86
	v_max_f32_e32 v87, v98, v98
	v_max_f32_e32 v98, v87, v86
	s_branch .LBB6_14578
.LBB6_14564:                            ;   in Loop: Header=BB6_14082 Depth=3
	s_and_b32 vcc_lo, exec_lo, s16
	s_cbranch_vccz .LBB6_14578
; %bb.14565:                            ;   in Loop: Header=BB6_14082 Depth=3
	v_cmp_gt_i16_sdwa s23, v118, v61 src0_sel:BYTE_0 src1_sel:DWORD
	s_mov_b32 s16, 0
	s_and_saveexec_b32 s73, s23
	s_xor_b32 s23, exec_lo, s73
	s_cbranch_execz .LBB6_15340
; %bb.14566:                            ;   in Loop: Header=BB6_14082 Depth=3
	v_cmp_eq_u16_sdwa s74, v118, v62 src0_sel:BYTE_0 src1_sel:DWORD
	s_mov_b32 s16, -1
	s_and_saveexec_b32 s73, s74
; %bb.14567:                            ;   in Loop: Header=BB6_14082 Depth=3
	s_xor_b32 s16, exec_lo, -1
; %bb.14568:                            ;   in Loop: Header=BB6_14082 Depth=3
	s_or_b32 exec_lo, exec_lo, s73
	s_and_b32 s16, s16, exec_lo
	s_or_saveexec_b32 s23, s23
	v_mov_b32_e32 v98, 0x7f800001
	s_xor_b32 exec_lo, exec_lo, s23
	s_cbranch_execnz .LBB6_15341
.LBB6_14569:                            ;   in Loop: Header=BB6_14082 Depth=3
	s_or_b32 exec_lo, exec_lo, s23
	s_and_saveexec_b32 s23, s16
	s_cbranch_execz .LBB6_14571
.LBB6_14570:                            ;   in Loop: Header=BB6_14082 Depth=3
	v_and_b32_e32 v86, 7, v118
	v_lshrrev_b16 v98, 3, v118
	v_ffbh_u32_e32 v87, v86
	v_and_b32_e32 v98, 15, v98
	v_min_u32_e32 v87, 32, v87
	v_cmp_eq_u32_e32 vcc_lo, 0, v98
	v_subrev_nc_u32_e32 v99, 28, v87
	v_sub_nc_u32_e32 v87, 29, v87
	v_lshlrev_b32_e32 v99, v99, v118
	v_lshlrev_b32_e32 v118, 24, v118
	v_cndmask_b32_e32 v87, v98, v87, vcc_lo
	v_and_b32_e32 v99, 7, v99
	v_and_b32_e32 v98, 0x80000000, v118
	v_lshl_add_u32 v87, v87, 23, 0x3b800000
	v_cndmask_b32_e32 v86, v86, v99, vcc_lo
	v_lshlrev_b32_e32 v86, 20, v86
	v_or3_b32 v98, v98, v87, v86
.LBB6_14571:                            ;   in Loop: Header=BB6_14082 Depth=3
	s_or_b32 exec_lo, exec_lo, s23
	s_waitcnt vmcnt(18) lgkmcnt(18)
	v_cmp_gt_i16_sdwa s23, v57, v61 src0_sel:BYTE_0 src1_sel:DWORD
	s_mov_b32 s16, 0
	s_and_saveexec_b32 s73, s23
	s_xor_b32 s23, exec_lo, s73
	s_cbranch_execz .LBB6_15342
; %bb.14572:                            ;   in Loop: Header=BB6_14082 Depth=3
	v_cmp_eq_u16_sdwa s74, v57, v62 src0_sel:BYTE_0 src1_sel:DWORD
	s_mov_b32 s16, -1
	s_and_saveexec_b32 s73, s74
; %bb.14573:                            ;   in Loop: Header=BB6_14082 Depth=3
	s_xor_b32 s16, exec_lo, -1
; %bb.14574:                            ;   in Loop: Header=BB6_14082 Depth=3
	s_or_b32 exec_lo, exec_lo, s73
	s_and_b32 s16, s16, exec_lo
	s_or_saveexec_b32 s23, s23
	v_mov_b32_e32 v86, 0x7f800001
	s_xor_b32 exec_lo, exec_lo, s23
	s_cbranch_execnz .LBB6_15343
.LBB6_14575:                            ;   in Loop: Header=BB6_14082 Depth=3
	s_or_b32 exec_lo, exec_lo, s23
	s_and_saveexec_b32 s23, s16
	s_cbranch_execz .LBB6_14577
.LBB6_14576:                            ;   in Loop: Header=BB6_14082 Depth=3
	v_and_b32_e32 v86, 7, v57
	v_lshrrev_b16 v99, 3, v57
	v_lshlrev_b32_e32 v46, 24, v57
	v_ffbh_u32_e32 v87, v86
	v_and_b32_e32 v99, 15, v99
	v_min_u32_e32 v87, 32, v87
	v_cmp_eq_u32_e32 vcc_lo, 0, v99
	v_subrev_nc_u32_e32 v118, 28, v87
	v_sub_nc_u32_e32 v87, 29, v87
	v_lshlrev_b32_e32 v118, v118, v57
	v_cndmask_b32_e32 v87, v99, v87, vcc_lo
	v_and_b32_e32 v99, 0x80000000, v46
	v_and_b32_e32 v118, 7, v118
	v_lshl_add_u32 v87, v87, 23, 0x3b800000
	v_cndmask_b32_e32 v86, v86, v118, vcc_lo
	v_lshlrev_b32_e32 v86, 20, v86
	v_or3_b32 v86, v99, v87, v86
.LBB6_14577:                            ;   in Loop: Header=BB6_14082 Depth=3
	s_or_b32 exec_lo, exec_lo, s23
	v_max_f32_e32 v86, v86, v86
	v_max_f32_e32 v87, v98, v98
	v_min_f32_e32 v98, v87, v86
.LBB6_14578:                            ;   in Loop: Header=BB6_14082 Depth=3
	v_and_b32_e32 v86, 0x7f800000, v98
	v_mov_b32_e32 v118, 0x80
	s_mov_b32 s23, exec_lo
	v_cmpx_ne_u32_e32 0x7f800000, v86
	s_cbranch_execz .LBB6_14586
; %bb.14579:                            ;   in Loop: Header=BB6_14082 Depth=3
	v_mov_b32_e32 v118, 0
	s_mov_b32 s73, exec_lo
	v_cmpx_ne_u32_e32 0, v98
	s_cbranch_execz .LBB6_14585
; %bb.14580:                            ;   in Loop: Header=BB6_14082 Depth=3
	v_bfe_u32 v87, v98, 23, 8
	v_and_b32_e32 v86, 0x7fffff, v98
                                        ; implicit-def: $vgpr57
	v_cmp_gt_u32_e64 s16, 0x79, v87
	v_sub_nc_u32_e32 v99, 0x78, v87
	v_cmp_eq_u32_e32 vcc_lo, 0, v87
	v_or_b32_e32 v118, 0x800000, v86
	v_add_nc_u32_e32 v87, 0xffffff89, v87
	v_cndmask_b32_e64 v99, 0, v99, s16
	v_cndmask_b32_e32 v86, v118, v86, vcc_lo
	v_cndmask_b32_e64 v87, v87, 0xffffff8a, vcc_lo
	v_cndmask_b32_e64 v99, v99, 0x77, vcc_lo
	v_lshl_add_u32 v118, 0x100000, v99, -1
	v_lshlrev_b32_e64 v46, v99, 0x80000
	v_and_b32_e32 v118, v118, v86
	v_lshrrev_b32_e32 v86, v99, v86
	v_add_nc_u32_e32 v99, v99, v87
	v_cmp_eq_u32_e64 s16, v118, v46
	v_lshrrev_b32_e32 v87, 23, v86
	v_xor_b32_e32 v118, 1, v87
	v_bfe_u32 v87, v86, 20, 1
	v_add_nc_u32_e32 v87, -1, v87
	v_cndmask_b32_e64 v87, 0, v87, s16
	s_mov_b32 s16, exec_lo
	v_add_nc_u32_e32 v87, v87, v86
	v_and_b32_e32 v87, 0xfffff, v87
	v_add_nc_u32_e32 v46, v87, v86
	v_cmpx_ne_u32_e64 v99, v118
	s_xor_b32 s16, exec_lo, s16
	s_cbranch_execz .LBB6_14582
; %bb.14581:                            ;   in Loop: Header=BB6_14082 Depth=3
	v_cmp_lt_u32_e32 vcc_lo, 0xffffff, v46
	v_sub_nc_u32_e32 v86, v99, v118
	v_cndmask_b32_e64 v87, 0, 1, vcc_lo
	s_waitcnt vmcnt(18) lgkmcnt(18)
	v_add_co_ci_u32_e64 v57, null, 0, v86, vcc_lo
	v_lshrrev_b32_e32 v46, v87, v46
.LBB6_14582:                            ;   in Loop: Header=BB6_14082 Depth=3
	s_andn2_saveexec_b32 s16, s16
	s_cbranch_execz .LBB6_14584
; %bb.14583:                            ;   in Loop: Header=BB6_14082 Depth=3
	s_waitcnt vmcnt(18) lgkmcnt(18)
	v_bfe_u32 v57, v46, 23, 1
.LBB6_14584:                            ;   in Loop: Header=BB6_14082 Depth=3
	s_or_b32 exec_lo, exec_lo, s16
	v_lshrrev_b32_e32 v87, 20, v46
	s_waitcnt vmcnt(18) lgkmcnt(18)
	v_cmp_gt_i32_e32 vcc_lo, 16, v57
	v_and_b32_sdwa v86, v98, v62 dst_sel:DWORD dst_unused:UNUSED_PAD src0_sel:BYTE_3 src1_sel:DWORD
	v_min_i32_e32 v98, 15, v57
	v_cndmask_b32_e32 v87, 7, v87, vcc_lo
	v_lshlrev_b32_e32 v98, 3, v98
	v_or_b32_e32 v99, v57, v87
	v_and_b32_e32 v87, 7, v87
	v_cmp_ne_u32_e32 vcc_lo, 0, v99
	v_or3_b32 v86, v98, v86, v87
	v_cndmask_b32_e32 v118, 0, v86, vcc_lo
.LBB6_14585:                            ;   in Loop: Header=BB6_14082 Depth=3
	s_or_b32 exec_lo, exec_lo, s73
.LBB6_14586:                            ;   in Loop: Header=BB6_14082 Depth=3
	s_or_b32 exec_lo, exec_lo, s23
	s_mov_b32 s16, -1
	s_andn2_b32 vcc_lo, exec_lo, s19
                                        ; implicit-def: $vgpr98
	s_cbranch_vccnz .LBB6_14600
; %bb.14587:                            ;   in Loop: Header=BB6_14082 Depth=3
	v_cmp_gt_i16_sdwa s23, v41, v61 src0_sel:BYTE_0 src1_sel:DWORD
	s_mov_b32 s16, 0
	s_and_saveexec_b32 s73, s23
	s_xor_b32 s23, exec_lo, s73
	s_cbranch_execz .LBB6_15344
; %bb.14588:                            ;   in Loop: Header=BB6_14082 Depth=3
	v_cmp_eq_u16_sdwa s74, v41, v62 src0_sel:BYTE_0 src1_sel:DWORD
	s_mov_b32 s16, -1
	s_and_saveexec_b32 s73, s74
; %bb.14589:                            ;   in Loop: Header=BB6_14082 Depth=3
	s_xor_b32 s16, exec_lo, -1
; %bb.14590:                            ;   in Loop: Header=BB6_14082 Depth=3
	s_or_b32 exec_lo, exec_lo, s73
	s_and_b32 s16, s16, exec_lo
	s_or_saveexec_b32 s23, s23
	v_mov_b32_e32 v98, 0x7f800001
	s_xor_b32 exec_lo, exec_lo, s23
	s_cbranch_execnz .LBB6_15345
.LBB6_14591:                            ;   in Loop: Header=BB6_14082 Depth=3
	s_or_b32 exec_lo, exec_lo, s23
	s_and_saveexec_b32 s23, s16
	s_cbranch_execz .LBB6_14593
.LBB6_14592:                            ;   in Loop: Header=BB6_14082 Depth=3
	v_and_b32_e32 v86, 7, v41
	v_lshrrev_b16 v98, 3, v41
	v_lshlrev_b32_e32 v46, 24, v41
	v_ffbh_u32_e32 v87, v86
	v_and_b32_e32 v98, 15, v98
	v_min_u32_e32 v87, 32, v87
	v_cmp_eq_u32_e32 vcc_lo, 0, v98
	v_subrev_nc_u32_e32 v99, 28, v87
	v_sub_nc_u32_e32 v87, 29, v87
	v_lshlrev_b32_e32 v99, v99, v41
	v_cndmask_b32_e32 v87, v98, v87, vcc_lo
	v_and_b32_e32 v98, 0x80000000, v46
	v_and_b32_e32 v99, 7, v99
	v_lshl_add_u32 v87, v87, 23, 0x3b800000
	v_cndmask_b32_e32 v86, v86, v99, vcc_lo
	v_lshlrev_b32_e32 v86, 20, v86
	v_or3_b32 v98, v98, v87, v86
.LBB6_14593:                            ;   in Loop: Header=BB6_14082 Depth=3
	s_or_b32 exec_lo, exec_lo, s23
	s_waitcnt vmcnt(17) lgkmcnt(17)
	v_cmp_gt_i16_sdwa s23, v56, v61 src0_sel:BYTE_0 src1_sel:DWORD
	s_mov_b32 s16, 0
	s_and_saveexec_b32 s73, s23
	s_xor_b32 s23, exec_lo, s73
	s_cbranch_execz .LBB6_15346
; %bb.14594:                            ;   in Loop: Header=BB6_14082 Depth=3
	v_cmp_eq_u16_sdwa s74, v56, v62 src0_sel:BYTE_0 src1_sel:DWORD
	s_mov_b32 s16, -1
	s_and_saveexec_b32 s73, s74
; %bb.14595:                            ;   in Loop: Header=BB6_14082 Depth=3
	s_xor_b32 s16, exec_lo, -1
; %bb.14596:                            ;   in Loop: Header=BB6_14082 Depth=3
	s_or_b32 exec_lo, exec_lo, s73
	s_and_b32 s16, s16, exec_lo
	s_or_saveexec_b32 s23, s23
	v_mov_b32_e32 v86, 0x7f800001
	s_xor_b32 exec_lo, exec_lo, s23
	s_cbranch_execnz .LBB6_15347
.LBB6_14597:                            ;   in Loop: Header=BB6_14082 Depth=3
	s_or_b32 exec_lo, exec_lo, s23
	s_and_saveexec_b32 s23, s16
	s_cbranch_execz .LBB6_14599
.LBB6_14598:                            ;   in Loop: Header=BB6_14082 Depth=3
	v_and_b32_e32 v86, 7, v56
	v_lshrrev_b16 v99, 3, v56
	v_lshlrev_b32_e32 v57, 24, v56
	v_ffbh_u32_e32 v87, v86
	v_and_b32_e32 v99, 15, v99
	v_min_u32_e32 v87, 32, v87
	v_cmp_eq_u32_e32 vcc_lo, 0, v99
	v_subrev_nc_u32_e32 v46, 28, v87
	v_sub_nc_u32_e32 v87, 29, v87
	v_lshlrev_b32_e32 v46, v46, v56
	v_cndmask_b32_e32 v87, v99, v87, vcc_lo
	v_and_b32_e32 v99, 0x80000000, v57
	v_and_b32_e32 v46, 7, v46
	v_lshl_add_u32 v87, v87, 23, 0x3b800000
	v_cndmask_b32_e32 v86, v86, v46, vcc_lo
	v_lshlrev_b32_e32 v86, 20, v86
	v_or3_b32 v86, v99, v87, v86
.LBB6_14599:                            ;   in Loop: Header=BB6_14082 Depth=3
	s_or_b32 exec_lo, exec_lo, s23
	v_max_f32_e32 v86, v86, v86
	v_max_f32_e32 v87, v98, v98
	;; [unrolled: 1-line block ×3, first 2 shown]
	s_branch .LBB6_14614
.LBB6_14600:                            ;   in Loop: Header=BB6_14082 Depth=3
	s_and_b32 vcc_lo, exec_lo, s16
	s_cbranch_vccz .LBB6_14614
; %bb.14601:                            ;   in Loop: Header=BB6_14082 Depth=3
	v_cmp_gt_i16_sdwa s23, v41, v61 src0_sel:BYTE_0 src1_sel:DWORD
	s_mov_b32 s16, 0
	s_and_saveexec_b32 s73, s23
	s_xor_b32 s23, exec_lo, s73
	s_cbranch_execz .LBB6_15348
; %bb.14602:                            ;   in Loop: Header=BB6_14082 Depth=3
	v_cmp_eq_u16_sdwa s74, v41, v62 src0_sel:BYTE_0 src1_sel:DWORD
	s_mov_b32 s16, -1
	s_and_saveexec_b32 s73, s74
; %bb.14603:                            ;   in Loop: Header=BB6_14082 Depth=3
	s_xor_b32 s16, exec_lo, -1
; %bb.14604:                            ;   in Loop: Header=BB6_14082 Depth=3
	s_or_b32 exec_lo, exec_lo, s73
	s_and_b32 s16, s16, exec_lo
	s_or_saveexec_b32 s23, s23
	v_mov_b32_e32 v98, 0x7f800001
	s_xor_b32 exec_lo, exec_lo, s23
	s_cbranch_execnz .LBB6_15349
.LBB6_14605:                            ;   in Loop: Header=BB6_14082 Depth=3
	s_or_b32 exec_lo, exec_lo, s23
	s_and_saveexec_b32 s23, s16
	s_cbranch_execz .LBB6_14607
.LBB6_14606:                            ;   in Loop: Header=BB6_14082 Depth=3
	v_and_b32_e32 v86, 7, v41
	v_lshrrev_b16 v98, 3, v41
	v_ffbh_u32_e32 v87, v86
	v_and_b32_e32 v98, 15, v98
	v_min_u32_e32 v87, 32, v87
	v_cmp_eq_u32_e32 vcc_lo, 0, v98
	v_subrev_nc_u32_e32 v99, 28, v87
	v_sub_nc_u32_e32 v87, 29, v87
	v_lshlrev_b32_e32 v99, v99, v41
	v_lshlrev_b32_e32 v41, 24, v41
	v_cndmask_b32_e32 v87, v98, v87, vcc_lo
	v_and_b32_e32 v99, 7, v99
	v_and_b32_e32 v98, 0x80000000, v41
	v_lshl_add_u32 v87, v87, 23, 0x3b800000
	v_cndmask_b32_e32 v86, v86, v99, vcc_lo
	v_lshlrev_b32_e32 v86, 20, v86
	v_or3_b32 v98, v98, v87, v86
.LBB6_14607:                            ;   in Loop: Header=BB6_14082 Depth=3
	s_or_b32 exec_lo, exec_lo, s23
	s_waitcnt vmcnt(17) lgkmcnt(17)
	v_cmp_gt_i16_sdwa s23, v56, v61 src0_sel:BYTE_0 src1_sel:DWORD
	s_mov_b32 s16, 0
	s_and_saveexec_b32 s73, s23
	s_xor_b32 s23, exec_lo, s73
	s_cbranch_execz .LBB6_15350
; %bb.14608:                            ;   in Loop: Header=BB6_14082 Depth=3
	v_cmp_eq_u16_sdwa s74, v56, v62 src0_sel:BYTE_0 src1_sel:DWORD
	s_mov_b32 s16, -1
	s_and_saveexec_b32 s73, s74
; %bb.14609:                            ;   in Loop: Header=BB6_14082 Depth=3
	s_xor_b32 s16, exec_lo, -1
; %bb.14610:                            ;   in Loop: Header=BB6_14082 Depth=3
	s_or_b32 exec_lo, exec_lo, s73
	s_and_b32 s16, s16, exec_lo
	s_or_saveexec_b32 s23, s23
	v_mov_b32_e32 v86, 0x7f800001
	s_xor_b32 exec_lo, exec_lo, s23
	s_cbranch_execnz .LBB6_15351
.LBB6_14611:                            ;   in Loop: Header=BB6_14082 Depth=3
	s_or_b32 exec_lo, exec_lo, s23
	s_and_saveexec_b32 s23, s16
	s_cbranch_execz .LBB6_14613
.LBB6_14612:                            ;   in Loop: Header=BB6_14082 Depth=3
	v_and_b32_e32 v86, 7, v56
	v_lshrrev_b16 v99, 3, v56
	v_lshlrev_b32_e32 v46, 24, v56
	v_ffbh_u32_e32 v87, v86
	v_and_b32_e32 v99, 15, v99
	v_min_u32_e32 v87, 32, v87
	v_cmp_eq_u32_e32 vcc_lo, 0, v99
	v_subrev_nc_u32_e32 v41, 28, v87
	v_sub_nc_u32_e32 v87, 29, v87
	v_lshlrev_b32_e32 v41, v41, v56
	v_cndmask_b32_e32 v87, v99, v87, vcc_lo
	v_and_b32_e32 v99, 0x80000000, v46
	v_and_b32_e32 v41, 7, v41
	v_lshl_add_u32 v87, v87, 23, 0x3b800000
	v_cndmask_b32_e32 v86, v86, v41, vcc_lo
	v_lshlrev_b32_e32 v86, 20, v86
	v_or3_b32 v86, v99, v87, v86
.LBB6_14613:                            ;   in Loop: Header=BB6_14082 Depth=3
	s_or_b32 exec_lo, exec_lo, s23
	v_max_f32_e32 v86, v86, v86
	v_max_f32_e32 v87, v98, v98
	v_min_f32_e32 v98, v87, v86
.LBB6_14614:                            ;   in Loop: Header=BB6_14082 Depth=3
	v_and_b32_e32 v86, 0x7f800000, v98
	v_mov_b32_e32 v41, 0x80
	s_mov_b32 s23, exec_lo
	v_cmpx_ne_u32_e32 0x7f800000, v86
	s_cbranch_execz .LBB6_14622
; %bb.14615:                            ;   in Loop: Header=BB6_14082 Depth=3
	v_mov_b32_e32 v41, 0
	s_mov_b32 s73, exec_lo
	v_cmpx_ne_u32_e32 0, v98
	s_cbranch_execz .LBB6_14621
; %bb.14616:                            ;   in Loop: Header=BB6_14082 Depth=3
	v_bfe_u32 v87, v98, 23, 8
	v_and_b32_e32 v86, 0x7fffff, v98
                                        ; implicit-def: $vgpr56
	v_cmp_gt_u32_e64 s16, 0x79, v87
	v_sub_nc_u32_e32 v99, 0x78, v87
	v_cmp_eq_u32_e32 vcc_lo, 0, v87
	v_or_b32_e32 v41, 0x800000, v86
	v_add_nc_u32_e32 v87, 0xffffff89, v87
	v_cndmask_b32_e64 v99, 0, v99, s16
	v_cndmask_b32_e32 v86, v41, v86, vcc_lo
	v_cndmask_b32_e64 v87, v87, 0xffffff8a, vcc_lo
	v_cndmask_b32_e64 v99, v99, 0x77, vcc_lo
	v_lshl_add_u32 v41, 0x100000, v99, -1
	v_lshlrev_b32_e64 v46, v99, 0x80000
	v_and_b32_e32 v41, v41, v86
	v_lshrrev_b32_e32 v86, v99, v86
	v_add_nc_u32_e32 v99, v99, v87
	v_cmp_eq_u32_e64 s16, v41, v46
	v_lshrrev_b32_e32 v87, 23, v86
	v_xor_b32_e32 v41, 1, v87
	v_bfe_u32 v87, v86, 20, 1
	v_add_nc_u32_e32 v87, -1, v87
	v_cndmask_b32_e64 v87, 0, v87, s16
	s_mov_b32 s16, exec_lo
	v_add_nc_u32_e32 v87, v87, v86
	v_and_b32_e32 v87, 0xfffff, v87
	v_add_nc_u32_e32 v46, v87, v86
	v_cmpx_ne_u32_e64 v99, v41
	s_xor_b32 s16, exec_lo, s16
	s_cbranch_execz .LBB6_14618
; %bb.14617:                            ;   in Loop: Header=BB6_14082 Depth=3
	v_cmp_lt_u32_e32 vcc_lo, 0xffffff, v46
	v_sub_nc_u32_e32 v86, v99, v41
	v_cndmask_b32_e64 v87, 0, 1, vcc_lo
	s_waitcnt vmcnt(17) lgkmcnt(17)
	v_add_co_ci_u32_e64 v56, null, 0, v86, vcc_lo
	v_lshrrev_b32_e32 v46, v87, v46
.LBB6_14618:                            ;   in Loop: Header=BB6_14082 Depth=3
	s_andn2_saveexec_b32 s16, s16
	s_cbranch_execz .LBB6_14620
; %bb.14619:                            ;   in Loop: Header=BB6_14082 Depth=3
	s_waitcnt vmcnt(17) lgkmcnt(17)
	v_bfe_u32 v56, v46, 23, 1
.LBB6_14620:                            ;   in Loop: Header=BB6_14082 Depth=3
	s_or_b32 exec_lo, exec_lo, s16
	v_lshrrev_b32_e32 v87, 20, v46
	s_waitcnt vmcnt(17) lgkmcnt(17)
	v_cmp_gt_i32_e32 vcc_lo, 16, v56
	v_and_b32_sdwa v86, v98, v62 dst_sel:DWORD dst_unused:UNUSED_PAD src0_sel:BYTE_3 src1_sel:DWORD
	v_min_i32_e32 v98, 15, v56
	v_cndmask_b32_e32 v87, 7, v87, vcc_lo
	v_lshlrev_b32_e32 v98, 3, v98
	v_or_b32_e32 v99, v56, v87
	v_and_b32_e32 v87, 7, v87
	v_cmp_ne_u32_e32 vcc_lo, 0, v99
	v_or3_b32 v86, v98, v86, v87
	v_cndmask_b32_e32 v41, 0, v86, vcc_lo
.LBB6_14621:                            ;   in Loop: Header=BB6_14082 Depth=3
	s_or_b32 exec_lo, exec_lo, s73
.LBB6_14622:                            ;   in Loop: Header=BB6_14082 Depth=3
	s_or_b32 exec_lo, exec_lo, s23
	s_mov_b32 s16, -1
	s_andn2_b32 vcc_lo, exec_lo, s19
                                        ; implicit-def: $vgpr98
	s_cbranch_vccnz .LBB6_14636
; %bb.14623:                            ;   in Loop: Header=BB6_14082 Depth=3
	v_cmp_gt_i16_sdwa s23, v42, v61 src0_sel:BYTE_0 src1_sel:DWORD
	s_mov_b32 s16, 0
	s_and_saveexec_b32 s73, s23
	s_xor_b32 s23, exec_lo, s73
	s_cbranch_execz .LBB6_15352
; %bb.14624:                            ;   in Loop: Header=BB6_14082 Depth=3
	v_cmp_eq_u16_sdwa s74, v42, v62 src0_sel:BYTE_0 src1_sel:DWORD
	s_mov_b32 s16, -1
	s_and_saveexec_b32 s73, s74
; %bb.14625:                            ;   in Loop: Header=BB6_14082 Depth=3
	s_xor_b32 s16, exec_lo, -1
; %bb.14626:                            ;   in Loop: Header=BB6_14082 Depth=3
	s_or_b32 exec_lo, exec_lo, s73
	s_and_b32 s16, s16, exec_lo
	s_or_saveexec_b32 s23, s23
	v_mov_b32_e32 v98, 0x7f800001
	s_xor_b32 exec_lo, exec_lo, s23
	s_cbranch_execnz .LBB6_15353
.LBB6_14627:                            ;   in Loop: Header=BB6_14082 Depth=3
	s_or_b32 exec_lo, exec_lo, s23
	s_and_saveexec_b32 s23, s16
	s_cbranch_execz .LBB6_14629
.LBB6_14628:                            ;   in Loop: Header=BB6_14082 Depth=3
	v_and_b32_e32 v86, 7, v42
	v_lshrrev_b16 v98, 3, v42
	v_lshlrev_b32_e32 v46, 24, v42
	v_ffbh_u32_e32 v87, v86
	v_and_b32_e32 v98, 15, v98
	v_min_u32_e32 v87, 32, v87
	v_cmp_eq_u32_e32 vcc_lo, 0, v98
	v_subrev_nc_u32_e32 v99, 28, v87
	v_sub_nc_u32_e32 v87, 29, v87
	v_lshlrev_b32_e32 v99, v99, v42
	v_cndmask_b32_e32 v87, v98, v87, vcc_lo
	v_and_b32_e32 v98, 0x80000000, v46
	v_and_b32_e32 v99, 7, v99
	v_lshl_add_u32 v87, v87, 23, 0x3b800000
	v_cndmask_b32_e32 v86, v86, v99, vcc_lo
	v_lshlrev_b32_e32 v86, 20, v86
	v_or3_b32 v98, v98, v87, v86
.LBB6_14629:                            ;   in Loop: Header=BB6_14082 Depth=3
	s_or_b32 exec_lo, exec_lo, s23
	s_waitcnt vmcnt(16) lgkmcnt(16)
	v_cmp_gt_i16_sdwa s23, v43, v61 src0_sel:BYTE_0 src1_sel:DWORD
	s_mov_b32 s16, 0
	s_and_saveexec_b32 s73, s23
	s_xor_b32 s23, exec_lo, s73
	s_cbranch_execz .LBB6_15354
; %bb.14630:                            ;   in Loop: Header=BB6_14082 Depth=3
	v_cmp_eq_u16_sdwa s74, v43, v62 src0_sel:BYTE_0 src1_sel:DWORD
	s_mov_b32 s16, -1
	s_and_saveexec_b32 s73, s74
; %bb.14631:                            ;   in Loop: Header=BB6_14082 Depth=3
	s_xor_b32 s16, exec_lo, -1
; %bb.14632:                            ;   in Loop: Header=BB6_14082 Depth=3
	s_or_b32 exec_lo, exec_lo, s73
	s_and_b32 s16, s16, exec_lo
	s_or_saveexec_b32 s23, s23
	v_mov_b32_e32 v86, 0x7f800001
	s_xor_b32 exec_lo, exec_lo, s23
	s_cbranch_execnz .LBB6_15355
.LBB6_14633:                            ;   in Loop: Header=BB6_14082 Depth=3
	s_or_b32 exec_lo, exec_lo, s23
	s_and_saveexec_b32 s23, s16
	s_cbranch_execz .LBB6_14635
.LBB6_14634:                            ;   in Loop: Header=BB6_14082 Depth=3
	v_and_b32_e32 v86, 7, v43
	v_lshrrev_b16 v99, 3, v43
	v_lshlrev_b32_e32 v56, 24, v43
	v_ffbh_u32_e32 v87, v86
	v_and_b32_e32 v99, 15, v99
	v_min_u32_e32 v87, 32, v87
	v_cmp_eq_u32_e32 vcc_lo, 0, v99
	v_subrev_nc_u32_e32 v46, 28, v87
	v_sub_nc_u32_e32 v87, 29, v87
	v_lshlrev_b32_e32 v46, v46, v43
	v_cndmask_b32_e32 v87, v99, v87, vcc_lo
	v_and_b32_e32 v99, 0x80000000, v56
	v_and_b32_e32 v46, 7, v46
	v_lshl_add_u32 v87, v87, 23, 0x3b800000
	v_cndmask_b32_e32 v86, v86, v46, vcc_lo
	v_lshlrev_b32_e32 v86, 20, v86
	v_or3_b32 v86, v99, v87, v86
.LBB6_14635:                            ;   in Loop: Header=BB6_14082 Depth=3
	s_or_b32 exec_lo, exec_lo, s23
	v_max_f32_e32 v86, v86, v86
	v_max_f32_e32 v87, v98, v98
	;; [unrolled: 1-line block ×3, first 2 shown]
	s_branch .LBB6_14650
.LBB6_14636:                            ;   in Loop: Header=BB6_14082 Depth=3
	s_and_b32 vcc_lo, exec_lo, s16
	s_cbranch_vccz .LBB6_14650
; %bb.14637:                            ;   in Loop: Header=BB6_14082 Depth=3
	v_cmp_gt_i16_sdwa s23, v42, v61 src0_sel:BYTE_0 src1_sel:DWORD
	s_mov_b32 s16, 0
	s_and_saveexec_b32 s73, s23
	s_xor_b32 s23, exec_lo, s73
	s_cbranch_execz .LBB6_15356
; %bb.14638:                            ;   in Loop: Header=BB6_14082 Depth=3
	v_cmp_eq_u16_sdwa s74, v42, v62 src0_sel:BYTE_0 src1_sel:DWORD
	s_mov_b32 s16, -1
	s_and_saveexec_b32 s73, s74
; %bb.14639:                            ;   in Loop: Header=BB6_14082 Depth=3
	s_xor_b32 s16, exec_lo, -1
; %bb.14640:                            ;   in Loop: Header=BB6_14082 Depth=3
	s_or_b32 exec_lo, exec_lo, s73
	s_and_b32 s16, s16, exec_lo
	s_or_saveexec_b32 s23, s23
	v_mov_b32_e32 v98, 0x7f800001
	s_xor_b32 exec_lo, exec_lo, s23
	s_cbranch_execnz .LBB6_15357
.LBB6_14641:                            ;   in Loop: Header=BB6_14082 Depth=3
	s_or_b32 exec_lo, exec_lo, s23
	s_and_saveexec_b32 s23, s16
	s_cbranch_execz .LBB6_14643
.LBB6_14642:                            ;   in Loop: Header=BB6_14082 Depth=3
	v_and_b32_e32 v86, 7, v42
	v_lshrrev_b16 v98, 3, v42
	v_ffbh_u32_e32 v87, v86
	v_and_b32_e32 v98, 15, v98
	v_min_u32_e32 v87, 32, v87
	v_cmp_eq_u32_e32 vcc_lo, 0, v98
	v_subrev_nc_u32_e32 v99, 28, v87
	v_sub_nc_u32_e32 v87, 29, v87
	v_lshlrev_b32_e32 v99, v99, v42
	v_lshlrev_b32_e32 v42, 24, v42
	v_cndmask_b32_e32 v87, v98, v87, vcc_lo
	v_and_b32_e32 v99, 7, v99
	v_and_b32_e32 v98, 0x80000000, v42
	v_lshl_add_u32 v87, v87, 23, 0x3b800000
	v_cndmask_b32_e32 v86, v86, v99, vcc_lo
	v_lshlrev_b32_e32 v86, 20, v86
	v_or3_b32 v98, v98, v87, v86
.LBB6_14643:                            ;   in Loop: Header=BB6_14082 Depth=3
	s_or_b32 exec_lo, exec_lo, s23
	s_waitcnt vmcnt(16) lgkmcnt(16)
	v_cmp_gt_i16_sdwa s23, v43, v61 src0_sel:BYTE_0 src1_sel:DWORD
	s_mov_b32 s16, 0
	s_and_saveexec_b32 s73, s23
	s_xor_b32 s23, exec_lo, s73
	s_cbranch_execz .LBB6_15358
; %bb.14644:                            ;   in Loop: Header=BB6_14082 Depth=3
	v_cmp_eq_u16_sdwa s74, v43, v62 src0_sel:BYTE_0 src1_sel:DWORD
	s_mov_b32 s16, -1
	s_and_saveexec_b32 s73, s74
; %bb.14645:                            ;   in Loop: Header=BB6_14082 Depth=3
	s_xor_b32 s16, exec_lo, -1
; %bb.14646:                            ;   in Loop: Header=BB6_14082 Depth=3
	s_or_b32 exec_lo, exec_lo, s73
	s_and_b32 s16, s16, exec_lo
	s_or_saveexec_b32 s23, s23
	v_mov_b32_e32 v86, 0x7f800001
	s_xor_b32 exec_lo, exec_lo, s23
	s_cbranch_execnz .LBB6_15359
.LBB6_14647:                            ;   in Loop: Header=BB6_14082 Depth=3
	s_or_b32 exec_lo, exec_lo, s23
	s_and_saveexec_b32 s23, s16
	s_cbranch_execz .LBB6_14649
.LBB6_14648:                            ;   in Loop: Header=BB6_14082 Depth=3
	v_and_b32_e32 v86, 7, v43
	v_lshrrev_b16 v99, 3, v43
	v_ffbh_u32_e32 v87, v86
	v_and_b32_e32 v99, 15, v99
	v_min_u32_e32 v87, 32, v87
	v_cmp_eq_u32_e32 vcc_lo, 0, v99
	v_subrev_nc_u32_e32 v42, 28, v87
	v_sub_nc_u32_e32 v87, 29, v87
	v_lshlrev_b32_e32 v42, v42, v43
	v_lshlrev_b32_e32 v43, 24, v43
	v_cndmask_b32_e32 v87, v99, v87, vcc_lo
	v_and_b32_e32 v42, 7, v42
	v_and_b32_e32 v99, 0x80000000, v43
	v_lshl_add_u32 v87, v87, 23, 0x3b800000
	v_cndmask_b32_e32 v86, v86, v42, vcc_lo
	v_lshlrev_b32_e32 v86, 20, v86
	v_or3_b32 v86, v99, v87, v86
.LBB6_14649:                            ;   in Loop: Header=BB6_14082 Depth=3
	s_or_b32 exec_lo, exec_lo, s23
	v_max_f32_e32 v86, v86, v86
	v_max_f32_e32 v87, v98, v98
	v_min_f32_e32 v98, v87, v86
.LBB6_14650:                            ;   in Loop: Header=BB6_14082 Depth=3
	v_and_b32_e32 v86, 0x7f800000, v98
	v_mov_b32_e32 v42, 0x80
	s_mov_b32 s23, exec_lo
	v_cmpx_ne_u32_e32 0x7f800000, v86
	s_cbranch_execz .LBB6_14658
; %bb.14651:                            ;   in Loop: Header=BB6_14082 Depth=3
	v_mov_b32_e32 v42, 0
	s_mov_b32 s73, exec_lo
	v_cmpx_ne_u32_e32 0, v98
	s_cbranch_execz .LBB6_14657
; %bb.14652:                            ;   in Loop: Header=BB6_14082 Depth=3
	v_bfe_u32 v87, v98, 23, 8
	v_and_b32_e32 v86, 0x7fffff, v98
                                        ; implicit-def: $vgpr46
	v_cmp_gt_u32_e64 s16, 0x79, v87
	v_sub_nc_u32_e32 v99, 0x78, v87
	v_cmp_eq_u32_e32 vcc_lo, 0, v87
	v_or_b32_e32 v42, 0x800000, v86
	v_add_nc_u32_e32 v87, 0xffffff89, v87
	v_cndmask_b32_e64 v99, 0, v99, s16
	v_cndmask_b32_e32 v86, v42, v86, vcc_lo
	v_cndmask_b32_e64 v87, v87, 0xffffff8a, vcc_lo
	v_cndmask_b32_e64 v99, v99, 0x77, vcc_lo
	v_lshl_add_u32 v42, 0x100000, v99, -1
	s_waitcnt vmcnt(16) lgkmcnt(16)
	v_lshlrev_b32_e64 v43, v99, 0x80000
	v_and_b32_e32 v42, v42, v86
	v_lshrrev_b32_e32 v86, v99, v86
	v_add_nc_u32_e32 v99, v99, v87
	v_cmp_eq_u32_e64 s16, v42, v43
	v_lshrrev_b32_e32 v87, 23, v86
	v_xor_b32_e32 v42, 1, v87
	v_bfe_u32 v87, v86, 20, 1
	v_add_nc_u32_e32 v87, -1, v87
	v_cndmask_b32_e64 v87, 0, v87, s16
	s_mov_b32 s16, exec_lo
	v_add_nc_u32_e32 v87, v87, v86
	v_and_b32_e32 v87, 0xfffff, v87
	v_add_nc_u32_e32 v43, v87, v86
	v_cmpx_ne_u32_e64 v99, v42
	s_xor_b32 s16, exec_lo, s16
; %bb.14653:                            ;   in Loop: Header=BB6_14082 Depth=3
	v_cmp_lt_u32_e32 vcc_lo, 0xffffff, v43
	v_sub_nc_u32_e32 v86, v99, v42
	v_cndmask_b32_e64 v87, 0, 1, vcc_lo
	v_add_co_ci_u32_e64 v46, null, 0, v86, vcc_lo
	v_lshrrev_b32_e32 v43, v87, v43
; %bb.14654:                            ;   in Loop: Header=BB6_14082 Depth=3
	s_andn2_saveexec_b32 s16, s16
; %bb.14655:                            ;   in Loop: Header=BB6_14082 Depth=3
	v_bfe_u32 v46, v43, 23, 1
; %bb.14656:                            ;   in Loop: Header=BB6_14082 Depth=3
	s_or_b32 exec_lo, exec_lo, s16
	v_lshrrev_b32_e32 v87, 20, v43
	v_cmp_gt_i32_e32 vcc_lo, 16, v46
	v_and_b32_sdwa v86, v98, v62 dst_sel:DWORD dst_unused:UNUSED_PAD src0_sel:BYTE_3 src1_sel:DWORD
	v_min_i32_e32 v98, 15, v46
	v_cndmask_b32_e32 v87, 7, v87, vcc_lo
	v_lshlrev_b32_e32 v98, 3, v98
	v_or_b32_e32 v99, v46, v87
	v_and_b32_e32 v87, 7, v87
	v_cmp_ne_u32_e32 vcc_lo, 0, v99
	v_or3_b32 v86, v98, v86, v87
	v_cndmask_b32_e32 v42, 0, v86, vcc_lo
.LBB6_14657:                            ;   in Loop: Header=BB6_14082 Depth=3
	s_or_b32 exec_lo, exec_lo, s73
.LBB6_14658:                            ;   in Loop: Header=BB6_14082 Depth=3
	s_or_b32 exec_lo, exec_lo, s23
	s_mov_b32 s16, -1
	s_andn2_b32 vcc_lo, exec_lo, s19
                                        ; implicit-def: $vgpr98
	s_cbranch_vccnz .LBB6_14672
; %bb.14659:                            ;   in Loop: Header=BB6_14082 Depth=3
	v_cmp_gt_i16_sdwa s23, v119, v61 src0_sel:BYTE_0 src1_sel:DWORD
	s_mov_b32 s16, 0
	s_and_saveexec_b32 s73, s23
	s_xor_b32 s23, exec_lo, s73
	s_cbranch_execz .LBB6_15360
; %bb.14660:                            ;   in Loop: Header=BB6_14082 Depth=3
	v_cmp_eq_u16_sdwa s74, v119, v62 src0_sel:BYTE_0 src1_sel:DWORD
	s_mov_b32 s16, -1
	s_and_saveexec_b32 s73, s74
; %bb.14661:                            ;   in Loop: Header=BB6_14082 Depth=3
	s_xor_b32 s16, exec_lo, -1
; %bb.14662:                            ;   in Loop: Header=BB6_14082 Depth=3
	s_or_b32 exec_lo, exec_lo, s73
	s_and_b32 s16, s16, exec_lo
	s_or_saveexec_b32 s23, s23
	v_mov_b32_e32 v98, 0x7f800001
	s_xor_b32 exec_lo, exec_lo, s23
	s_cbranch_execnz .LBB6_15361
.LBB6_14663:                            ;   in Loop: Header=BB6_14082 Depth=3
	s_or_b32 exec_lo, exec_lo, s23
	s_and_saveexec_b32 s23, s16
	s_cbranch_execz .LBB6_14665
.LBB6_14664:                            ;   in Loop: Header=BB6_14082 Depth=3
	v_and_b32_e32 v86, 7, v119
	v_lshrrev_b16 v98, 3, v119
	s_waitcnt vmcnt(16) lgkmcnt(16)
	v_lshlrev_b32_e32 v43, 24, v119
	v_ffbh_u32_e32 v87, v86
	v_and_b32_e32 v98, 15, v98
	v_min_u32_e32 v87, 32, v87
	v_cmp_eq_u32_e32 vcc_lo, 0, v98
	v_subrev_nc_u32_e32 v99, 28, v87
	v_sub_nc_u32_e32 v87, 29, v87
	v_lshlrev_b32_e32 v99, v99, v119
	v_cndmask_b32_e32 v87, v98, v87, vcc_lo
	v_and_b32_e32 v98, 0x80000000, v43
	v_and_b32_e32 v99, 7, v99
	v_lshl_add_u32 v87, v87, 23, 0x3b800000
	v_cndmask_b32_e32 v86, v86, v99, vcc_lo
	v_lshlrev_b32_e32 v86, 20, v86
	v_or3_b32 v98, v98, v87, v86
.LBB6_14665:                            ;   in Loop: Header=BB6_14082 Depth=3
	s_or_b32 exec_lo, exec_lo, s23
	s_waitcnt vmcnt(15) lgkmcnt(15)
	v_cmp_gt_i16_sdwa s23, v40, v61 src0_sel:BYTE_0 src1_sel:DWORD
	s_mov_b32 s16, 0
	s_and_saveexec_b32 s73, s23
	s_xor_b32 s23, exec_lo, s73
	s_cbranch_execz .LBB6_15362
; %bb.14666:                            ;   in Loop: Header=BB6_14082 Depth=3
	v_cmp_eq_u16_sdwa s74, v40, v62 src0_sel:BYTE_0 src1_sel:DWORD
	s_mov_b32 s16, -1
	s_and_saveexec_b32 s73, s74
; %bb.14667:                            ;   in Loop: Header=BB6_14082 Depth=3
	s_xor_b32 s16, exec_lo, -1
; %bb.14668:                            ;   in Loop: Header=BB6_14082 Depth=3
	s_or_b32 exec_lo, exec_lo, s73
	s_and_b32 s16, s16, exec_lo
	s_or_saveexec_b32 s23, s23
	v_mov_b32_e32 v86, 0x7f800001
	s_xor_b32 exec_lo, exec_lo, s23
	s_cbranch_execnz .LBB6_15363
.LBB6_14669:                            ;   in Loop: Header=BB6_14082 Depth=3
	s_or_b32 exec_lo, exec_lo, s23
	s_and_saveexec_b32 s23, s16
	s_cbranch_execz .LBB6_14671
.LBB6_14670:                            ;   in Loop: Header=BB6_14082 Depth=3
	v_and_b32_e32 v86, 7, v40
	v_lshrrev_b16 v99, 3, v40
	v_lshlrev_b32_e32 v46, 24, v40
	v_ffbh_u32_e32 v87, v86
	v_and_b32_e32 v99, 15, v99
	v_min_u32_e32 v87, 32, v87
	v_cmp_eq_u32_e32 vcc_lo, 0, v99
	v_subrev_nc_u32_e32 v43, 28, v87
	v_sub_nc_u32_e32 v87, 29, v87
	v_lshlrev_b32_e32 v43, v43, v40
	v_cndmask_b32_e32 v87, v99, v87, vcc_lo
	v_and_b32_e32 v99, 0x80000000, v46
	v_and_b32_e32 v43, 7, v43
	v_lshl_add_u32 v87, v87, 23, 0x3b800000
	v_cndmask_b32_e32 v86, v86, v43, vcc_lo
	v_lshlrev_b32_e32 v86, 20, v86
	v_or3_b32 v86, v99, v87, v86
.LBB6_14671:                            ;   in Loop: Header=BB6_14082 Depth=3
	s_or_b32 exec_lo, exec_lo, s23
	v_max_f32_e32 v86, v86, v86
	v_max_f32_e32 v87, v98, v98
	;; [unrolled: 1-line block ×3, first 2 shown]
	s_branch .LBB6_14686
.LBB6_14672:                            ;   in Loop: Header=BB6_14082 Depth=3
	s_and_b32 vcc_lo, exec_lo, s16
	s_cbranch_vccz .LBB6_14686
; %bb.14673:                            ;   in Loop: Header=BB6_14082 Depth=3
	v_cmp_gt_i16_sdwa s23, v119, v61 src0_sel:BYTE_0 src1_sel:DWORD
	s_mov_b32 s16, 0
	s_and_saveexec_b32 s73, s23
	s_xor_b32 s23, exec_lo, s73
	s_cbranch_execz .LBB6_15364
; %bb.14674:                            ;   in Loop: Header=BB6_14082 Depth=3
	v_cmp_eq_u16_sdwa s74, v119, v62 src0_sel:BYTE_0 src1_sel:DWORD
	s_mov_b32 s16, -1
	s_and_saveexec_b32 s73, s74
; %bb.14675:                            ;   in Loop: Header=BB6_14082 Depth=3
	s_xor_b32 s16, exec_lo, -1
; %bb.14676:                            ;   in Loop: Header=BB6_14082 Depth=3
	s_or_b32 exec_lo, exec_lo, s73
	s_and_b32 s16, s16, exec_lo
	s_or_saveexec_b32 s23, s23
	v_mov_b32_e32 v98, 0x7f800001
	s_xor_b32 exec_lo, exec_lo, s23
	s_cbranch_execnz .LBB6_15365
.LBB6_14677:                            ;   in Loop: Header=BB6_14082 Depth=3
	s_or_b32 exec_lo, exec_lo, s23
	s_and_saveexec_b32 s23, s16
	s_cbranch_execz .LBB6_14679
.LBB6_14678:                            ;   in Loop: Header=BB6_14082 Depth=3
	v_and_b32_e32 v86, 7, v119
	v_lshrrev_b16 v98, 3, v119
	v_ffbh_u32_e32 v87, v86
	v_and_b32_e32 v98, 15, v98
	v_min_u32_e32 v87, 32, v87
	v_cmp_eq_u32_e32 vcc_lo, 0, v98
	v_subrev_nc_u32_e32 v99, 28, v87
	v_sub_nc_u32_e32 v87, 29, v87
	v_lshlrev_b32_e32 v99, v99, v119
	v_lshlrev_b32_e32 v119, 24, v119
	v_cndmask_b32_e32 v87, v98, v87, vcc_lo
	v_and_b32_e32 v99, 7, v99
	v_and_b32_e32 v98, 0x80000000, v119
	v_lshl_add_u32 v87, v87, 23, 0x3b800000
	v_cndmask_b32_e32 v86, v86, v99, vcc_lo
	v_lshlrev_b32_e32 v86, 20, v86
	v_or3_b32 v98, v98, v87, v86
.LBB6_14679:                            ;   in Loop: Header=BB6_14082 Depth=3
	s_or_b32 exec_lo, exec_lo, s23
	s_waitcnt vmcnt(15) lgkmcnt(15)
	v_cmp_gt_i16_sdwa s23, v40, v61 src0_sel:BYTE_0 src1_sel:DWORD
	s_mov_b32 s16, 0
	s_and_saveexec_b32 s73, s23
	s_xor_b32 s23, exec_lo, s73
	s_cbranch_execz .LBB6_15366
; %bb.14680:                            ;   in Loop: Header=BB6_14082 Depth=3
	v_cmp_eq_u16_sdwa s74, v40, v62 src0_sel:BYTE_0 src1_sel:DWORD
	s_mov_b32 s16, -1
	s_and_saveexec_b32 s73, s74
; %bb.14681:                            ;   in Loop: Header=BB6_14082 Depth=3
	s_xor_b32 s16, exec_lo, -1
; %bb.14682:                            ;   in Loop: Header=BB6_14082 Depth=3
	s_or_b32 exec_lo, exec_lo, s73
	s_and_b32 s16, s16, exec_lo
	s_or_saveexec_b32 s23, s23
	v_mov_b32_e32 v86, 0x7f800001
	s_xor_b32 exec_lo, exec_lo, s23
	s_cbranch_execnz .LBB6_15367
.LBB6_14683:                            ;   in Loop: Header=BB6_14082 Depth=3
	s_or_b32 exec_lo, exec_lo, s23
	s_and_saveexec_b32 s23, s16
	s_cbranch_execz .LBB6_14685
.LBB6_14684:                            ;   in Loop: Header=BB6_14082 Depth=3
	v_and_b32_e32 v86, 7, v40
	v_lshrrev_b16 v99, 3, v40
	v_ffbh_u32_e32 v87, v86
	v_and_b32_e32 v99, 15, v99
	v_min_u32_e32 v87, 32, v87
	v_cmp_eq_u32_e32 vcc_lo, 0, v99
	v_subrev_nc_u32_e32 v119, 28, v87
	v_sub_nc_u32_e32 v87, 29, v87
	v_lshlrev_b32_e32 v119, v119, v40
	v_lshlrev_b32_e32 v40, 24, v40
	v_cndmask_b32_e32 v87, v99, v87, vcc_lo
	v_and_b32_e32 v119, 7, v119
	v_and_b32_e32 v99, 0x80000000, v40
	v_lshl_add_u32 v87, v87, 23, 0x3b800000
	v_cndmask_b32_e32 v86, v86, v119, vcc_lo
	v_lshlrev_b32_e32 v86, 20, v86
	v_or3_b32 v86, v99, v87, v86
.LBB6_14685:                            ;   in Loop: Header=BB6_14082 Depth=3
	s_or_b32 exec_lo, exec_lo, s23
	v_max_f32_e32 v86, v86, v86
	v_max_f32_e32 v87, v98, v98
	v_min_f32_e32 v98, v87, v86
.LBB6_14686:                            ;   in Loop: Header=BB6_14082 Depth=3
	v_and_b32_e32 v86, 0x7f800000, v98
	v_mov_b32_e32 v119, 0x80
	s_mov_b32 s23, exec_lo
	v_cmpx_ne_u32_e32 0x7f800000, v86
	s_cbranch_execz .LBB6_14694
; %bb.14687:                            ;   in Loop: Header=BB6_14082 Depth=3
	v_mov_b32_e32 v119, 0
	s_mov_b32 s73, exec_lo
	v_cmpx_ne_u32_e32 0, v98
	s_cbranch_execz .LBB6_14693
; %bb.14688:                            ;   in Loop: Header=BB6_14082 Depth=3
	v_bfe_u32 v87, v98, 23, 8
	v_and_b32_e32 v86, 0x7fffff, v98
                                        ; implicit-def: $vgpr43
	v_cmp_gt_u32_e64 s16, 0x79, v87
	v_sub_nc_u32_e32 v99, 0x78, v87
	v_cmp_eq_u32_e32 vcc_lo, 0, v87
	v_or_b32_e32 v119, 0x800000, v86
	v_add_nc_u32_e32 v87, 0xffffff89, v87
	v_cndmask_b32_e64 v99, 0, v99, s16
	v_cndmask_b32_e32 v86, v119, v86, vcc_lo
	v_cndmask_b32_e64 v87, v87, 0xffffff8a, vcc_lo
	v_cndmask_b32_e64 v99, v99, 0x77, vcc_lo
	v_lshl_add_u32 v119, 0x100000, v99, -1
	s_waitcnt vmcnt(15) lgkmcnt(15)
	v_lshlrev_b32_e64 v40, v99, 0x80000
	v_and_b32_e32 v119, v119, v86
	v_lshrrev_b32_e32 v86, v99, v86
	v_add_nc_u32_e32 v99, v99, v87
	v_cmp_eq_u32_e64 s16, v119, v40
	v_lshrrev_b32_e32 v87, 23, v86
	v_xor_b32_e32 v119, 1, v87
	v_bfe_u32 v87, v86, 20, 1
	v_add_nc_u32_e32 v87, -1, v87
	v_cndmask_b32_e64 v87, 0, v87, s16
	s_mov_b32 s16, exec_lo
	v_add_nc_u32_e32 v87, v87, v86
	v_and_b32_e32 v87, 0xfffff, v87
	v_add_nc_u32_e32 v40, v87, v86
	v_cmpx_ne_u32_e64 v99, v119
	s_xor_b32 s16, exec_lo, s16
; %bb.14689:                            ;   in Loop: Header=BB6_14082 Depth=3
	v_cmp_lt_u32_e32 vcc_lo, 0xffffff, v40
	v_sub_nc_u32_e32 v86, v99, v119
	v_cndmask_b32_e64 v87, 0, 1, vcc_lo
	v_add_co_ci_u32_e64 v43, null, 0, v86, vcc_lo
	v_lshrrev_b32_e32 v40, v87, v40
; %bb.14690:                            ;   in Loop: Header=BB6_14082 Depth=3
	s_andn2_saveexec_b32 s16, s16
; %bb.14691:                            ;   in Loop: Header=BB6_14082 Depth=3
	v_bfe_u32 v43, v40, 23, 1
; %bb.14692:                            ;   in Loop: Header=BB6_14082 Depth=3
	s_or_b32 exec_lo, exec_lo, s16
	v_lshrrev_b32_e32 v87, 20, v40
	v_cmp_gt_i32_e32 vcc_lo, 16, v43
	v_and_b32_sdwa v86, v98, v62 dst_sel:DWORD dst_unused:UNUSED_PAD src0_sel:BYTE_3 src1_sel:DWORD
	v_min_i32_e32 v98, 15, v43
	v_cndmask_b32_e32 v87, 7, v87, vcc_lo
	v_lshlrev_b32_e32 v98, 3, v98
	v_or_b32_e32 v99, v43, v87
	v_and_b32_e32 v87, 7, v87
	v_cmp_ne_u32_e32 vcc_lo, 0, v99
	v_or3_b32 v86, v98, v86, v87
	v_cndmask_b32_e32 v119, 0, v86, vcc_lo
.LBB6_14693:                            ;   in Loop: Header=BB6_14082 Depth=3
	s_or_b32 exec_lo, exec_lo, s73
.LBB6_14694:                            ;   in Loop: Header=BB6_14082 Depth=3
	s_or_b32 exec_lo, exec_lo, s23
	s_mov_b32 s16, -1
	s_andn2_b32 vcc_lo, exec_lo, s19
                                        ; implicit-def: $vgpr98
	s_cbranch_vccnz .LBB6_14708
; %bb.14695:                            ;   in Loop: Header=BB6_14082 Depth=3
	v_cmp_gt_i16_sdwa s23, v116, v61 src0_sel:BYTE_0 src1_sel:DWORD
	s_mov_b32 s16, 0
	s_and_saveexec_b32 s73, s23
	s_xor_b32 s23, exec_lo, s73
	s_cbranch_execz .LBB6_15368
; %bb.14696:                            ;   in Loop: Header=BB6_14082 Depth=3
	v_cmp_eq_u16_sdwa s74, v116, v62 src0_sel:BYTE_0 src1_sel:DWORD
	s_mov_b32 s16, -1
	s_and_saveexec_b32 s73, s74
; %bb.14697:                            ;   in Loop: Header=BB6_14082 Depth=3
	s_xor_b32 s16, exec_lo, -1
; %bb.14698:                            ;   in Loop: Header=BB6_14082 Depth=3
	s_or_b32 exec_lo, exec_lo, s73
	s_and_b32 s16, s16, exec_lo
	s_or_saveexec_b32 s23, s23
	v_mov_b32_e32 v98, 0x7f800001
	s_xor_b32 exec_lo, exec_lo, s23
	s_cbranch_execnz .LBB6_15369
.LBB6_14699:                            ;   in Loop: Header=BB6_14082 Depth=3
	s_or_b32 exec_lo, exec_lo, s23
	s_and_saveexec_b32 s23, s16
	s_cbranch_execz .LBB6_14701
.LBB6_14700:                            ;   in Loop: Header=BB6_14082 Depth=3
	v_and_b32_e32 v86, 7, v116
	v_lshrrev_b16 v98, 3, v116
	s_waitcnt vmcnt(15) lgkmcnt(15)
	v_lshlrev_b32_e32 v40, 24, v116
	v_ffbh_u32_e32 v87, v86
	v_and_b32_e32 v98, 15, v98
	v_min_u32_e32 v87, 32, v87
	v_cmp_eq_u32_e32 vcc_lo, 0, v98
	v_subrev_nc_u32_e32 v99, 28, v87
	v_sub_nc_u32_e32 v87, 29, v87
	v_lshlrev_b32_e32 v99, v99, v116
	v_cndmask_b32_e32 v87, v98, v87, vcc_lo
	v_and_b32_e32 v98, 0x80000000, v40
	v_and_b32_e32 v99, 7, v99
	v_lshl_add_u32 v87, v87, 23, 0x3b800000
	v_cndmask_b32_e32 v86, v86, v99, vcc_lo
	v_lshlrev_b32_e32 v86, 20, v86
	v_or3_b32 v98, v98, v87, v86
.LBB6_14701:                            ;   in Loop: Header=BB6_14082 Depth=3
	s_or_b32 exec_lo, exec_lo, s23
	s_waitcnt vmcnt(14) lgkmcnt(14)
	v_cmp_gt_i16_sdwa s23, v117, v61 src0_sel:BYTE_0 src1_sel:DWORD
	s_mov_b32 s16, 0
	s_and_saveexec_b32 s73, s23
	s_xor_b32 s23, exec_lo, s73
	s_cbranch_execz .LBB6_15370
; %bb.14702:                            ;   in Loop: Header=BB6_14082 Depth=3
	v_cmp_eq_u16_sdwa s74, v117, v62 src0_sel:BYTE_0 src1_sel:DWORD
	s_mov_b32 s16, -1
	s_and_saveexec_b32 s73, s74
; %bb.14703:                            ;   in Loop: Header=BB6_14082 Depth=3
	s_xor_b32 s16, exec_lo, -1
; %bb.14704:                            ;   in Loop: Header=BB6_14082 Depth=3
	s_or_b32 exec_lo, exec_lo, s73
	s_and_b32 s16, s16, exec_lo
	s_or_saveexec_b32 s23, s23
	v_mov_b32_e32 v86, 0x7f800001
	s_xor_b32 exec_lo, exec_lo, s23
	s_cbranch_execnz .LBB6_15371
.LBB6_14705:                            ;   in Loop: Header=BB6_14082 Depth=3
	s_or_b32 exec_lo, exec_lo, s23
	s_and_saveexec_b32 s23, s16
	s_cbranch_execz .LBB6_14707
.LBB6_14706:                            ;   in Loop: Header=BB6_14082 Depth=3
	v_and_b32_e32 v86, 7, v117
	v_lshrrev_b16 v99, 3, v117
	v_lshlrev_b32_e32 v43, 24, v117
	v_ffbh_u32_e32 v87, v86
	v_and_b32_e32 v99, 15, v99
	v_min_u32_e32 v87, 32, v87
	v_cmp_eq_u32_e32 vcc_lo, 0, v99
	v_subrev_nc_u32_e32 v40, 28, v87
	v_sub_nc_u32_e32 v87, 29, v87
	v_lshlrev_b32_e32 v40, v40, v117
	v_cndmask_b32_e32 v87, v99, v87, vcc_lo
	v_and_b32_e32 v99, 0x80000000, v43
	v_and_b32_e32 v40, 7, v40
	v_lshl_add_u32 v87, v87, 23, 0x3b800000
	v_cndmask_b32_e32 v86, v86, v40, vcc_lo
	v_lshlrev_b32_e32 v86, 20, v86
	v_or3_b32 v86, v99, v87, v86
.LBB6_14707:                            ;   in Loop: Header=BB6_14082 Depth=3
	s_or_b32 exec_lo, exec_lo, s23
	v_max_f32_e32 v86, v86, v86
	v_max_f32_e32 v87, v98, v98
	;; [unrolled: 1-line block ×3, first 2 shown]
	s_branch .LBB6_14722
.LBB6_14708:                            ;   in Loop: Header=BB6_14082 Depth=3
	s_and_b32 vcc_lo, exec_lo, s16
	s_cbranch_vccz .LBB6_14722
; %bb.14709:                            ;   in Loop: Header=BB6_14082 Depth=3
	v_cmp_gt_i16_sdwa s23, v116, v61 src0_sel:BYTE_0 src1_sel:DWORD
	s_mov_b32 s16, 0
	s_and_saveexec_b32 s73, s23
	s_xor_b32 s23, exec_lo, s73
	s_cbranch_execz .LBB6_15372
; %bb.14710:                            ;   in Loop: Header=BB6_14082 Depth=3
	v_cmp_eq_u16_sdwa s74, v116, v62 src0_sel:BYTE_0 src1_sel:DWORD
	s_mov_b32 s16, -1
	s_and_saveexec_b32 s73, s74
; %bb.14711:                            ;   in Loop: Header=BB6_14082 Depth=3
	s_xor_b32 s16, exec_lo, -1
; %bb.14712:                            ;   in Loop: Header=BB6_14082 Depth=3
	s_or_b32 exec_lo, exec_lo, s73
	s_and_b32 s16, s16, exec_lo
	s_or_saveexec_b32 s23, s23
	v_mov_b32_e32 v98, 0x7f800001
	s_xor_b32 exec_lo, exec_lo, s23
	s_cbranch_execnz .LBB6_15373
.LBB6_14713:                            ;   in Loop: Header=BB6_14082 Depth=3
	s_or_b32 exec_lo, exec_lo, s23
	s_and_saveexec_b32 s23, s16
	s_cbranch_execz .LBB6_14715
.LBB6_14714:                            ;   in Loop: Header=BB6_14082 Depth=3
	v_and_b32_e32 v86, 7, v116
	v_lshrrev_b16 v98, 3, v116
	v_ffbh_u32_e32 v87, v86
	v_and_b32_e32 v98, 15, v98
	v_min_u32_e32 v87, 32, v87
	v_cmp_eq_u32_e32 vcc_lo, 0, v98
	v_subrev_nc_u32_e32 v99, 28, v87
	v_sub_nc_u32_e32 v87, 29, v87
	v_lshlrev_b32_e32 v99, v99, v116
	v_lshlrev_b32_e32 v116, 24, v116
	v_cndmask_b32_e32 v87, v98, v87, vcc_lo
	v_and_b32_e32 v99, 7, v99
	v_and_b32_e32 v98, 0x80000000, v116
	v_lshl_add_u32 v87, v87, 23, 0x3b800000
	v_cndmask_b32_e32 v86, v86, v99, vcc_lo
	v_lshlrev_b32_e32 v86, 20, v86
	v_or3_b32 v98, v98, v87, v86
.LBB6_14715:                            ;   in Loop: Header=BB6_14082 Depth=3
	s_or_b32 exec_lo, exec_lo, s23
	s_waitcnt vmcnt(14) lgkmcnt(14)
	v_cmp_gt_i16_sdwa s23, v117, v61 src0_sel:BYTE_0 src1_sel:DWORD
	s_mov_b32 s16, 0
	s_and_saveexec_b32 s73, s23
	s_xor_b32 s23, exec_lo, s73
	s_cbranch_execz .LBB6_15374
; %bb.14716:                            ;   in Loop: Header=BB6_14082 Depth=3
	v_cmp_eq_u16_sdwa s74, v117, v62 src0_sel:BYTE_0 src1_sel:DWORD
	s_mov_b32 s16, -1
	s_and_saveexec_b32 s73, s74
; %bb.14717:                            ;   in Loop: Header=BB6_14082 Depth=3
	s_xor_b32 s16, exec_lo, -1
; %bb.14718:                            ;   in Loop: Header=BB6_14082 Depth=3
	s_or_b32 exec_lo, exec_lo, s73
	s_and_b32 s16, s16, exec_lo
	s_or_saveexec_b32 s23, s23
	v_mov_b32_e32 v86, 0x7f800001
	s_xor_b32 exec_lo, exec_lo, s23
	s_cbranch_execnz .LBB6_15375
.LBB6_14719:                            ;   in Loop: Header=BB6_14082 Depth=3
	s_or_b32 exec_lo, exec_lo, s23
	s_and_saveexec_b32 s23, s16
	s_cbranch_execz .LBB6_14721
.LBB6_14720:                            ;   in Loop: Header=BB6_14082 Depth=3
	v_and_b32_e32 v86, 7, v117
	v_lshrrev_b16 v99, 3, v117
	v_ffbh_u32_e32 v87, v86
	v_and_b32_e32 v99, 15, v99
	v_min_u32_e32 v87, 32, v87
	v_cmp_eq_u32_e32 vcc_lo, 0, v99
	v_subrev_nc_u32_e32 v116, 28, v87
	v_sub_nc_u32_e32 v87, 29, v87
	v_lshlrev_b32_e32 v116, v116, v117
	v_lshlrev_b32_e32 v117, 24, v117
	v_cndmask_b32_e32 v87, v99, v87, vcc_lo
	v_and_b32_e32 v116, 7, v116
	v_and_b32_e32 v99, 0x80000000, v117
	v_lshl_add_u32 v87, v87, 23, 0x3b800000
	v_cndmask_b32_e32 v86, v86, v116, vcc_lo
	v_lshlrev_b32_e32 v86, 20, v86
	v_or3_b32 v86, v99, v87, v86
.LBB6_14721:                            ;   in Loop: Header=BB6_14082 Depth=3
	s_or_b32 exec_lo, exec_lo, s23
	v_max_f32_e32 v86, v86, v86
	v_max_f32_e32 v87, v98, v98
	v_min_f32_e32 v98, v87, v86
.LBB6_14722:                            ;   in Loop: Header=BB6_14082 Depth=3
	v_and_b32_e32 v86, 0x7f800000, v98
	v_mov_b32_e32 v116, 0x80
	s_mov_b32 s23, exec_lo
	v_cmpx_ne_u32_e32 0x7f800000, v86
	s_cbranch_execz .LBB6_14730
; %bb.14723:                            ;   in Loop: Header=BB6_14082 Depth=3
	v_mov_b32_e32 v116, 0
	s_mov_b32 s73, exec_lo
	v_cmpx_ne_u32_e32 0, v98
	s_cbranch_execz .LBB6_14729
; %bb.14724:                            ;   in Loop: Header=BB6_14082 Depth=3
	v_bfe_u32 v87, v98, 23, 8
	v_and_b32_e32 v86, 0x7fffff, v98
                                        ; implicit-def: $vgpr40
	v_cmp_gt_u32_e64 s16, 0x79, v87
	v_sub_nc_u32_e32 v99, 0x78, v87
	v_cmp_eq_u32_e32 vcc_lo, 0, v87
	v_or_b32_e32 v116, 0x800000, v86
	v_add_nc_u32_e32 v87, 0xffffff89, v87
	v_cndmask_b32_e64 v99, 0, v99, s16
	v_cndmask_b32_e32 v86, v116, v86, vcc_lo
	v_cndmask_b32_e64 v87, v87, 0xffffff8a, vcc_lo
	v_cndmask_b32_e64 v99, v99, 0x77, vcc_lo
	v_lshl_add_u32 v116, 0x100000, v99, -1
	s_waitcnt vmcnt(14) lgkmcnt(14)
	v_lshlrev_b32_e64 v117, v99, 0x80000
	v_and_b32_e32 v116, v116, v86
	v_lshrrev_b32_e32 v86, v99, v86
	v_add_nc_u32_e32 v99, v99, v87
	v_cmp_eq_u32_e64 s16, v116, v117
	v_lshrrev_b32_e32 v87, 23, v86
	v_xor_b32_e32 v116, 1, v87
	v_bfe_u32 v87, v86, 20, 1
	v_add_nc_u32_e32 v87, -1, v87
	v_cndmask_b32_e64 v87, 0, v87, s16
	s_mov_b32 s16, exec_lo
	v_add_nc_u32_e32 v87, v87, v86
	v_and_b32_e32 v87, 0xfffff, v87
	v_add_nc_u32_e32 v117, v87, v86
	v_cmpx_ne_u32_e64 v99, v116
	s_xor_b32 s16, exec_lo, s16
; %bb.14725:                            ;   in Loop: Header=BB6_14082 Depth=3
	v_cmp_lt_u32_e32 vcc_lo, 0xffffff, v117
	v_sub_nc_u32_e32 v86, v99, v116
	v_cndmask_b32_e64 v87, 0, 1, vcc_lo
	v_add_co_ci_u32_e64 v40, null, 0, v86, vcc_lo
	v_lshrrev_b32_e32 v117, v87, v117
; %bb.14726:                            ;   in Loop: Header=BB6_14082 Depth=3
	s_andn2_saveexec_b32 s16, s16
; %bb.14727:                            ;   in Loop: Header=BB6_14082 Depth=3
	v_bfe_u32 v40, v117, 23, 1
; %bb.14728:                            ;   in Loop: Header=BB6_14082 Depth=3
	s_or_b32 exec_lo, exec_lo, s16
	v_lshrrev_b32_e32 v87, 20, v117
	v_cmp_gt_i32_e32 vcc_lo, 16, v40
	v_and_b32_sdwa v86, v98, v62 dst_sel:DWORD dst_unused:UNUSED_PAD src0_sel:BYTE_3 src1_sel:DWORD
	v_min_i32_e32 v98, 15, v40
	v_cndmask_b32_e32 v87, 7, v87, vcc_lo
	v_lshlrev_b32_e32 v98, 3, v98
	v_or_b32_e32 v99, v40, v87
	v_and_b32_e32 v87, 7, v87
	v_cmp_ne_u32_e32 vcc_lo, 0, v99
	v_or3_b32 v86, v98, v86, v87
	v_cndmask_b32_e32 v116, 0, v86, vcc_lo
.LBB6_14729:                            ;   in Loop: Header=BB6_14082 Depth=3
	s_or_b32 exec_lo, exec_lo, s73
.LBB6_14730:                            ;   in Loop: Header=BB6_14082 Depth=3
	s_or_b32 exec_lo, exec_lo, s23
	s_mov_b32 s16, -1
	s_andn2_b32 vcc_lo, exec_lo, s19
                                        ; implicit-def: $vgpr98
	s_cbranch_vccnz .LBB6_14744
; %bb.14731:                            ;   in Loop: Header=BB6_14082 Depth=3
	v_cmp_gt_i16_sdwa s23, v113, v61 src0_sel:BYTE_0 src1_sel:DWORD
	s_mov_b32 s16, 0
	s_and_saveexec_b32 s73, s23
	s_xor_b32 s23, exec_lo, s73
	s_cbranch_execz .LBB6_15376
; %bb.14732:                            ;   in Loop: Header=BB6_14082 Depth=3
	v_cmp_eq_u16_sdwa s74, v113, v62 src0_sel:BYTE_0 src1_sel:DWORD
	s_mov_b32 s16, -1
	s_and_saveexec_b32 s73, s74
; %bb.14733:                            ;   in Loop: Header=BB6_14082 Depth=3
	s_xor_b32 s16, exec_lo, -1
; %bb.14734:                            ;   in Loop: Header=BB6_14082 Depth=3
	s_or_b32 exec_lo, exec_lo, s73
	s_and_b32 s16, s16, exec_lo
	s_or_saveexec_b32 s23, s23
	v_mov_b32_e32 v98, 0x7f800001
	s_xor_b32 exec_lo, exec_lo, s23
	s_cbranch_execnz .LBB6_15377
.LBB6_14735:                            ;   in Loop: Header=BB6_14082 Depth=3
	s_or_b32 exec_lo, exec_lo, s23
	s_and_saveexec_b32 s23, s16
	s_cbranch_execz .LBB6_14737
.LBB6_14736:                            ;   in Loop: Header=BB6_14082 Depth=3
	v_and_b32_e32 v86, 7, v113
	v_lshrrev_b16 v98, 3, v113
	s_waitcnt vmcnt(14) lgkmcnt(14)
	v_lshlrev_b32_e32 v117, 24, v113
	v_ffbh_u32_e32 v87, v86
	v_and_b32_e32 v98, 15, v98
	v_min_u32_e32 v87, 32, v87
	v_cmp_eq_u32_e32 vcc_lo, 0, v98
	v_subrev_nc_u32_e32 v99, 28, v87
	v_sub_nc_u32_e32 v87, 29, v87
	v_lshlrev_b32_e32 v99, v99, v113
	v_cndmask_b32_e32 v87, v98, v87, vcc_lo
	v_and_b32_e32 v98, 0x80000000, v117
	v_and_b32_e32 v99, 7, v99
	v_lshl_add_u32 v87, v87, 23, 0x3b800000
	v_cndmask_b32_e32 v86, v86, v99, vcc_lo
	v_lshlrev_b32_e32 v86, 20, v86
	v_or3_b32 v98, v98, v87, v86
.LBB6_14737:                            ;   in Loop: Header=BB6_14082 Depth=3
	s_or_b32 exec_lo, exec_lo, s23
	s_waitcnt vmcnt(13) lgkmcnt(13)
	v_cmp_gt_i16_sdwa s23, v114, v61 src0_sel:BYTE_0 src1_sel:DWORD
	s_mov_b32 s16, 0
	s_and_saveexec_b32 s73, s23
	s_xor_b32 s23, exec_lo, s73
	s_cbranch_execz .LBB6_15378
; %bb.14738:                            ;   in Loop: Header=BB6_14082 Depth=3
	v_cmp_eq_u16_sdwa s74, v114, v62 src0_sel:BYTE_0 src1_sel:DWORD
	s_mov_b32 s16, -1
	s_and_saveexec_b32 s73, s74
; %bb.14739:                            ;   in Loop: Header=BB6_14082 Depth=3
	s_xor_b32 s16, exec_lo, -1
; %bb.14740:                            ;   in Loop: Header=BB6_14082 Depth=3
	s_or_b32 exec_lo, exec_lo, s73
	s_and_b32 s16, s16, exec_lo
	s_or_saveexec_b32 s23, s23
	v_mov_b32_e32 v86, 0x7f800001
	s_xor_b32 exec_lo, exec_lo, s23
	s_cbranch_execnz .LBB6_15379
.LBB6_14741:                            ;   in Loop: Header=BB6_14082 Depth=3
	s_or_b32 exec_lo, exec_lo, s23
	s_and_saveexec_b32 s23, s16
	s_cbranch_execz .LBB6_14743
.LBB6_14742:                            ;   in Loop: Header=BB6_14082 Depth=3
	v_and_b32_e32 v86, 7, v114
	v_lshrrev_b16 v99, 3, v114
	v_lshlrev_b32_e32 v40, 24, v114
	v_ffbh_u32_e32 v87, v86
	v_and_b32_e32 v99, 15, v99
	v_min_u32_e32 v87, 32, v87
	v_cmp_eq_u32_e32 vcc_lo, 0, v99
	v_subrev_nc_u32_e32 v117, 28, v87
	v_sub_nc_u32_e32 v87, 29, v87
	v_lshlrev_b32_e32 v117, v117, v114
	v_cndmask_b32_e32 v87, v99, v87, vcc_lo
	v_and_b32_e32 v99, 0x80000000, v40
	v_and_b32_e32 v117, 7, v117
	v_lshl_add_u32 v87, v87, 23, 0x3b800000
	v_cndmask_b32_e32 v86, v86, v117, vcc_lo
	v_lshlrev_b32_e32 v86, 20, v86
	v_or3_b32 v86, v99, v87, v86
.LBB6_14743:                            ;   in Loop: Header=BB6_14082 Depth=3
	s_or_b32 exec_lo, exec_lo, s23
	v_max_f32_e32 v86, v86, v86
	v_max_f32_e32 v87, v98, v98
	;; [unrolled: 1-line block ×3, first 2 shown]
	s_branch .LBB6_14758
.LBB6_14744:                            ;   in Loop: Header=BB6_14082 Depth=3
	s_and_b32 vcc_lo, exec_lo, s16
	s_cbranch_vccz .LBB6_14758
; %bb.14745:                            ;   in Loop: Header=BB6_14082 Depth=3
	v_cmp_gt_i16_sdwa s23, v113, v61 src0_sel:BYTE_0 src1_sel:DWORD
	s_mov_b32 s16, 0
	s_and_saveexec_b32 s73, s23
	s_xor_b32 s23, exec_lo, s73
	s_cbranch_execz .LBB6_15380
; %bb.14746:                            ;   in Loop: Header=BB6_14082 Depth=3
	v_cmp_eq_u16_sdwa s74, v113, v62 src0_sel:BYTE_0 src1_sel:DWORD
	s_mov_b32 s16, -1
	s_and_saveexec_b32 s73, s74
; %bb.14747:                            ;   in Loop: Header=BB6_14082 Depth=3
	s_xor_b32 s16, exec_lo, -1
; %bb.14748:                            ;   in Loop: Header=BB6_14082 Depth=3
	s_or_b32 exec_lo, exec_lo, s73
	s_and_b32 s16, s16, exec_lo
	s_or_saveexec_b32 s23, s23
	v_mov_b32_e32 v98, 0x7f800001
	s_xor_b32 exec_lo, exec_lo, s23
	s_cbranch_execnz .LBB6_15381
.LBB6_14749:                            ;   in Loop: Header=BB6_14082 Depth=3
	s_or_b32 exec_lo, exec_lo, s23
	s_and_saveexec_b32 s23, s16
	s_cbranch_execz .LBB6_14751
.LBB6_14750:                            ;   in Loop: Header=BB6_14082 Depth=3
	v_and_b32_e32 v86, 7, v113
	v_lshrrev_b16 v98, 3, v113
	v_ffbh_u32_e32 v87, v86
	v_and_b32_e32 v98, 15, v98
	v_min_u32_e32 v87, 32, v87
	v_cmp_eq_u32_e32 vcc_lo, 0, v98
	v_subrev_nc_u32_e32 v99, 28, v87
	v_sub_nc_u32_e32 v87, 29, v87
	v_lshlrev_b32_e32 v99, v99, v113
	v_lshlrev_b32_e32 v113, 24, v113
	v_cndmask_b32_e32 v87, v98, v87, vcc_lo
	v_and_b32_e32 v99, 7, v99
	v_and_b32_e32 v98, 0x80000000, v113
	v_lshl_add_u32 v87, v87, 23, 0x3b800000
	v_cndmask_b32_e32 v86, v86, v99, vcc_lo
	v_lshlrev_b32_e32 v86, 20, v86
	v_or3_b32 v98, v98, v87, v86
.LBB6_14751:                            ;   in Loop: Header=BB6_14082 Depth=3
	s_or_b32 exec_lo, exec_lo, s23
	s_waitcnt vmcnt(13) lgkmcnt(13)
	v_cmp_gt_i16_sdwa s23, v114, v61 src0_sel:BYTE_0 src1_sel:DWORD
	s_mov_b32 s16, 0
	s_and_saveexec_b32 s73, s23
	s_xor_b32 s23, exec_lo, s73
	s_cbranch_execz .LBB6_15382
; %bb.14752:                            ;   in Loop: Header=BB6_14082 Depth=3
	v_cmp_eq_u16_sdwa s74, v114, v62 src0_sel:BYTE_0 src1_sel:DWORD
	s_mov_b32 s16, -1
	s_and_saveexec_b32 s73, s74
; %bb.14753:                            ;   in Loop: Header=BB6_14082 Depth=3
	s_xor_b32 s16, exec_lo, -1
; %bb.14754:                            ;   in Loop: Header=BB6_14082 Depth=3
	s_or_b32 exec_lo, exec_lo, s73
	s_and_b32 s16, s16, exec_lo
	s_or_saveexec_b32 s23, s23
	v_mov_b32_e32 v86, 0x7f800001
	s_xor_b32 exec_lo, exec_lo, s23
	s_cbranch_execnz .LBB6_15383
.LBB6_14755:                            ;   in Loop: Header=BB6_14082 Depth=3
	s_or_b32 exec_lo, exec_lo, s23
	s_and_saveexec_b32 s23, s16
	s_cbranch_execz .LBB6_14757
.LBB6_14756:                            ;   in Loop: Header=BB6_14082 Depth=3
	v_and_b32_e32 v86, 7, v114
	v_lshrrev_b16 v99, 3, v114
	v_ffbh_u32_e32 v87, v86
	v_and_b32_e32 v99, 15, v99
	v_min_u32_e32 v87, 32, v87
	v_cmp_eq_u32_e32 vcc_lo, 0, v99
	v_subrev_nc_u32_e32 v113, 28, v87
	v_sub_nc_u32_e32 v87, 29, v87
	v_lshlrev_b32_e32 v113, v113, v114
	v_lshlrev_b32_e32 v114, 24, v114
	v_cndmask_b32_e32 v87, v99, v87, vcc_lo
	v_and_b32_e32 v113, 7, v113
	v_and_b32_e32 v99, 0x80000000, v114
	v_lshl_add_u32 v87, v87, 23, 0x3b800000
	v_cndmask_b32_e32 v86, v86, v113, vcc_lo
	v_lshlrev_b32_e32 v86, 20, v86
	v_or3_b32 v86, v99, v87, v86
.LBB6_14757:                            ;   in Loop: Header=BB6_14082 Depth=3
	s_or_b32 exec_lo, exec_lo, s23
	v_max_f32_e32 v86, v86, v86
	v_max_f32_e32 v87, v98, v98
	v_min_f32_e32 v98, v87, v86
.LBB6_14758:                            ;   in Loop: Header=BB6_14082 Depth=3
	v_and_b32_e32 v86, 0x7f800000, v98
	v_mov_b32_e32 v113, 0x80
	s_mov_b32 s23, exec_lo
	v_cmpx_ne_u32_e32 0x7f800000, v86
	s_cbranch_execz .LBB6_14766
; %bb.14759:                            ;   in Loop: Header=BB6_14082 Depth=3
	v_mov_b32_e32 v113, 0
	s_mov_b32 s73, exec_lo
	v_cmpx_ne_u32_e32 0, v98
	s_cbranch_execz .LBB6_14765
; %bb.14760:                            ;   in Loop: Header=BB6_14082 Depth=3
	v_bfe_u32 v87, v98, 23, 8
	v_and_b32_e32 v86, 0x7fffff, v98
                                        ; implicit-def: $vgpr117
	v_cmp_gt_u32_e64 s16, 0x79, v87
	v_sub_nc_u32_e32 v99, 0x78, v87
	v_cmp_eq_u32_e32 vcc_lo, 0, v87
	v_or_b32_e32 v113, 0x800000, v86
	v_add_nc_u32_e32 v87, 0xffffff89, v87
	v_cndmask_b32_e64 v99, 0, v99, s16
	v_cndmask_b32_e32 v86, v113, v86, vcc_lo
	v_cndmask_b32_e64 v87, v87, 0xffffff8a, vcc_lo
	v_cndmask_b32_e64 v99, v99, 0x77, vcc_lo
	v_lshl_add_u32 v113, 0x100000, v99, -1
	s_waitcnt vmcnt(13) lgkmcnt(13)
	v_lshlrev_b32_e64 v114, v99, 0x80000
	v_and_b32_e32 v113, v113, v86
	v_lshrrev_b32_e32 v86, v99, v86
	v_add_nc_u32_e32 v99, v99, v87
	v_cmp_eq_u32_e64 s16, v113, v114
	v_lshrrev_b32_e32 v87, 23, v86
	v_xor_b32_e32 v113, 1, v87
	v_bfe_u32 v87, v86, 20, 1
	v_add_nc_u32_e32 v87, -1, v87
	v_cndmask_b32_e64 v87, 0, v87, s16
	s_mov_b32 s16, exec_lo
	v_add_nc_u32_e32 v87, v87, v86
	v_and_b32_e32 v87, 0xfffff, v87
	v_add_nc_u32_e32 v114, v87, v86
	v_cmpx_ne_u32_e64 v99, v113
	s_xor_b32 s16, exec_lo, s16
; %bb.14761:                            ;   in Loop: Header=BB6_14082 Depth=3
	v_cmp_lt_u32_e32 vcc_lo, 0xffffff, v114
	v_sub_nc_u32_e32 v86, v99, v113
	v_cndmask_b32_e64 v87, 0, 1, vcc_lo
	v_add_co_ci_u32_e64 v117, null, 0, v86, vcc_lo
	v_lshrrev_b32_e32 v114, v87, v114
; %bb.14762:                            ;   in Loop: Header=BB6_14082 Depth=3
	s_andn2_saveexec_b32 s16, s16
; %bb.14763:                            ;   in Loop: Header=BB6_14082 Depth=3
	v_bfe_u32 v117, v114, 23, 1
; %bb.14764:                            ;   in Loop: Header=BB6_14082 Depth=3
	s_or_b32 exec_lo, exec_lo, s16
	v_lshrrev_b32_e32 v87, 20, v114
	v_cmp_gt_i32_e32 vcc_lo, 16, v117
	v_and_b32_sdwa v86, v98, v62 dst_sel:DWORD dst_unused:UNUSED_PAD src0_sel:BYTE_3 src1_sel:DWORD
	v_min_i32_e32 v98, 15, v117
	v_cndmask_b32_e32 v87, 7, v87, vcc_lo
	v_lshlrev_b32_e32 v98, 3, v98
	v_or_b32_e32 v99, v117, v87
	v_and_b32_e32 v87, 7, v87
	v_cmp_ne_u32_e32 vcc_lo, 0, v99
	v_or3_b32 v86, v98, v86, v87
	v_cndmask_b32_e32 v113, 0, v86, vcc_lo
.LBB6_14765:                            ;   in Loop: Header=BB6_14082 Depth=3
	s_or_b32 exec_lo, exec_lo, s73
.LBB6_14766:                            ;   in Loop: Header=BB6_14082 Depth=3
	s_or_b32 exec_lo, exec_lo, s23
	s_mov_b32 s16, -1
	s_andn2_b32 vcc_lo, exec_lo, s19
                                        ; implicit-def: $vgpr98
	s_cbranch_vccnz .LBB6_14780
; %bb.14767:                            ;   in Loop: Header=BB6_14082 Depth=3
	v_cmp_gt_i16_sdwa s23, v101, v61 src0_sel:BYTE_0 src1_sel:DWORD
	s_mov_b32 s16, 0
	s_and_saveexec_b32 s73, s23
	s_xor_b32 s23, exec_lo, s73
	s_cbranch_execz .LBB6_15384
; %bb.14768:                            ;   in Loop: Header=BB6_14082 Depth=3
	v_cmp_eq_u16_sdwa s74, v101, v62 src0_sel:BYTE_0 src1_sel:DWORD
	s_mov_b32 s16, -1
	s_and_saveexec_b32 s73, s74
; %bb.14769:                            ;   in Loop: Header=BB6_14082 Depth=3
	s_xor_b32 s16, exec_lo, -1
; %bb.14770:                            ;   in Loop: Header=BB6_14082 Depth=3
	s_or_b32 exec_lo, exec_lo, s73
	s_and_b32 s16, s16, exec_lo
	s_or_saveexec_b32 s23, s23
	v_mov_b32_e32 v98, 0x7f800001
	s_xor_b32 exec_lo, exec_lo, s23
	s_cbranch_execnz .LBB6_15385
.LBB6_14771:                            ;   in Loop: Header=BB6_14082 Depth=3
	s_or_b32 exec_lo, exec_lo, s23
	s_and_saveexec_b32 s23, s16
	s_cbranch_execz .LBB6_14773
.LBB6_14772:                            ;   in Loop: Header=BB6_14082 Depth=3
	v_and_b32_e32 v86, 7, v101
	v_lshrrev_b16 v98, 3, v101
	s_waitcnt vmcnt(13) lgkmcnt(13)
	v_lshlrev_b32_e32 v114, 24, v101
	v_ffbh_u32_e32 v87, v86
	v_and_b32_e32 v98, 15, v98
	v_min_u32_e32 v87, 32, v87
	v_cmp_eq_u32_e32 vcc_lo, 0, v98
	v_subrev_nc_u32_e32 v99, 28, v87
	v_sub_nc_u32_e32 v87, 29, v87
	v_lshlrev_b32_e32 v99, v99, v101
	v_cndmask_b32_e32 v87, v98, v87, vcc_lo
	v_and_b32_e32 v98, 0x80000000, v114
	v_and_b32_e32 v99, 7, v99
	v_lshl_add_u32 v87, v87, 23, 0x3b800000
	v_cndmask_b32_e32 v86, v86, v99, vcc_lo
	v_lshlrev_b32_e32 v86, 20, v86
	v_or3_b32 v98, v98, v87, v86
.LBB6_14773:                            ;   in Loop: Header=BB6_14082 Depth=3
	s_or_b32 exec_lo, exec_lo, s23
	s_waitcnt vmcnt(12) lgkmcnt(12)
	v_cmp_gt_i16_sdwa s23, v102, v61 src0_sel:BYTE_0 src1_sel:DWORD
	s_mov_b32 s16, 0
	s_and_saveexec_b32 s73, s23
	s_xor_b32 s23, exec_lo, s73
	s_cbranch_execz .LBB6_15386
; %bb.14774:                            ;   in Loop: Header=BB6_14082 Depth=3
	v_cmp_eq_u16_sdwa s74, v102, v62 src0_sel:BYTE_0 src1_sel:DWORD
	s_mov_b32 s16, -1
	s_and_saveexec_b32 s73, s74
; %bb.14775:                            ;   in Loop: Header=BB6_14082 Depth=3
	s_xor_b32 s16, exec_lo, -1
; %bb.14776:                            ;   in Loop: Header=BB6_14082 Depth=3
	s_or_b32 exec_lo, exec_lo, s73
	s_and_b32 s16, s16, exec_lo
	s_or_saveexec_b32 s23, s23
	v_mov_b32_e32 v86, 0x7f800001
	s_xor_b32 exec_lo, exec_lo, s23
	s_cbranch_execnz .LBB6_15387
.LBB6_14777:                            ;   in Loop: Header=BB6_14082 Depth=3
	s_or_b32 exec_lo, exec_lo, s23
	s_and_saveexec_b32 s23, s16
	s_cbranch_execz .LBB6_14779
.LBB6_14778:                            ;   in Loop: Header=BB6_14082 Depth=3
	v_and_b32_e32 v86, 7, v102
	v_lshrrev_b16 v99, 3, v102
	v_lshlrev_b32_e32 v117, 24, v102
	v_ffbh_u32_e32 v87, v86
	v_and_b32_e32 v99, 15, v99
	v_min_u32_e32 v87, 32, v87
	v_cmp_eq_u32_e32 vcc_lo, 0, v99
	v_subrev_nc_u32_e32 v114, 28, v87
	v_sub_nc_u32_e32 v87, 29, v87
	v_lshlrev_b32_e32 v114, v114, v102
	v_cndmask_b32_e32 v87, v99, v87, vcc_lo
	v_and_b32_e32 v99, 0x80000000, v117
	v_and_b32_e32 v114, 7, v114
	v_lshl_add_u32 v87, v87, 23, 0x3b800000
	v_cndmask_b32_e32 v86, v86, v114, vcc_lo
	v_lshlrev_b32_e32 v86, 20, v86
	v_or3_b32 v86, v99, v87, v86
.LBB6_14779:                            ;   in Loop: Header=BB6_14082 Depth=3
	s_or_b32 exec_lo, exec_lo, s23
	v_max_f32_e32 v86, v86, v86
	v_max_f32_e32 v87, v98, v98
	;; [unrolled: 1-line block ×3, first 2 shown]
	s_branch .LBB6_14794
.LBB6_14780:                            ;   in Loop: Header=BB6_14082 Depth=3
	s_and_b32 vcc_lo, exec_lo, s16
	s_cbranch_vccz .LBB6_14794
; %bb.14781:                            ;   in Loop: Header=BB6_14082 Depth=3
	v_cmp_gt_i16_sdwa s23, v101, v61 src0_sel:BYTE_0 src1_sel:DWORD
	s_mov_b32 s16, 0
	s_and_saveexec_b32 s73, s23
	s_xor_b32 s23, exec_lo, s73
	s_cbranch_execz .LBB6_15388
; %bb.14782:                            ;   in Loop: Header=BB6_14082 Depth=3
	v_cmp_eq_u16_sdwa s74, v101, v62 src0_sel:BYTE_0 src1_sel:DWORD
	s_mov_b32 s16, -1
	s_and_saveexec_b32 s73, s74
; %bb.14783:                            ;   in Loop: Header=BB6_14082 Depth=3
	s_xor_b32 s16, exec_lo, -1
; %bb.14784:                            ;   in Loop: Header=BB6_14082 Depth=3
	s_or_b32 exec_lo, exec_lo, s73
	s_and_b32 s16, s16, exec_lo
	s_or_saveexec_b32 s23, s23
	v_mov_b32_e32 v98, 0x7f800001
	s_xor_b32 exec_lo, exec_lo, s23
	s_cbranch_execnz .LBB6_15389
.LBB6_14785:                            ;   in Loop: Header=BB6_14082 Depth=3
	s_or_b32 exec_lo, exec_lo, s23
	s_and_saveexec_b32 s23, s16
	s_cbranch_execz .LBB6_14787
.LBB6_14786:                            ;   in Loop: Header=BB6_14082 Depth=3
	v_and_b32_e32 v86, 7, v101
	v_lshrrev_b16 v98, 3, v101
	v_ffbh_u32_e32 v87, v86
	v_and_b32_e32 v98, 15, v98
	v_min_u32_e32 v87, 32, v87
	v_cmp_eq_u32_e32 vcc_lo, 0, v98
	v_subrev_nc_u32_e32 v99, 28, v87
	v_sub_nc_u32_e32 v87, 29, v87
	v_lshlrev_b32_e32 v99, v99, v101
	v_lshlrev_b32_e32 v101, 24, v101
	v_cndmask_b32_e32 v87, v98, v87, vcc_lo
	v_and_b32_e32 v99, 7, v99
	v_and_b32_e32 v98, 0x80000000, v101
	v_lshl_add_u32 v87, v87, 23, 0x3b800000
	v_cndmask_b32_e32 v86, v86, v99, vcc_lo
	v_lshlrev_b32_e32 v86, 20, v86
	v_or3_b32 v98, v98, v87, v86
.LBB6_14787:                            ;   in Loop: Header=BB6_14082 Depth=3
	s_or_b32 exec_lo, exec_lo, s23
	s_waitcnt vmcnt(12) lgkmcnt(12)
	v_cmp_gt_i16_sdwa s23, v102, v61 src0_sel:BYTE_0 src1_sel:DWORD
	s_mov_b32 s16, 0
	s_and_saveexec_b32 s73, s23
	s_xor_b32 s23, exec_lo, s73
	s_cbranch_execz .LBB6_15390
; %bb.14788:                            ;   in Loop: Header=BB6_14082 Depth=3
	v_cmp_eq_u16_sdwa s74, v102, v62 src0_sel:BYTE_0 src1_sel:DWORD
	s_mov_b32 s16, -1
	s_and_saveexec_b32 s73, s74
; %bb.14789:                            ;   in Loop: Header=BB6_14082 Depth=3
	s_xor_b32 s16, exec_lo, -1
; %bb.14790:                            ;   in Loop: Header=BB6_14082 Depth=3
	s_or_b32 exec_lo, exec_lo, s73
	s_and_b32 s16, s16, exec_lo
	s_or_saveexec_b32 s23, s23
	v_mov_b32_e32 v86, 0x7f800001
	s_xor_b32 exec_lo, exec_lo, s23
	s_cbranch_execnz .LBB6_15391
.LBB6_14791:                            ;   in Loop: Header=BB6_14082 Depth=3
	s_or_b32 exec_lo, exec_lo, s23
	s_and_saveexec_b32 s23, s16
	s_cbranch_execz .LBB6_14793
.LBB6_14792:                            ;   in Loop: Header=BB6_14082 Depth=3
	v_and_b32_e32 v86, 7, v102
	v_lshrrev_b16 v99, 3, v102
	v_ffbh_u32_e32 v87, v86
	v_and_b32_e32 v99, 15, v99
	v_min_u32_e32 v87, 32, v87
	v_cmp_eq_u32_e32 vcc_lo, 0, v99
	v_subrev_nc_u32_e32 v101, 28, v87
	v_sub_nc_u32_e32 v87, 29, v87
	v_lshlrev_b32_e32 v101, v101, v102
	v_lshlrev_b32_e32 v102, 24, v102
	v_cndmask_b32_e32 v87, v99, v87, vcc_lo
	v_and_b32_e32 v101, 7, v101
	v_and_b32_e32 v99, 0x80000000, v102
	v_lshl_add_u32 v87, v87, 23, 0x3b800000
	v_cndmask_b32_e32 v86, v86, v101, vcc_lo
	v_lshlrev_b32_e32 v86, 20, v86
	v_or3_b32 v86, v99, v87, v86
.LBB6_14793:                            ;   in Loop: Header=BB6_14082 Depth=3
	s_or_b32 exec_lo, exec_lo, s23
	v_max_f32_e32 v86, v86, v86
	v_max_f32_e32 v87, v98, v98
	v_min_f32_e32 v98, v87, v86
.LBB6_14794:                            ;   in Loop: Header=BB6_14082 Depth=3
	v_and_b32_e32 v86, 0x7f800000, v98
	v_mov_b32_e32 v101, 0x80
	s_mov_b32 s23, exec_lo
	v_cmpx_ne_u32_e32 0x7f800000, v86
	s_cbranch_execz .LBB6_14802
; %bb.14795:                            ;   in Loop: Header=BB6_14082 Depth=3
	v_mov_b32_e32 v101, 0
	s_mov_b32 s73, exec_lo
	v_cmpx_ne_u32_e32 0, v98
	s_cbranch_execz .LBB6_14801
; %bb.14796:                            ;   in Loop: Header=BB6_14082 Depth=3
	v_bfe_u32 v87, v98, 23, 8
	v_and_b32_e32 v86, 0x7fffff, v98
                                        ; implicit-def: $vgpr114
	v_cmp_gt_u32_e64 s16, 0x79, v87
	v_sub_nc_u32_e32 v99, 0x78, v87
	v_cmp_eq_u32_e32 vcc_lo, 0, v87
	v_or_b32_e32 v101, 0x800000, v86
	v_add_nc_u32_e32 v87, 0xffffff89, v87
	v_cndmask_b32_e64 v99, 0, v99, s16
	v_cndmask_b32_e32 v86, v101, v86, vcc_lo
	v_cndmask_b32_e64 v87, v87, 0xffffff8a, vcc_lo
	v_cndmask_b32_e64 v99, v99, 0x77, vcc_lo
	v_lshl_add_u32 v101, 0x100000, v99, -1
	s_waitcnt vmcnt(12) lgkmcnt(12)
	v_lshlrev_b32_e64 v102, v99, 0x80000
	v_and_b32_e32 v101, v101, v86
	v_lshrrev_b32_e32 v86, v99, v86
	v_add_nc_u32_e32 v99, v99, v87
	v_cmp_eq_u32_e64 s16, v101, v102
	v_lshrrev_b32_e32 v87, 23, v86
	v_xor_b32_e32 v101, 1, v87
	v_bfe_u32 v87, v86, 20, 1
	v_add_nc_u32_e32 v87, -1, v87
	v_cndmask_b32_e64 v87, 0, v87, s16
	s_mov_b32 s16, exec_lo
	v_add_nc_u32_e32 v87, v87, v86
	v_and_b32_e32 v87, 0xfffff, v87
	v_add_nc_u32_e32 v102, v87, v86
	v_cmpx_ne_u32_e64 v99, v101
	s_xor_b32 s16, exec_lo, s16
; %bb.14797:                            ;   in Loop: Header=BB6_14082 Depth=3
	v_cmp_lt_u32_e32 vcc_lo, 0xffffff, v102
	v_sub_nc_u32_e32 v86, v99, v101
	v_cndmask_b32_e64 v87, 0, 1, vcc_lo
	v_add_co_ci_u32_e64 v114, null, 0, v86, vcc_lo
	v_lshrrev_b32_e32 v102, v87, v102
; %bb.14798:                            ;   in Loop: Header=BB6_14082 Depth=3
	s_andn2_saveexec_b32 s16, s16
; %bb.14799:                            ;   in Loop: Header=BB6_14082 Depth=3
	v_bfe_u32 v114, v102, 23, 1
; %bb.14800:                            ;   in Loop: Header=BB6_14082 Depth=3
	s_or_b32 exec_lo, exec_lo, s16
	v_lshrrev_b32_e32 v87, 20, v102
	v_cmp_gt_i32_e32 vcc_lo, 16, v114
	v_and_b32_sdwa v86, v98, v62 dst_sel:DWORD dst_unused:UNUSED_PAD src0_sel:BYTE_3 src1_sel:DWORD
	v_min_i32_e32 v98, 15, v114
	v_cndmask_b32_e32 v87, 7, v87, vcc_lo
	v_lshlrev_b32_e32 v98, 3, v98
	v_or_b32_e32 v99, v114, v87
	v_and_b32_e32 v87, 7, v87
	v_cmp_ne_u32_e32 vcc_lo, 0, v99
	v_or3_b32 v86, v98, v86, v87
	v_cndmask_b32_e32 v101, 0, v86, vcc_lo
.LBB6_14801:                            ;   in Loop: Header=BB6_14082 Depth=3
	s_or_b32 exec_lo, exec_lo, s73
.LBB6_14802:                            ;   in Loop: Header=BB6_14082 Depth=3
	s_or_b32 exec_lo, exec_lo, s23
	s_mov_b32 s16, -1
	s_andn2_b32 vcc_lo, exec_lo, s19
                                        ; implicit-def: $vgpr98
	s_cbranch_vccnz .LBB6_14816
; %bb.14803:                            ;   in Loop: Header=BB6_14082 Depth=3
	v_cmp_gt_i16_sdwa s23, v83, v61 src0_sel:BYTE_0 src1_sel:DWORD
	s_mov_b32 s16, 0
	s_and_saveexec_b32 s73, s23
	s_xor_b32 s23, exec_lo, s73
	s_cbranch_execz .LBB6_15392
; %bb.14804:                            ;   in Loop: Header=BB6_14082 Depth=3
	v_cmp_eq_u16_sdwa s74, v83, v62 src0_sel:BYTE_0 src1_sel:DWORD
	s_mov_b32 s16, -1
	s_and_saveexec_b32 s73, s74
; %bb.14805:                            ;   in Loop: Header=BB6_14082 Depth=3
	s_xor_b32 s16, exec_lo, -1
; %bb.14806:                            ;   in Loop: Header=BB6_14082 Depth=3
	s_or_b32 exec_lo, exec_lo, s73
	s_and_b32 s16, s16, exec_lo
	s_or_saveexec_b32 s23, s23
	v_mov_b32_e32 v98, 0x7f800001
	s_xor_b32 exec_lo, exec_lo, s23
	s_cbranch_execnz .LBB6_15393
.LBB6_14807:                            ;   in Loop: Header=BB6_14082 Depth=3
	s_or_b32 exec_lo, exec_lo, s23
	s_and_saveexec_b32 s23, s16
	s_cbranch_execz .LBB6_14809
.LBB6_14808:                            ;   in Loop: Header=BB6_14082 Depth=3
	v_and_b32_e32 v86, 7, v83
	v_lshrrev_b16 v98, 3, v83
	s_waitcnt vmcnt(12) lgkmcnt(12)
	v_lshlrev_b32_e32 v102, 24, v83
	v_ffbh_u32_e32 v87, v86
	v_and_b32_e32 v98, 15, v98
	v_min_u32_e32 v87, 32, v87
	v_cmp_eq_u32_e32 vcc_lo, 0, v98
	v_subrev_nc_u32_e32 v99, 28, v87
	v_sub_nc_u32_e32 v87, 29, v87
	v_lshlrev_b32_e32 v99, v99, v83
	v_cndmask_b32_e32 v87, v98, v87, vcc_lo
	v_and_b32_e32 v98, 0x80000000, v102
	v_and_b32_e32 v99, 7, v99
	v_lshl_add_u32 v87, v87, 23, 0x3b800000
	v_cndmask_b32_e32 v86, v86, v99, vcc_lo
	v_lshlrev_b32_e32 v86, 20, v86
	v_or3_b32 v98, v98, v87, v86
.LBB6_14809:                            ;   in Loop: Header=BB6_14082 Depth=3
	s_or_b32 exec_lo, exec_lo, s23
	s_waitcnt vmcnt(11) lgkmcnt(11)
	v_cmp_gt_i16_sdwa s23, v84, v61 src0_sel:BYTE_0 src1_sel:DWORD
	s_mov_b32 s16, 0
	s_and_saveexec_b32 s73, s23
	s_xor_b32 s23, exec_lo, s73
	s_cbranch_execz .LBB6_15394
; %bb.14810:                            ;   in Loop: Header=BB6_14082 Depth=3
	v_cmp_eq_u16_sdwa s74, v84, v62 src0_sel:BYTE_0 src1_sel:DWORD
	s_mov_b32 s16, -1
	s_and_saveexec_b32 s73, s74
; %bb.14811:                            ;   in Loop: Header=BB6_14082 Depth=3
	s_xor_b32 s16, exec_lo, -1
; %bb.14812:                            ;   in Loop: Header=BB6_14082 Depth=3
	s_or_b32 exec_lo, exec_lo, s73
	s_and_b32 s16, s16, exec_lo
	s_or_saveexec_b32 s23, s23
	v_mov_b32_e32 v86, 0x7f800001
	s_xor_b32 exec_lo, exec_lo, s23
	s_cbranch_execnz .LBB6_15395
.LBB6_14813:                            ;   in Loop: Header=BB6_14082 Depth=3
	s_or_b32 exec_lo, exec_lo, s23
	s_and_saveexec_b32 s23, s16
	s_cbranch_execz .LBB6_14815
.LBB6_14814:                            ;   in Loop: Header=BB6_14082 Depth=3
	v_and_b32_e32 v86, 7, v84
	v_lshrrev_b16 v99, 3, v84
	v_lshlrev_b32_e32 v114, 24, v84
	v_ffbh_u32_e32 v87, v86
	v_and_b32_e32 v99, 15, v99
	v_min_u32_e32 v87, 32, v87
	v_cmp_eq_u32_e32 vcc_lo, 0, v99
	v_subrev_nc_u32_e32 v102, 28, v87
	v_sub_nc_u32_e32 v87, 29, v87
	v_lshlrev_b32_e32 v102, v102, v84
	v_cndmask_b32_e32 v87, v99, v87, vcc_lo
	v_and_b32_e32 v99, 0x80000000, v114
	v_and_b32_e32 v102, 7, v102
	v_lshl_add_u32 v87, v87, 23, 0x3b800000
	v_cndmask_b32_e32 v86, v86, v102, vcc_lo
	v_lshlrev_b32_e32 v86, 20, v86
	v_or3_b32 v86, v99, v87, v86
.LBB6_14815:                            ;   in Loop: Header=BB6_14082 Depth=3
	s_or_b32 exec_lo, exec_lo, s23
	v_max_f32_e32 v86, v86, v86
	v_max_f32_e32 v87, v98, v98
	v_max_f32_e32 v98, v87, v86
	s_branch .LBB6_14830
.LBB6_14816:                            ;   in Loop: Header=BB6_14082 Depth=3
	s_and_b32 vcc_lo, exec_lo, s16
	s_cbranch_vccz .LBB6_14830
; %bb.14817:                            ;   in Loop: Header=BB6_14082 Depth=3
	v_cmp_gt_i16_sdwa s23, v83, v61 src0_sel:BYTE_0 src1_sel:DWORD
	s_mov_b32 s16, 0
	s_and_saveexec_b32 s73, s23
	s_xor_b32 s23, exec_lo, s73
	s_cbranch_execz .LBB6_15396
; %bb.14818:                            ;   in Loop: Header=BB6_14082 Depth=3
	v_cmp_eq_u16_sdwa s74, v83, v62 src0_sel:BYTE_0 src1_sel:DWORD
	s_mov_b32 s16, -1
	s_and_saveexec_b32 s73, s74
; %bb.14819:                            ;   in Loop: Header=BB6_14082 Depth=3
	s_xor_b32 s16, exec_lo, -1
; %bb.14820:                            ;   in Loop: Header=BB6_14082 Depth=3
	s_or_b32 exec_lo, exec_lo, s73
	s_and_b32 s16, s16, exec_lo
	s_or_saveexec_b32 s23, s23
	v_mov_b32_e32 v98, 0x7f800001
	s_xor_b32 exec_lo, exec_lo, s23
	s_cbranch_execnz .LBB6_15397
.LBB6_14821:                            ;   in Loop: Header=BB6_14082 Depth=3
	s_or_b32 exec_lo, exec_lo, s23
	s_and_saveexec_b32 s23, s16
	s_cbranch_execz .LBB6_14823
.LBB6_14822:                            ;   in Loop: Header=BB6_14082 Depth=3
	v_and_b32_e32 v86, 7, v83
	v_lshrrev_b16 v98, 3, v83
	v_ffbh_u32_e32 v87, v86
	v_and_b32_e32 v98, 15, v98
	v_min_u32_e32 v87, 32, v87
	v_cmp_eq_u32_e32 vcc_lo, 0, v98
	v_subrev_nc_u32_e32 v99, 28, v87
	v_sub_nc_u32_e32 v87, 29, v87
	v_lshlrev_b32_e32 v99, v99, v83
	v_lshlrev_b32_e32 v83, 24, v83
	v_cndmask_b32_e32 v87, v98, v87, vcc_lo
	v_and_b32_e32 v99, 7, v99
	v_and_b32_e32 v83, 0x80000000, v83
	v_lshl_add_u32 v87, v87, 23, 0x3b800000
	v_cndmask_b32_e32 v86, v86, v99, vcc_lo
	v_lshlrev_b32_e32 v86, 20, v86
	v_or3_b32 v98, v83, v87, v86
.LBB6_14823:                            ;   in Loop: Header=BB6_14082 Depth=3
	s_or_b32 exec_lo, exec_lo, s23
	s_waitcnt vmcnt(11) lgkmcnt(11)
	v_cmp_gt_i16_sdwa s23, v84, v61 src0_sel:BYTE_0 src1_sel:DWORD
	s_mov_b32 s16, 0
	s_and_saveexec_b32 s73, s23
	s_xor_b32 s23, exec_lo, s73
	s_cbranch_execz .LBB6_15398
; %bb.14824:                            ;   in Loop: Header=BB6_14082 Depth=3
	v_cmp_eq_u16_sdwa s74, v84, v62 src0_sel:BYTE_0 src1_sel:DWORD
	s_mov_b32 s16, -1
	s_and_saveexec_b32 s73, s74
; %bb.14825:                            ;   in Loop: Header=BB6_14082 Depth=3
	s_xor_b32 s16, exec_lo, -1
; %bb.14826:                            ;   in Loop: Header=BB6_14082 Depth=3
	s_or_b32 exec_lo, exec_lo, s73
	s_and_b32 s16, s16, exec_lo
	s_or_saveexec_b32 s23, s23
	v_mov_b32_e32 v83, 0x7f800001
	s_xor_b32 exec_lo, exec_lo, s23
	s_cbranch_execnz .LBB6_15399
.LBB6_14827:                            ;   in Loop: Header=BB6_14082 Depth=3
	s_or_b32 exec_lo, exec_lo, s23
	s_and_saveexec_b32 s23, s16
	s_cbranch_execz .LBB6_14829
.LBB6_14828:                            ;   in Loop: Header=BB6_14082 Depth=3
	v_and_b32_e32 v83, 7, v84
	v_lshrrev_b16 v87, 3, v84
	v_ffbh_u32_e32 v86, v83
	v_and_b32_e32 v87, 15, v87
	v_min_u32_e32 v86, 32, v86
	v_cmp_eq_u32_e32 vcc_lo, 0, v87
	v_subrev_nc_u32_e32 v99, 28, v86
	v_sub_nc_u32_e32 v86, 29, v86
	v_lshlrev_b32_e32 v99, v99, v84
	v_lshlrev_b32_e32 v84, 24, v84
	v_cndmask_b32_e32 v86, v87, v86, vcc_lo
	v_and_b32_e32 v99, 7, v99
	v_and_b32_e32 v84, 0x80000000, v84
	v_lshl_add_u32 v86, v86, 23, 0x3b800000
	v_cndmask_b32_e32 v83, v83, v99, vcc_lo
	v_lshlrev_b32_e32 v83, 20, v83
	v_or3_b32 v83, v84, v86, v83
.LBB6_14829:                            ;   in Loop: Header=BB6_14082 Depth=3
	s_or_b32 exec_lo, exec_lo, s23
	v_max_f32_e32 v83, v83, v83
	v_max_f32_e32 v84, v98, v98
	v_min_f32_e32 v98, v84, v83
.LBB6_14830:                            ;   in Loop: Header=BB6_14082 Depth=3
	v_and_b32_e32 v83, 0x7f800000, v98
	v_cmp_ne_u32_e32 vcc_lo, 0x7f800000, v83
	v_mov_b32_e32 v83, 0x80
	s_and_saveexec_b32 s23, vcc_lo
	s_cbranch_execz .LBB6_14838
; %bb.14831:                            ;   in Loop: Header=BB6_14082 Depth=3
	v_mov_b32_e32 v83, 0
	s_mov_b32 s73, exec_lo
	v_cmpx_ne_u32_e32 0, v98
	s_cbranch_execz .LBB6_14837
; %bb.14832:                            ;   in Loop: Header=BB6_14082 Depth=3
	s_waitcnt vmcnt(11) lgkmcnt(11)
	v_bfe_u32 v84, v98, 23, 8
	v_and_b32_e32 v83, 0x7fffff, v98
                                        ; implicit-def: $vgpr102
	v_cmp_gt_u32_e64 s16, 0x79, v84
	v_sub_nc_u32_e32 v86, 0x78, v84
	v_cmp_eq_u32_e32 vcc_lo, 0, v84
	v_or_b32_e32 v87, 0x800000, v83
	v_cndmask_b32_e64 v86, 0, v86, s16
	v_cndmask_b32_e32 v83, v87, v83, vcc_lo
	v_cndmask_b32_e64 v86, v86, 0x77, vcc_lo
	v_lshl_add_u32 v87, 0x100000, v86, -1
	v_lshlrev_b32_e64 v99, v86, 0x80000
	v_and_b32_e32 v87, v87, v83
	v_cmp_eq_u32_e64 s16, v87, v99
	v_lshrrev_b32_e32 v87, v86, v83
	v_add_nc_u32_e32 v83, 0xffffff89, v84
	v_lshrrev_b32_e32 v84, 23, v87
	v_cndmask_b32_e64 v83, v83, 0xffffff8a, vcc_lo
	v_xor_b32_e32 v84, 1, v84
	v_add_nc_u32_e32 v83, v86, v83
	v_bfe_u32 v86, v87, 20, 1
	v_add_nc_u32_e32 v86, -1, v86
	v_cndmask_b32_e64 v86, 0, v86, s16
	s_mov_b32 s16, exec_lo
	v_add_nc_u32_e32 v86, v86, v87
	v_and_b32_e32 v86, 0xfffff, v86
	v_add_nc_u32_e32 v99, v86, v87
	v_cmpx_ne_u32_e64 v83, v84
	s_xor_b32 s16, exec_lo, s16
; %bb.14833:                            ;   in Loop: Header=BB6_14082 Depth=3
	v_cmp_lt_u32_e32 vcc_lo, 0xffffff, v99
	v_sub_nc_u32_e32 v83, v83, v84
	v_cndmask_b32_e64 v84, 0, 1, vcc_lo
	v_add_co_ci_u32_e64 v102, null, 0, v83, vcc_lo
	v_lshrrev_b32_e32 v99, v84, v99
; %bb.14834:                            ;   in Loop: Header=BB6_14082 Depth=3
	s_andn2_saveexec_b32 s16, s16
; %bb.14835:                            ;   in Loop: Header=BB6_14082 Depth=3
	v_bfe_u32 v102, v99, 23, 1
; %bb.14836:                            ;   in Loop: Header=BB6_14082 Depth=3
	s_or_b32 exec_lo, exec_lo, s16
	v_lshrrev_b32_e32 v84, 20, v99
	v_cmp_gt_i32_e32 vcc_lo, 16, v102
	v_min_i32_e32 v86, 15, v102
	v_and_b32_sdwa v83, v98, v62 dst_sel:DWORD dst_unused:UNUSED_PAD src0_sel:BYTE_3 src1_sel:DWORD
	v_cndmask_b32_e32 v84, 7, v84, vcc_lo
	v_lshlrev_b32_e32 v86, 3, v86
	v_or_b32_e32 v87, v102, v84
	v_and_b32_e32 v84, 7, v84
	v_cmp_ne_u32_e32 vcc_lo, 0, v87
	v_or3_b32 v83, v86, v83, v84
	v_cndmask_b32_e32 v83, 0, v83, vcc_lo
.LBB6_14837:                            ;   in Loop: Header=BB6_14082 Depth=3
	s_or_b32 exec_lo, exec_lo, s73
.LBB6_14838:                            ;   in Loop: Header=BB6_14082 Depth=3
	s_or_b32 exec_lo, exec_lo, s23
	s_mov_b32 s16, -1
	s_andn2_b32 vcc_lo, exec_lo, s19
                                        ; implicit-def: $vgpr84
	s_cbranch_vccnz .LBB6_14852
; %bb.14839:                            ;   in Loop: Header=BB6_14082 Depth=3
	v_cmp_gt_i16_sdwa s23, v54, v61 src0_sel:BYTE_0 src1_sel:DWORD
	s_mov_b32 s16, 0
	s_and_saveexec_b32 s73, s23
	s_xor_b32 s23, exec_lo, s73
	s_cbranch_execz .LBB6_15400
; %bb.14840:                            ;   in Loop: Header=BB6_14082 Depth=3
	v_cmp_eq_u16_sdwa s74, v54, v62 src0_sel:BYTE_0 src1_sel:DWORD
	s_mov_b32 s16, -1
	s_and_saveexec_b32 s73, s74
; %bb.14841:                            ;   in Loop: Header=BB6_14082 Depth=3
	s_xor_b32 s16, exec_lo, -1
; %bb.14842:                            ;   in Loop: Header=BB6_14082 Depth=3
	s_or_b32 exec_lo, exec_lo, s73
	s_and_b32 s16, s16, exec_lo
	s_or_saveexec_b32 s23, s23
	s_waitcnt vmcnt(11) lgkmcnt(11)
	v_mov_b32_e32 v84, 0x7f800001
	s_xor_b32 exec_lo, exec_lo, s23
	s_cbranch_execnz .LBB6_15401
.LBB6_14843:                            ;   in Loop: Header=BB6_14082 Depth=3
	s_or_b32 exec_lo, exec_lo, s23
	s_and_saveexec_b32 s23, s16
	s_cbranch_execz .LBB6_14845
.LBB6_14844:                            ;   in Loop: Header=BB6_14082 Depth=3
	v_and_b32_e32 v84, 7, v54
	v_lshrrev_b16 v87, 3, v54
	v_lshlrev_b32_e32 v99, 24, v54
	v_ffbh_u32_e32 v86, v84
	v_and_b32_e32 v87, 15, v87
	v_min_u32_e32 v86, 32, v86
	v_cmp_eq_u32_e32 vcc_lo, 0, v87
	v_subrev_nc_u32_e32 v98, 28, v86
	v_sub_nc_u32_e32 v86, 29, v86
	v_lshlrev_b32_e32 v98, v98, v54
	v_cndmask_b32_e32 v86, v87, v86, vcc_lo
	v_and_b32_e32 v87, 0x80000000, v99
	v_and_b32_e32 v98, 7, v98
	v_lshl_add_u32 v86, v86, 23, 0x3b800000
	v_cndmask_b32_e32 v84, v84, v98, vcc_lo
	v_lshlrev_b32_e32 v84, 20, v84
	v_or3_b32 v84, v87, v86, v84
.LBB6_14845:                            ;   in Loop: Header=BB6_14082 Depth=3
	s_or_b32 exec_lo, exec_lo, s23
	s_waitcnt vmcnt(10) lgkmcnt(10)
	v_cmp_gt_i16_sdwa s23, v55, v61 src0_sel:BYTE_0 src1_sel:DWORD
	s_mov_b32 s16, 0
	s_and_saveexec_b32 s73, s23
	s_xor_b32 s23, exec_lo, s73
	s_cbranch_execz .LBB6_15402
; %bb.14846:                            ;   in Loop: Header=BB6_14082 Depth=3
	v_cmp_eq_u16_sdwa s74, v55, v62 src0_sel:BYTE_0 src1_sel:DWORD
	s_mov_b32 s16, -1
	s_and_saveexec_b32 s73, s74
; %bb.14847:                            ;   in Loop: Header=BB6_14082 Depth=3
	s_xor_b32 s16, exec_lo, -1
; %bb.14848:                            ;   in Loop: Header=BB6_14082 Depth=3
	s_or_b32 exec_lo, exec_lo, s73
	s_and_b32 s16, s16, exec_lo
	s_or_saveexec_b32 s23, s23
	v_mov_b32_e32 v86, 0x7f800001
	s_xor_b32 exec_lo, exec_lo, s23
	s_cbranch_execnz .LBB6_15403
.LBB6_14849:                            ;   in Loop: Header=BB6_14082 Depth=3
	s_or_b32 exec_lo, exec_lo, s23
	s_and_saveexec_b32 s23, s16
	s_cbranch_execz .LBB6_14851
.LBB6_14850:                            ;   in Loop: Header=BB6_14082 Depth=3
	v_and_b32_e32 v86, 7, v55
	v_lshrrev_b16 v98, 3, v55
	v_lshlrev_b32_e32 v102, 24, v55
	v_ffbh_u32_e32 v87, v86
	v_and_b32_e32 v98, 15, v98
	v_min_u32_e32 v87, 32, v87
	v_cmp_eq_u32_e32 vcc_lo, 0, v98
	v_subrev_nc_u32_e32 v99, 28, v87
	v_sub_nc_u32_e32 v87, 29, v87
	v_lshlrev_b32_e32 v99, v99, v55
	v_cndmask_b32_e32 v87, v98, v87, vcc_lo
	v_and_b32_e32 v98, 0x80000000, v102
	v_and_b32_e32 v99, 7, v99
	v_lshl_add_u32 v87, v87, 23, 0x3b800000
	v_cndmask_b32_e32 v86, v86, v99, vcc_lo
	v_lshlrev_b32_e32 v86, 20, v86
	v_or3_b32 v86, v98, v87, v86
.LBB6_14851:                            ;   in Loop: Header=BB6_14082 Depth=3
	s_or_b32 exec_lo, exec_lo, s23
	v_max_f32_e32 v86, v86, v86
	v_max_f32_e32 v84, v84, v84
	;; [unrolled: 1-line block ×3, first 2 shown]
	s_branch .LBB6_14866
.LBB6_14852:                            ;   in Loop: Header=BB6_14082 Depth=3
	s_and_b32 vcc_lo, exec_lo, s16
	s_cbranch_vccz .LBB6_14866
; %bb.14853:                            ;   in Loop: Header=BB6_14082 Depth=3
	v_cmp_gt_i16_sdwa s23, v54, v61 src0_sel:BYTE_0 src1_sel:DWORD
	s_mov_b32 s16, 0
	s_and_saveexec_b32 s73, s23
	s_xor_b32 s23, exec_lo, s73
	s_cbranch_execz .LBB6_15404
; %bb.14854:                            ;   in Loop: Header=BB6_14082 Depth=3
	v_cmp_eq_u16_sdwa s74, v54, v62 src0_sel:BYTE_0 src1_sel:DWORD
	s_mov_b32 s16, -1
	s_and_saveexec_b32 s73, s74
; %bb.14855:                            ;   in Loop: Header=BB6_14082 Depth=3
	s_xor_b32 s16, exec_lo, -1
; %bb.14856:                            ;   in Loop: Header=BB6_14082 Depth=3
	s_or_b32 exec_lo, exec_lo, s73
	s_and_b32 s16, s16, exec_lo
	s_or_saveexec_b32 s23, s23
	s_waitcnt vmcnt(11) lgkmcnt(11)
	v_mov_b32_e32 v84, 0x7f800001
	s_xor_b32 exec_lo, exec_lo, s23
	s_cbranch_execnz .LBB6_15405
.LBB6_14857:                            ;   in Loop: Header=BB6_14082 Depth=3
	s_or_b32 exec_lo, exec_lo, s23
	s_and_saveexec_b32 s23, s16
	s_cbranch_execz .LBB6_14859
.LBB6_14858:                            ;   in Loop: Header=BB6_14082 Depth=3
	v_and_b32_e32 v84, 7, v54
	v_lshrrev_b16 v87, 3, v54
	v_ffbh_u32_e32 v86, v84
	v_and_b32_e32 v87, 15, v87
	v_min_u32_e32 v86, 32, v86
	v_cmp_eq_u32_e32 vcc_lo, 0, v87
	v_subrev_nc_u32_e32 v98, 28, v86
	v_sub_nc_u32_e32 v86, 29, v86
	v_lshlrev_b32_e32 v98, v98, v54
	v_lshlrev_b32_e32 v54, 24, v54
	v_cndmask_b32_e32 v86, v87, v86, vcc_lo
	v_and_b32_e32 v98, 7, v98
	v_and_b32_e32 v54, 0x80000000, v54
	v_lshl_add_u32 v86, v86, 23, 0x3b800000
	v_cndmask_b32_e32 v84, v84, v98, vcc_lo
	v_lshlrev_b32_e32 v84, 20, v84
	v_or3_b32 v84, v54, v86, v84
.LBB6_14859:                            ;   in Loop: Header=BB6_14082 Depth=3
	s_or_b32 exec_lo, exec_lo, s23
	s_waitcnt vmcnt(10) lgkmcnt(10)
	v_cmp_gt_i16_sdwa s23, v55, v61 src0_sel:BYTE_0 src1_sel:DWORD
	s_mov_b32 s16, 0
	s_and_saveexec_b32 s73, s23
	s_xor_b32 s23, exec_lo, s73
	s_cbranch_execz .LBB6_15406
; %bb.14860:                            ;   in Loop: Header=BB6_14082 Depth=3
	v_cmp_eq_u16_sdwa s74, v55, v62 src0_sel:BYTE_0 src1_sel:DWORD
	s_mov_b32 s16, -1
	s_and_saveexec_b32 s73, s74
; %bb.14861:                            ;   in Loop: Header=BB6_14082 Depth=3
	s_xor_b32 s16, exec_lo, -1
; %bb.14862:                            ;   in Loop: Header=BB6_14082 Depth=3
	s_or_b32 exec_lo, exec_lo, s73
	s_and_b32 s16, s16, exec_lo
	s_or_saveexec_b32 s23, s23
	v_mov_b32_e32 v54, 0x7f800001
	s_xor_b32 exec_lo, exec_lo, s23
	s_cbranch_execnz .LBB6_15407
.LBB6_14863:                            ;   in Loop: Header=BB6_14082 Depth=3
	s_or_b32 exec_lo, exec_lo, s23
	s_and_saveexec_b32 s23, s16
	s_cbranch_execz .LBB6_14865
.LBB6_14864:                            ;   in Loop: Header=BB6_14082 Depth=3
	v_and_b32_e32 v54, 7, v55
	v_lshrrev_b16 v87, 3, v55
	v_ffbh_u32_e32 v86, v54
	v_and_b32_e32 v87, 15, v87
	v_min_u32_e32 v86, 32, v86
	v_cmp_eq_u32_e32 vcc_lo, 0, v87
	v_subrev_nc_u32_e32 v98, 28, v86
	v_sub_nc_u32_e32 v86, 29, v86
	v_lshlrev_b32_e32 v98, v98, v55
	v_lshlrev_b32_e32 v55, 24, v55
	v_cndmask_b32_e32 v86, v87, v86, vcc_lo
	v_and_b32_e32 v98, 7, v98
	v_and_b32_e32 v55, 0x80000000, v55
	v_lshl_add_u32 v86, v86, 23, 0x3b800000
	v_cndmask_b32_e32 v54, v54, v98, vcc_lo
	v_lshlrev_b32_e32 v54, 20, v54
	v_or3_b32 v54, v55, v86, v54
.LBB6_14865:                            ;   in Loop: Header=BB6_14082 Depth=3
	s_or_b32 exec_lo, exec_lo, s23
	v_max_f32_e32 v54, v54, v54
	v_max_f32_e32 v55, v84, v84
	v_min_f32_e32 v84, v55, v54
.LBB6_14866:                            ;   in Loop: Header=BB6_14082 Depth=3
	s_waitcnt vmcnt(11) lgkmcnt(11)
	v_and_b32_e32 v54, 0x7f800000, v84
	v_cmp_ne_u32_e32 vcc_lo, 0x7f800000, v54
	v_mov_b32_e32 v54, 0x80
	s_and_saveexec_b32 s23, vcc_lo
	s_cbranch_execz .LBB6_14874
; %bb.14867:                            ;   in Loop: Header=BB6_14082 Depth=3
	v_mov_b32_e32 v54, 0
	s_mov_b32 s73, exec_lo
	v_cmpx_ne_u32_e32 0, v84
	s_cbranch_execz .LBB6_14873
; %bb.14868:                            ;   in Loop: Header=BB6_14082 Depth=3
	s_waitcnt vmcnt(10) lgkmcnt(10)
	v_bfe_u32 v55, v84, 23, 8
	v_and_b32_e32 v54, 0x7fffff, v84
                                        ; implicit-def: $vgpr99
	v_cmp_gt_u32_e64 s16, 0x79, v55
	v_sub_nc_u32_e32 v86, 0x78, v55
	v_cmp_eq_u32_e32 vcc_lo, 0, v55
	v_or_b32_e32 v87, 0x800000, v54
	v_cndmask_b32_e64 v86, 0, v86, s16
	v_cndmask_b32_e32 v54, v87, v54, vcc_lo
	v_cndmask_b32_e64 v86, v86, 0x77, vcc_lo
	v_lshl_add_u32 v87, 0x100000, v86, -1
	v_lshlrev_b32_e64 v98, v86, 0x80000
	v_and_b32_e32 v87, v87, v54
	v_cmp_eq_u32_e64 s16, v87, v98
	v_lshrrev_b32_e32 v87, v86, v54
	v_add_nc_u32_e32 v54, 0xffffff89, v55
	v_lshrrev_b32_e32 v55, 23, v87
	v_cndmask_b32_e64 v54, v54, 0xffffff8a, vcc_lo
	v_xor_b32_e32 v55, 1, v55
	v_add_nc_u32_e32 v54, v86, v54
	v_bfe_u32 v86, v87, 20, 1
	v_add_nc_u32_e32 v86, -1, v86
	v_cndmask_b32_e64 v86, 0, v86, s16
	s_mov_b32 s16, exec_lo
	v_add_nc_u32_e32 v86, v86, v87
	v_and_b32_e32 v86, 0xfffff, v86
	v_add_nc_u32_e32 v98, v86, v87
	v_cmpx_ne_u32_e64 v54, v55
	s_xor_b32 s16, exec_lo, s16
; %bb.14869:                            ;   in Loop: Header=BB6_14082 Depth=3
	v_cmp_lt_u32_e32 vcc_lo, 0xffffff, v98
	v_sub_nc_u32_e32 v54, v54, v55
	v_cndmask_b32_e64 v55, 0, 1, vcc_lo
	v_add_co_ci_u32_e64 v99, null, 0, v54, vcc_lo
	v_lshrrev_b32_e32 v98, v55, v98
; %bb.14870:                            ;   in Loop: Header=BB6_14082 Depth=3
	s_andn2_saveexec_b32 s16, s16
; %bb.14871:                            ;   in Loop: Header=BB6_14082 Depth=3
	v_bfe_u32 v99, v98, 23, 1
; %bb.14872:                            ;   in Loop: Header=BB6_14082 Depth=3
	s_or_b32 exec_lo, exec_lo, s16
	v_lshrrev_b32_e32 v55, 20, v98
	v_cmp_gt_i32_e32 vcc_lo, 16, v99
	v_and_b32_sdwa v54, v84, v62 dst_sel:DWORD dst_unused:UNUSED_PAD src0_sel:BYTE_3 src1_sel:DWORD
	v_min_i32_e32 v84, 15, v99
	v_cndmask_b32_e32 v55, 7, v55, vcc_lo
	v_lshlrev_b32_e32 v84, 3, v84
	v_or_b32_e32 v86, v99, v55
	v_and_b32_e32 v55, 7, v55
	v_cmp_ne_u32_e32 vcc_lo, 0, v86
	v_or3_b32 v54, v84, v54, v55
	v_cndmask_b32_e32 v54, 0, v54, vcc_lo
.LBB6_14873:                            ;   in Loop: Header=BB6_14082 Depth=3
	s_or_b32 exec_lo, exec_lo, s73
.LBB6_14874:                            ;   in Loop: Header=BB6_14082 Depth=3
	s_or_b32 exec_lo, exec_lo, s23
	s_mov_b32 s16, -1
	s_andn2_b32 vcc_lo, exec_lo, s19
                                        ; implicit-def: $vgpr55
	s_cbranch_vccnz .LBB6_14888
; %bb.14875:                            ;   in Loop: Header=BB6_14082 Depth=3
	v_cmp_gt_i16_sdwa s23, v52, v61 src0_sel:BYTE_0 src1_sel:DWORD
	s_mov_b32 s16, 0
	s_and_saveexec_b32 s73, s23
	s_xor_b32 s23, exec_lo, s73
	s_cbranch_execz .LBB6_15408
; %bb.14876:                            ;   in Loop: Header=BB6_14082 Depth=3
	v_cmp_eq_u16_sdwa s74, v52, v62 src0_sel:BYTE_0 src1_sel:DWORD
	s_mov_b32 s16, -1
	s_and_saveexec_b32 s73, s74
; %bb.14877:                            ;   in Loop: Header=BB6_14082 Depth=3
	s_xor_b32 s16, exec_lo, -1
; %bb.14878:                            ;   in Loop: Header=BB6_14082 Depth=3
	s_or_b32 exec_lo, exec_lo, s73
	s_and_b32 s16, s16, exec_lo
	s_or_saveexec_b32 s23, s23
	s_waitcnt vmcnt(10) lgkmcnt(10)
	v_mov_b32_e32 v55, 0x7f800001
	s_xor_b32 exec_lo, exec_lo, s23
	s_cbranch_execnz .LBB6_15409
.LBB6_14879:                            ;   in Loop: Header=BB6_14082 Depth=3
	s_or_b32 exec_lo, exec_lo, s23
	s_and_saveexec_b32 s23, s16
	s_cbranch_execz .LBB6_14881
.LBB6_14880:                            ;   in Loop: Header=BB6_14082 Depth=3
	v_and_b32_e32 v55, 7, v52
	v_lshrrev_b16 v86, 3, v52
	v_lshlrev_b32_e32 v98, 24, v52
	v_ffbh_u32_e32 v84, v55
	v_and_b32_e32 v86, 15, v86
	v_min_u32_e32 v84, 32, v84
	v_cmp_eq_u32_e32 vcc_lo, 0, v86
	v_subrev_nc_u32_e32 v87, 28, v84
	v_sub_nc_u32_e32 v84, 29, v84
	v_lshlrev_b32_e32 v87, v87, v52
	v_cndmask_b32_e32 v84, v86, v84, vcc_lo
	v_and_b32_e32 v86, 0x80000000, v98
	v_and_b32_e32 v87, 7, v87
	v_lshl_add_u32 v84, v84, 23, 0x3b800000
	v_cndmask_b32_e32 v55, v55, v87, vcc_lo
	v_lshlrev_b32_e32 v55, 20, v55
	v_or3_b32 v55, v86, v84, v55
.LBB6_14881:                            ;   in Loop: Header=BB6_14082 Depth=3
	s_or_b32 exec_lo, exec_lo, s23
	s_waitcnt vmcnt(9) lgkmcnt(9)
	v_cmp_gt_i16_sdwa s23, v53, v61 src0_sel:BYTE_0 src1_sel:DWORD
	s_mov_b32 s16, 0
	s_and_saveexec_b32 s73, s23
	s_xor_b32 s23, exec_lo, s73
	s_cbranch_execz .LBB6_15410
; %bb.14882:                            ;   in Loop: Header=BB6_14082 Depth=3
	v_cmp_eq_u16_sdwa s74, v53, v62 src0_sel:BYTE_0 src1_sel:DWORD
	s_mov_b32 s16, -1
	s_and_saveexec_b32 s73, s74
; %bb.14883:                            ;   in Loop: Header=BB6_14082 Depth=3
	s_xor_b32 s16, exec_lo, -1
; %bb.14884:                            ;   in Loop: Header=BB6_14082 Depth=3
	s_or_b32 exec_lo, exec_lo, s73
	s_and_b32 s16, s16, exec_lo
	s_or_saveexec_b32 s23, s23
	v_mov_b32_e32 v84, 0x7f800001
	s_xor_b32 exec_lo, exec_lo, s23
	s_cbranch_execnz .LBB6_15411
.LBB6_14885:                            ;   in Loop: Header=BB6_14082 Depth=3
	s_or_b32 exec_lo, exec_lo, s23
	s_and_saveexec_b32 s23, s16
	s_cbranch_execz .LBB6_14887
.LBB6_14886:                            ;   in Loop: Header=BB6_14082 Depth=3
	v_and_b32_e32 v84, 7, v53
	v_lshrrev_b16 v87, 3, v53
	v_lshlrev_b32_e32 v99, 24, v53
	v_ffbh_u32_e32 v86, v84
	v_and_b32_e32 v87, 15, v87
	v_min_u32_e32 v86, 32, v86
	v_cmp_eq_u32_e32 vcc_lo, 0, v87
	v_subrev_nc_u32_e32 v98, 28, v86
	v_sub_nc_u32_e32 v86, 29, v86
	v_lshlrev_b32_e32 v98, v98, v53
	v_cndmask_b32_e32 v86, v87, v86, vcc_lo
	v_and_b32_e32 v87, 0x80000000, v99
	v_and_b32_e32 v98, 7, v98
	v_lshl_add_u32 v86, v86, 23, 0x3b800000
	v_cndmask_b32_e32 v84, v84, v98, vcc_lo
	v_lshlrev_b32_e32 v84, 20, v84
	v_or3_b32 v84, v87, v86, v84
.LBB6_14887:                            ;   in Loop: Header=BB6_14082 Depth=3
	s_or_b32 exec_lo, exec_lo, s23
	v_max_f32_e32 v84, v84, v84
	v_max_f32_e32 v55, v55, v55
	;; [unrolled: 1-line block ×3, first 2 shown]
	s_branch .LBB6_14902
.LBB6_14888:                            ;   in Loop: Header=BB6_14082 Depth=3
	s_and_b32 vcc_lo, exec_lo, s16
	s_cbranch_vccz .LBB6_14902
; %bb.14889:                            ;   in Loop: Header=BB6_14082 Depth=3
	v_cmp_gt_i16_sdwa s23, v52, v61 src0_sel:BYTE_0 src1_sel:DWORD
	s_mov_b32 s16, 0
	s_and_saveexec_b32 s73, s23
	s_xor_b32 s23, exec_lo, s73
	s_cbranch_execz .LBB6_15412
; %bb.14890:                            ;   in Loop: Header=BB6_14082 Depth=3
	v_cmp_eq_u16_sdwa s74, v52, v62 src0_sel:BYTE_0 src1_sel:DWORD
	s_mov_b32 s16, -1
	s_and_saveexec_b32 s73, s74
; %bb.14891:                            ;   in Loop: Header=BB6_14082 Depth=3
	s_xor_b32 s16, exec_lo, -1
; %bb.14892:                            ;   in Loop: Header=BB6_14082 Depth=3
	s_or_b32 exec_lo, exec_lo, s73
	s_and_b32 s16, s16, exec_lo
	s_or_saveexec_b32 s23, s23
	s_waitcnt vmcnt(10) lgkmcnt(10)
	v_mov_b32_e32 v55, 0x7f800001
	s_xor_b32 exec_lo, exec_lo, s23
	s_cbranch_execnz .LBB6_15413
.LBB6_14893:                            ;   in Loop: Header=BB6_14082 Depth=3
	s_or_b32 exec_lo, exec_lo, s23
	s_and_saveexec_b32 s23, s16
	s_cbranch_execz .LBB6_14895
.LBB6_14894:                            ;   in Loop: Header=BB6_14082 Depth=3
	v_and_b32_e32 v55, 7, v52
	v_lshrrev_b16 v86, 3, v52
	v_ffbh_u32_e32 v84, v55
	v_and_b32_e32 v86, 15, v86
	v_min_u32_e32 v84, 32, v84
	v_cmp_eq_u32_e32 vcc_lo, 0, v86
	v_subrev_nc_u32_e32 v87, 28, v84
	v_sub_nc_u32_e32 v84, 29, v84
	v_lshlrev_b32_e32 v87, v87, v52
	v_lshlrev_b32_e32 v52, 24, v52
	v_cndmask_b32_e32 v84, v86, v84, vcc_lo
	v_and_b32_e32 v87, 7, v87
	v_and_b32_e32 v52, 0x80000000, v52
	v_lshl_add_u32 v84, v84, 23, 0x3b800000
	v_cndmask_b32_e32 v55, v55, v87, vcc_lo
	v_lshlrev_b32_e32 v55, 20, v55
	v_or3_b32 v55, v52, v84, v55
.LBB6_14895:                            ;   in Loop: Header=BB6_14082 Depth=3
	s_or_b32 exec_lo, exec_lo, s23
	s_waitcnt vmcnt(9) lgkmcnt(9)
	v_cmp_gt_i16_sdwa s23, v53, v61 src0_sel:BYTE_0 src1_sel:DWORD
	s_mov_b32 s16, 0
	s_and_saveexec_b32 s73, s23
	s_xor_b32 s23, exec_lo, s73
	s_cbranch_execz .LBB6_15414
; %bb.14896:                            ;   in Loop: Header=BB6_14082 Depth=3
	v_cmp_eq_u16_sdwa s74, v53, v62 src0_sel:BYTE_0 src1_sel:DWORD
	s_mov_b32 s16, -1
	s_and_saveexec_b32 s73, s74
; %bb.14897:                            ;   in Loop: Header=BB6_14082 Depth=3
	s_xor_b32 s16, exec_lo, -1
; %bb.14898:                            ;   in Loop: Header=BB6_14082 Depth=3
	s_or_b32 exec_lo, exec_lo, s73
	s_and_b32 s16, s16, exec_lo
	s_or_saveexec_b32 s23, s23
	v_mov_b32_e32 v52, 0x7f800001
	s_xor_b32 exec_lo, exec_lo, s23
	s_cbranch_execnz .LBB6_15415
.LBB6_14899:                            ;   in Loop: Header=BB6_14082 Depth=3
	s_or_b32 exec_lo, exec_lo, s23
	s_and_saveexec_b32 s23, s16
	s_cbranch_execz .LBB6_14901
.LBB6_14900:                            ;   in Loop: Header=BB6_14082 Depth=3
	v_and_b32_e32 v52, 7, v53
	v_lshrrev_b16 v86, 3, v53
	v_ffbh_u32_e32 v84, v52
	v_and_b32_e32 v86, 15, v86
	v_min_u32_e32 v84, 32, v84
	v_cmp_eq_u32_e32 vcc_lo, 0, v86
	v_subrev_nc_u32_e32 v87, 28, v84
	v_sub_nc_u32_e32 v84, 29, v84
	v_lshlrev_b32_e32 v87, v87, v53
	v_lshlrev_b32_e32 v53, 24, v53
	v_cndmask_b32_e32 v84, v86, v84, vcc_lo
	v_and_b32_e32 v87, 7, v87
	v_and_b32_e32 v53, 0x80000000, v53
	v_lshl_add_u32 v84, v84, 23, 0x3b800000
	v_cndmask_b32_e32 v52, v52, v87, vcc_lo
	v_lshlrev_b32_e32 v52, 20, v52
	v_or3_b32 v52, v53, v84, v52
.LBB6_14901:                            ;   in Loop: Header=BB6_14082 Depth=3
	s_or_b32 exec_lo, exec_lo, s23
	v_max_f32_e32 v52, v52, v52
	v_max_f32_e32 v53, v55, v55
	v_min_f32_e32 v55, v53, v52
.LBB6_14902:                            ;   in Loop: Header=BB6_14082 Depth=3
	s_waitcnt vmcnt(10) lgkmcnt(10)
	v_and_b32_e32 v52, 0x7f800000, v55
	v_cmp_ne_u32_e32 vcc_lo, 0x7f800000, v52
	v_mov_b32_e32 v52, 0x80
	s_and_saveexec_b32 s23, vcc_lo
	s_cbranch_execz .LBB6_14910
; %bb.14903:                            ;   in Loop: Header=BB6_14082 Depth=3
	v_mov_b32_e32 v52, 0
	s_mov_b32 s73, exec_lo
	v_cmpx_ne_u32_e32 0, v55
	s_cbranch_execz .LBB6_14909
; %bb.14904:                            ;   in Loop: Header=BB6_14082 Depth=3
	s_waitcnt vmcnt(9) lgkmcnt(9)
	v_bfe_u32 v53, v55, 23, 8
	v_and_b32_e32 v52, 0x7fffff, v55
                                        ; implicit-def: $vgpr98
	v_cmp_gt_u32_e64 s16, 0x79, v53
	v_sub_nc_u32_e32 v84, 0x78, v53
	v_cmp_eq_u32_e32 vcc_lo, 0, v53
	v_or_b32_e32 v86, 0x800000, v52
	v_cndmask_b32_e64 v84, 0, v84, s16
	v_cndmask_b32_e32 v52, v86, v52, vcc_lo
	v_cndmask_b32_e64 v84, v84, 0x77, vcc_lo
	v_lshl_add_u32 v86, 0x100000, v84, -1
	v_lshlrev_b32_e64 v87, v84, 0x80000
	v_and_b32_e32 v86, v86, v52
	v_cmp_eq_u32_e64 s16, v86, v87
	v_lshrrev_b32_e32 v86, v84, v52
	v_add_nc_u32_e32 v52, 0xffffff89, v53
	v_lshrrev_b32_e32 v53, 23, v86
	v_cndmask_b32_e64 v52, v52, 0xffffff8a, vcc_lo
	v_xor_b32_e32 v53, 1, v53
	v_add_nc_u32_e32 v52, v84, v52
	v_bfe_u32 v84, v86, 20, 1
	v_add_nc_u32_e32 v84, -1, v84
	v_cndmask_b32_e64 v84, 0, v84, s16
	s_mov_b32 s16, exec_lo
	v_add_nc_u32_e32 v84, v84, v86
	v_and_b32_e32 v84, 0xfffff, v84
	v_add_nc_u32_e32 v84, v84, v86
	v_cmpx_ne_u32_e64 v52, v53
	s_xor_b32 s16, exec_lo, s16
; %bb.14905:                            ;   in Loop: Header=BB6_14082 Depth=3
	v_cmp_lt_u32_e32 vcc_lo, 0xffffff, v84
	v_sub_nc_u32_e32 v52, v52, v53
	v_cndmask_b32_e64 v53, 0, 1, vcc_lo
	v_add_co_ci_u32_e64 v98, null, 0, v52, vcc_lo
	v_lshrrev_b32_e32 v84, v53, v84
; %bb.14906:                            ;   in Loop: Header=BB6_14082 Depth=3
	s_andn2_saveexec_b32 s16, s16
; %bb.14907:                            ;   in Loop: Header=BB6_14082 Depth=3
	v_bfe_u32 v98, v84, 23, 1
; %bb.14908:                            ;   in Loop: Header=BB6_14082 Depth=3
	s_or_b32 exec_lo, exec_lo, s16
	v_lshrrev_b32_e32 v53, 20, v84
	v_cmp_gt_i32_e32 vcc_lo, 16, v98
	v_and_b32_sdwa v52, v55, v62 dst_sel:DWORD dst_unused:UNUSED_PAD src0_sel:BYTE_3 src1_sel:DWORD
	v_min_i32_e32 v55, 15, v98
	v_cndmask_b32_e32 v53, 7, v53, vcc_lo
	v_lshlrev_b32_e32 v55, 3, v55
	v_or_b32_e32 v84, v98, v53
	v_and_b32_e32 v53, 7, v53
	v_cmp_ne_u32_e32 vcc_lo, 0, v84
	v_or3_b32 v52, v55, v52, v53
	v_cndmask_b32_e32 v52, 0, v52, vcc_lo
.LBB6_14909:                            ;   in Loop: Header=BB6_14082 Depth=3
	s_or_b32 exec_lo, exec_lo, s73
.LBB6_14910:                            ;   in Loop: Header=BB6_14082 Depth=3
	s_or_b32 exec_lo, exec_lo, s23
	s_andn2_b32 vcc_lo, exec_lo, s19
	s_mov_b32 s16, -1
                                        ; implicit-def: $vgpr53
	s_cbranch_vccnz .LBB6_14924
; %bb.14911:                            ;   in Loop: Header=BB6_14082 Depth=3
	v_cmp_gt_i16_sdwa s23, v50, v61 src0_sel:BYTE_0 src1_sel:DWORD
	s_mov_b32 s16, 0
	s_and_saveexec_b32 s73, s23
	s_xor_b32 s23, exec_lo, s73
	s_cbranch_execz .LBB6_15416
; %bb.14912:                            ;   in Loop: Header=BB6_14082 Depth=3
	v_cmp_eq_u16_sdwa s74, v50, v62 src0_sel:BYTE_0 src1_sel:DWORD
	s_mov_b32 s16, -1
	s_and_saveexec_b32 s73, s74
; %bb.14913:                            ;   in Loop: Header=BB6_14082 Depth=3
	s_xor_b32 s16, exec_lo, -1
; %bb.14914:                            ;   in Loop: Header=BB6_14082 Depth=3
	s_or_b32 exec_lo, exec_lo, s73
	s_and_b32 s16, s16, exec_lo
	s_or_saveexec_b32 s23, s23
	s_waitcnt vmcnt(9) lgkmcnt(9)
	v_mov_b32_e32 v53, 0x7f800001
	s_xor_b32 exec_lo, exec_lo, s23
	s_cbranch_execnz .LBB6_15417
.LBB6_14915:                            ;   in Loop: Header=BB6_14082 Depth=3
	s_or_b32 exec_lo, exec_lo, s23
	s_and_saveexec_b32 s23, s16
	s_cbranch_execz .LBB6_14917
.LBB6_14916:                            ;   in Loop: Header=BB6_14082 Depth=3
	v_and_b32_e32 v53, 7, v50
	v_lshrrev_b16 v84, 3, v50
	v_lshlrev_b32_e32 v87, 24, v50
	v_ffbh_u32_e32 v55, v53
	v_and_b32_e32 v84, 15, v84
	v_min_u32_e32 v55, 32, v55
	v_cmp_eq_u32_e32 vcc_lo, 0, v84
	v_subrev_nc_u32_e32 v86, 28, v55
	v_sub_nc_u32_e32 v55, 29, v55
	v_lshlrev_b32_e32 v86, v86, v50
	v_cndmask_b32_e32 v55, v84, v55, vcc_lo
	v_and_b32_e32 v84, 0x80000000, v87
	v_and_b32_e32 v86, 7, v86
	v_lshl_add_u32 v55, v55, 23, 0x3b800000
	v_cndmask_b32_e32 v53, v53, v86, vcc_lo
	v_lshlrev_b32_e32 v53, 20, v53
	v_or3_b32 v53, v84, v55, v53
.LBB6_14917:                            ;   in Loop: Header=BB6_14082 Depth=3
	s_or_b32 exec_lo, exec_lo, s23
	s_waitcnt vmcnt(8) lgkmcnt(8)
	v_cmp_gt_i16_sdwa s23, v31, v61 src0_sel:BYTE_0 src1_sel:DWORD
	s_mov_b32 s16, 0
	s_and_saveexec_b32 s73, s23
	s_xor_b32 s23, exec_lo, s73
	s_cbranch_execz .LBB6_15418
; %bb.14918:                            ;   in Loop: Header=BB6_14082 Depth=3
	v_cmp_eq_u16_sdwa s74, v31, v62 src0_sel:BYTE_0 src1_sel:DWORD
	s_mov_b32 s16, -1
	s_and_saveexec_b32 s73, s74
; %bb.14919:                            ;   in Loop: Header=BB6_14082 Depth=3
	s_xor_b32 s16, exec_lo, -1
; %bb.14920:                            ;   in Loop: Header=BB6_14082 Depth=3
	s_or_b32 exec_lo, exec_lo, s73
	s_and_b32 s16, s16, exec_lo
	s_or_saveexec_b32 s23, s23
	v_mov_b32_e32 v55, 0x7f800001
	s_xor_b32 exec_lo, exec_lo, s23
	s_cbranch_execnz .LBB6_15419
.LBB6_14921:                            ;   in Loop: Header=BB6_14082 Depth=3
	s_or_b32 exec_lo, exec_lo, s23
	s_and_saveexec_b32 s23, s16
	s_cbranch_execz .LBB6_14923
.LBB6_14922:                            ;   in Loop: Header=BB6_14082 Depth=3
	v_and_b32_e32 v55, 7, v31
	v_lshrrev_b16 v86, 3, v31
	v_lshlrev_b32_e32 v98, 24, v31
	v_ffbh_u32_e32 v84, v55
	v_and_b32_e32 v86, 15, v86
	v_min_u32_e32 v84, 32, v84
	v_cmp_eq_u32_e32 vcc_lo, 0, v86
	v_subrev_nc_u32_e32 v87, 28, v84
	v_sub_nc_u32_e32 v84, 29, v84
	v_lshlrev_b32_e32 v87, v87, v31
	v_cndmask_b32_e32 v84, v86, v84, vcc_lo
	v_and_b32_e32 v86, 0x80000000, v98
	v_and_b32_e32 v87, 7, v87
	v_lshl_add_u32 v84, v84, 23, 0x3b800000
	v_cndmask_b32_e32 v55, v55, v87, vcc_lo
	v_lshlrev_b32_e32 v55, 20, v55
	v_or3_b32 v55, v86, v84, v55
.LBB6_14923:                            ;   in Loop: Header=BB6_14082 Depth=3
	s_or_b32 exec_lo, exec_lo, s23
	v_max_f32_e32 v55, v55, v55
	v_max_f32_e32 v53, v53, v53
	;; [unrolled: 1-line block ×3, first 2 shown]
	s_branch .LBB6_14938
.LBB6_14924:                            ;   in Loop: Header=BB6_14082 Depth=3
	s_and_b32 vcc_lo, exec_lo, s16
	s_cbranch_vccz .LBB6_14938
; %bb.14925:                            ;   in Loop: Header=BB6_14082 Depth=3
	v_cmp_gt_i16_sdwa s23, v50, v61 src0_sel:BYTE_0 src1_sel:DWORD
	s_mov_b32 s16, 0
	s_and_saveexec_b32 s73, s23
	s_xor_b32 s23, exec_lo, s73
	s_cbranch_execz .LBB6_15420
; %bb.14926:                            ;   in Loop: Header=BB6_14082 Depth=3
	v_cmp_eq_u16_sdwa s74, v50, v62 src0_sel:BYTE_0 src1_sel:DWORD
	s_mov_b32 s16, -1
	s_and_saveexec_b32 s73, s74
; %bb.14927:                            ;   in Loop: Header=BB6_14082 Depth=3
	s_xor_b32 s16, exec_lo, -1
; %bb.14928:                            ;   in Loop: Header=BB6_14082 Depth=3
	s_or_b32 exec_lo, exec_lo, s73
	s_and_b32 s16, s16, exec_lo
	s_or_saveexec_b32 s23, s23
	s_waitcnt vmcnt(9) lgkmcnt(9)
	v_mov_b32_e32 v53, 0x7f800001
	s_xor_b32 exec_lo, exec_lo, s23
	s_cbranch_execnz .LBB6_15421
.LBB6_14929:                            ;   in Loop: Header=BB6_14082 Depth=3
	s_or_b32 exec_lo, exec_lo, s23
	s_and_saveexec_b32 s23, s16
	s_cbranch_execz .LBB6_14931
.LBB6_14930:                            ;   in Loop: Header=BB6_14082 Depth=3
	v_and_b32_e32 v53, 7, v50
	v_lshrrev_b16 v84, 3, v50
	v_ffbh_u32_e32 v55, v53
	v_and_b32_e32 v84, 15, v84
	v_min_u32_e32 v55, 32, v55
	v_cmp_eq_u32_e32 vcc_lo, 0, v84
	v_subrev_nc_u32_e32 v86, 28, v55
	v_sub_nc_u32_e32 v55, 29, v55
	v_lshlrev_b32_e32 v86, v86, v50
	v_lshlrev_b32_e32 v50, 24, v50
	v_cndmask_b32_e32 v55, v84, v55, vcc_lo
	v_and_b32_e32 v86, 7, v86
	v_and_b32_e32 v50, 0x80000000, v50
	v_lshl_add_u32 v55, v55, 23, 0x3b800000
	v_cndmask_b32_e32 v53, v53, v86, vcc_lo
	v_lshlrev_b32_e32 v53, 20, v53
	v_or3_b32 v53, v50, v55, v53
.LBB6_14931:                            ;   in Loop: Header=BB6_14082 Depth=3
	s_or_b32 exec_lo, exec_lo, s23
	s_waitcnt vmcnt(8) lgkmcnt(8)
	v_cmp_gt_i16_sdwa s23, v31, v61 src0_sel:BYTE_0 src1_sel:DWORD
	s_mov_b32 s16, 0
	s_and_saveexec_b32 s73, s23
	s_xor_b32 s23, exec_lo, s73
	s_cbranch_execz .LBB6_15422
; %bb.14932:                            ;   in Loop: Header=BB6_14082 Depth=3
	v_cmp_eq_u16_sdwa s74, v31, v62 src0_sel:BYTE_0 src1_sel:DWORD
	s_mov_b32 s16, -1
	s_and_saveexec_b32 s73, s74
; %bb.14933:                            ;   in Loop: Header=BB6_14082 Depth=3
	s_xor_b32 s16, exec_lo, -1
; %bb.14934:                            ;   in Loop: Header=BB6_14082 Depth=3
	s_or_b32 exec_lo, exec_lo, s73
	s_and_b32 s16, s16, exec_lo
	s_or_saveexec_b32 s23, s23
	v_mov_b32_e32 v50, 0x7f800001
	s_xor_b32 exec_lo, exec_lo, s23
	s_cbranch_execnz .LBB6_15423
.LBB6_14935:                            ;   in Loop: Header=BB6_14082 Depth=3
	s_or_b32 exec_lo, exec_lo, s23
	s_and_saveexec_b32 s23, s16
	s_cbranch_execz .LBB6_14937
.LBB6_14936:                            ;   in Loop: Header=BB6_14082 Depth=3
	v_and_b32_e32 v50, 7, v31
	v_lshrrev_b16 v84, 3, v31
	v_ffbh_u32_e32 v55, v50
	v_and_b32_e32 v84, 15, v84
	v_min_u32_e32 v55, 32, v55
	v_cmp_eq_u32_e32 vcc_lo, 0, v84
	v_subrev_nc_u32_e32 v86, 28, v55
	v_sub_nc_u32_e32 v55, 29, v55
	v_lshlrev_b32_e32 v86, v86, v31
	v_lshlrev_b32_e32 v31, 24, v31
	v_cndmask_b32_e32 v55, v84, v55, vcc_lo
	v_and_b32_e32 v86, 7, v86
	v_and_b32_e32 v31, 0x80000000, v31
	v_lshl_add_u32 v55, v55, 23, 0x3b800000
	v_cndmask_b32_e32 v50, v50, v86, vcc_lo
	v_lshlrev_b32_e32 v50, 20, v50
	v_or3_b32 v50, v31, v55, v50
.LBB6_14937:                            ;   in Loop: Header=BB6_14082 Depth=3
	s_or_b32 exec_lo, exec_lo, s23
	v_max_f32_e32 v31, v50, v50
	v_max_f32_e32 v50, v53, v53
	v_min_f32_e32 v53, v50, v31
.LBB6_14938:                            ;   in Loop: Header=BB6_14082 Depth=3
	s_waitcnt vmcnt(8) lgkmcnt(8)
	v_and_b32_e32 v31, 0x7f800000, v53
	v_cmp_ne_u32_e32 vcc_lo, 0x7f800000, v31
	v_mov_b32_e32 v31, 0x80
	s_and_saveexec_b32 s23, vcc_lo
	s_cbranch_execz .LBB6_14946
; %bb.14939:                            ;   in Loop: Header=BB6_14082 Depth=3
	v_mov_b32_e32 v31, 0
	s_mov_b32 s73, exec_lo
	v_cmpx_ne_u32_e32 0, v53
	s_cbranch_execz .LBB6_14945
; %bb.14940:                            ;   in Loop: Header=BB6_14082 Depth=3
	v_bfe_u32 v50, v53, 23, 8
	v_and_b32_e32 v31, 0x7fffff, v53
	v_cmp_gt_u32_e64 s16, 0x79, v50
	v_sub_nc_u32_e32 v55, 0x78, v50
	v_cmp_eq_u32_e32 vcc_lo, 0, v50
	v_or_b32_e32 v84, 0x800000, v31
	v_cndmask_b32_e64 v55, 0, v55, s16
	v_cndmask_b32_e32 v31, v84, v31, vcc_lo
	v_cndmask_b32_e64 v55, v55, 0x77, vcc_lo
	v_lshl_add_u32 v84, 0x100000, v55, -1
	v_lshlrev_b32_e64 v86, v55, 0x80000
	v_and_b32_e32 v84, v84, v31
	v_cmp_eq_u32_e64 s16, v84, v86
	v_lshrrev_b32_e32 v84, v55, v31
	v_add_nc_u32_e32 v31, 0xffffff89, v50
	v_lshrrev_b32_e32 v50, 23, v84
	v_cndmask_b32_e64 v31, v31, 0xffffff8a, vcc_lo
	v_xor_b32_e32 v50, 1, v50
	v_add_nc_u32_e32 v31, v55, v31
	v_bfe_u32 v55, v84, 20, 1
	v_add_nc_u32_e32 v55, -1, v55
	v_cndmask_b32_e64 v55, 0, v55, s16
	s_mov_b32 s16, exec_lo
	v_add_nc_u32_e32 v55, v55, v84
	v_and_b32_e32 v55, 0xfffff, v55
	v_add_nc_u32_e32 v55, v55, v84
                                        ; implicit-def: $vgpr84
	v_cmpx_ne_u32_e64 v31, v50
	s_xor_b32 s16, exec_lo, s16
; %bb.14941:                            ;   in Loop: Header=BB6_14082 Depth=3
	v_cmp_lt_u32_e32 vcc_lo, 0xffffff, v55
	v_sub_nc_u32_e32 v31, v31, v50
	v_cndmask_b32_e64 v50, 0, 1, vcc_lo
	v_add_co_ci_u32_e64 v84, null, 0, v31, vcc_lo
	v_lshrrev_b32_e32 v55, v50, v55
; %bb.14942:                            ;   in Loop: Header=BB6_14082 Depth=3
	s_andn2_saveexec_b32 s16, s16
; %bb.14943:                            ;   in Loop: Header=BB6_14082 Depth=3
	v_bfe_u32 v84, v55, 23, 1
; %bb.14944:                            ;   in Loop: Header=BB6_14082 Depth=3
	s_or_b32 exec_lo, exec_lo, s16
	v_lshrrev_b32_e32 v50, 20, v55
	v_cmp_gt_i32_e32 vcc_lo, 16, v84
	v_and_b32_sdwa v31, v53, v62 dst_sel:DWORD dst_unused:UNUSED_PAD src0_sel:BYTE_3 src1_sel:DWORD
	v_min_i32_e32 v53, 15, v84
	v_cndmask_b32_e32 v50, 7, v50, vcc_lo
	v_lshlrev_b32_e32 v53, 3, v53
	v_or_b32_e32 v55, v84, v50
	v_and_b32_e32 v50, 7, v50
	v_cmp_ne_u32_e32 vcc_lo, 0, v55
	v_or3_b32 v31, v53, v31, v50
	v_cndmask_b32_e32 v31, 0, v31, vcc_lo
.LBB6_14945:                            ;   in Loop: Header=BB6_14082 Depth=3
	s_or_b32 exec_lo, exec_lo, s73
.LBB6_14946:                            ;   in Loop: Header=BB6_14082 Depth=3
	s_or_b32 exec_lo, exec_lo, s23
	s_andn2_b32 vcc_lo, exec_lo, s19
	s_mov_b32 s16, -1
                                        ; implicit-def: $vgpr50
	s_cbranch_vccnz .LBB6_14960
; %bb.14947:                            ;   in Loop: Header=BB6_14082 Depth=3
	v_cmp_gt_i16_sdwa s23, v39, v61 src0_sel:BYTE_0 src1_sel:DWORD
	s_mov_b32 s16, 0
	s_and_saveexec_b32 s73, s23
	s_xor_b32 s23, exec_lo, s73
	s_cbranch_execz .LBB6_15424
; %bb.14948:                            ;   in Loop: Header=BB6_14082 Depth=3
	v_cmp_eq_u16_sdwa s74, v39, v62 src0_sel:BYTE_0 src1_sel:DWORD
	s_mov_b32 s16, -1
	s_and_saveexec_b32 s73, s74
; %bb.14949:                            ;   in Loop: Header=BB6_14082 Depth=3
	s_xor_b32 s16, exec_lo, -1
; %bb.14950:                            ;   in Loop: Header=BB6_14082 Depth=3
	s_or_b32 exec_lo, exec_lo, s73
	s_and_b32 s16, s16, exec_lo
	s_or_saveexec_b32 s23, s23
	v_mov_b32_e32 v50, 0x7f800001
	s_xor_b32 exec_lo, exec_lo, s23
	s_cbranch_execnz .LBB6_15425
.LBB6_14951:                            ;   in Loop: Header=BB6_14082 Depth=3
	s_or_b32 exec_lo, exec_lo, s23
	s_and_saveexec_b32 s23, s16
	s_cbranch_execz .LBB6_14953
.LBB6_14952:                            ;   in Loop: Header=BB6_14082 Depth=3
	v_and_b32_e32 v50, 7, v39
	v_lshrrev_b16 v55, 3, v39
	v_lshlrev_b32_e32 v86, 24, v39
	v_ffbh_u32_e32 v53, v50
	v_and_b32_e32 v55, 15, v55
	v_min_u32_e32 v53, 32, v53
	v_cmp_eq_u32_e32 vcc_lo, 0, v55
	v_subrev_nc_u32_e32 v84, 28, v53
	v_sub_nc_u32_e32 v53, 29, v53
	v_lshlrev_b32_e32 v84, v84, v39
	v_cndmask_b32_e32 v53, v55, v53, vcc_lo
	v_and_b32_e32 v55, 0x80000000, v86
	v_and_b32_e32 v84, 7, v84
	v_lshl_add_u32 v53, v53, 23, 0x3b800000
	v_cndmask_b32_e32 v50, v50, v84, vcc_lo
	v_lshlrev_b32_e32 v50, 20, v50
	v_or3_b32 v50, v55, v53, v50
.LBB6_14953:                            ;   in Loop: Header=BB6_14082 Depth=3
	s_or_b32 exec_lo, exec_lo, s23
	s_waitcnt vmcnt(7) lgkmcnt(7)
	v_cmp_gt_i16_sdwa s23, v48, v61 src0_sel:BYTE_0 src1_sel:DWORD
	s_mov_b32 s16, 0
	s_and_saveexec_b32 s73, s23
	s_xor_b32 s23, exec_lo, s73
	s_cbranch_execz .LBB6_15426
; %bb.14954:                            ;   in Loop: Header=BB6_14082 Depth=3
	v_cmp_eq_u16_sdwa s74, v48, v62 src0_sel:BYTE_0 src1_sel:DWORD
	s_mov_b32 s16, -1
	s_and_saveexec_b32 s73, s74
; %bb.14955:                            ;   in Loop: Header=BB6_14082 Depth=3
	s_xor_b32 s16, exec_lo, -1
; %bb.14956:                            ;   in Loop: Header=BB6_14082 Depth=3
	s_or_b32 exec_lo, exec_lo, s73
	s_and_b32 s16, s16, exec_lo
	s_or_saveexec_b32 s23, s23
	v_mov_b32_e32 v53, 0x7f800001
	s_xor_b32 exec_lo, exec_lo, s23
	s_cbranch_execnz .LBB6_15427
.LBB6_14957:                            ;   in Loop: Header=BB6_14082 Depth=3
	s_or_b32 exec_lo, exec_lo, s23
	s_and_saveexec_b32 s23, s16
	s_cbranch_execz .LBB6_14959
.LBB6_14958:                            ;   in Loop: Header=BB6_14082 Depth=3
	v_and_b32_e32 v53, 7, v48
	v_lshrrev_b16 v84, 3, v48
	v_lshlrev_b32_e32 v87, 24, v48
	v_ffbh_u32_e32 v55, v53
	v_and_b32_e32 v84, 15, v84
	v_min_u32_e32 v55, 32, v55
	v_cmp_eq_u32_e32 vcc_lo, 0, v84
	v_subrev_nc_u32_e32 v86, 28, v55
	v_sub_nc_u32_e32 v55, 29, v55
	v_lshlrev_b32_e32 v86, v86, v48
	v_cndmask_b32_e32 v55, v84, v55, vcc_lo
	v_and_b32_e32 v84, 0x80000000, v87
	v_and_b32_e32 v86, 7, v86
	v_lshl_add_u32 v55, v55, 23, 0x3b800000
	v_cndmask_b32_e32 v53, v53, v86, vcc_lo
	v_lshlrev_b32_e32 v53, 20, v53
	v_or3_b32 v53, v84, v55, v53
.LBB6_14959:                            ;   in Loop: Header=BB6_14082 Depth=3
	s_or_b32 exec_lo, exec_lo, s23
	v_max_f32_e32 v53, v53, v53
	v_max_f32_e32 v50, v50, v50
	;; [unrolled: 1-line block ×3, first 2 shown]
	s_branch .LBB6_14974
.LBB6_14960:                            ;   in Loop: Header=BB6_14082 Depth=3
	s_and_b32 vcc_lo, exec_lo, s16
	s_cbranch_vccz .LBB6_14974
; %bb.14961:                            ;   in Loop: Header=BB6_14082 Depth=3
	v_cmp_gt_i16_sdwa s23, v39, v61 src0_sel:BYTE_0 src1_sel:DWORD
	s_mov_b32 s16, 0
	s_and_saveexec_b32 s73, s23
	s_xor_b32 s23, exec_lo, s73
	s_cbranch_execz .LBB6_15428
; %bb.14962:                            ;   in Loop: Header=BB6_14082 Depth=3
	v_cmp_eq_u16_sdwa s74, v39, v62 src0_sel:BYTE_0 src1_sel:DWORD
	s_mov_b32 s16, -1
	s_and_saveexec_b32 s73, s74
; %bb.14963:                            ;   in Loop: Header=BB6_14082 Depth=3
	s_xor_b32 s16, exec_lo, -1
; %bb.14964:                            ;   in Loop: Header=BB6_14082 Depth=3
	s_or_b32 exec_lo, exec_lo, s73
	s_and_b32 s16, s16, exec_lo
	s_or_saveexec_b32 s23, s23
	v_mov_b32_e32 v50, 0x7f800001
	s_xor_b32 exec_lo, exec_lo, s23
	s_cbranch_execnz .LBB6_15429
.LBB6_14965:                            ;   in Loop: Header=BB6_14082 Depth=3
	s_or_b32 exec_lo, exec_lo, s23
	s_and_saveexec_b32 s23, s16
	s_cbranch_execz .LBB6_14967
.LBB6_14966:                            ;   in Loop: Header=BB6_14082 Depth=3
	v_and_b32_e32 v50, 7, v39
	v_lshrrev_b16 v55, 3, v39
	v_ffbh_u32_e32 v53, v50
	v_and_b32_e32 v55, 15, v55
	v_min_u32_e32 v53, 32, v53
	v_cmp_eq_u32_e32 vcc_lo, 0, v55
	v_subrev_nc_u32_e32 v84, 28, v53
	v_sub_nc_u32_e32 v53, 29, v53
	v_lshlrev_b32_e32 v84, v84, v39
	v_lshlrev_b32_e32 v39, 24, v39
	v_cndmask_b32_e32 v53, v55, v53, vcc_lo
	v_and_b32_e32 v84, 7, v84
	v_and_b32_e32 v39, 0x80000000, v39
	v_lshl_add_u32 v53, v53, 23, 0x3b800000
	v_cndmask_b32_e32 v50, v50, v84, vcc_lo
	v_lshlrev_b32_e32 v50, 20, v50
	v_or3_b32 v50, v39, v53, v50
.LBB6_14967:                            ;   in Loop: Header=BB6_14082 Depth=3
	s_or_b32 exec_lo, exec_lo, s23
	s_waitcnt vmcnt(7) lgkmcnt(7)
	v_cmp_gt_i16_sdwa s23, v48, v61 src0_sel:BYTE_0 src1_sel:DWORD
	s_mov_b32 s16, 0
	s_and_saveexec_b32 s73, s23
	s_xor_b32 s23, exec_lo, s73
	s_cbranch_execz .LBB6_15430
; %bb.14968:                            ;   in Loop: Header=BB6_14082 Depth=3
	v_cmp_eq_u16_sdwa s74, v48, v62 src0_sel:BYTE_0 src1_sel:DWORD
	s_mov_b32 s16, -1
	s_and_saveexec_b32 s73, s74
; %bb.14969:                            ;   in Loop: Header=BB6_14082 Depth=3
	s_xor_b32 s16, exec_lo, -1
; %bb.14970:                            ;   in Loop: Header=BB6_14082 Depth=3
	s_or_b32 exec_lo, exec_lo, s73
	s_and_b32 s16, s16, exec_lo
	s_or_saveexec_b32 s23, s23
	v_mov_b32_e32 v39, 0x7f800001
	s_xor_b32 exec_lo, exec_lo, s23
	s_cbranch_execnz .LBB6_15431
.LBB6_14971:                            ;   in Loop: Header=BB6_14082 Depth=3
	s_or_b32 exec_lo, exec_lo, s23
	s_and_saveexec_b32 s23, s16
	s_cbranch_execz .LBB6_14973
.LBB6_14972:                            ;   in Loop: Header=BB6_14082 Depth=3
	v_and_b32_e32 v39, 7, v48
	v_lshrrev_b16 v55, 3, v48
	v_ffbh_u32_e32 v53, v39
	v_and_b32_e32 v55, 15, v55
	v_min_u32_e32 v53, 32, v53
	v_cmp_eq_u32_e32 vcc_lo, 0, v55
	v_subrev_nc_u32_e32 v84, 28, v53
	v_sub_nc_u32_e32 v53, 29, v53
	v_lshlrev_b32_e32 v84, v84, v48
	v_lshlrev_b32_e32 v48, 24, v48
	v_cndmask_b32_e32 v53, v55, v53, vcc_lo
	v_and_b32_e32 v84, 7, v84
	v_and_b32_e32 v48, 0x80000000, v48
	v_lshl_add_u32 v53, v53, 23, 0x3b800000
	v_cndmask_b32_e32 v39, v39, v84, vcc_lo
	v_lshlrev_b32_e32 v39, 20, v39
	v_or3_b32 v39, v48, v53, v39
.LBB6_14973:                            ;   in Loop: Header=BB6_14082 Depth=3
	s_or_b32 exec_lo, exec_lo, s23
	v_max_f32_e32 v39, v39, v39
	v_max_f32_e32 v48, v50, v50
	v_min_f32_e32 v50, v48, v39
.LBB6_14974:                            ;   in Loop: Header=BB6_14082 Depth=3
	v_and_b32_e32 v39, 0x7f800000, v50
	v_cmp_ne_u32_e32 vcc_lo, 0x7f800000, v39
	v_mov_b32_e32 v39, 0x80
	s_and_saveexec_b32 s23, vcc_lo
	s_cbranch_execz .LBB6_14982
; %bb.14975:                            ;   in Loop: Header=BB6_14082 Depth=3
	v_mov_b32_e32 v39, 0
	s_mov_b32 s73, exec_lo
	v_cmpx_ne_u32_e32 0, v50
	s_cbranch_execz .LBB6_14981
; %bb.14976:                            ;   in Loop: Header=BB6_14082 Depth=3
	s_waitcnt vmcnt(7) lgkmcnt(7)
	v_bfe_u32 v48, v50, 23, 8
	v_and_b32_e32 v39, 0x7fffff, v50
	v_cmp_gt_u32_e64 s16, 0x79, v48
	v_sub_nc_u32_e32 v53, 0x78, v48
	v_cmp_eq_u32_e32 vcc_lo, 0, v48
	v_or_b32_e32 v55, 0x800000, v39
	v_cndmask_b32_e64 v53, 0, v53, s16
	v_cndmask_b32_e32 v39, v55, v39, vcc_lo
	v_cndmask_b32_e64 v53, v53, 0x77, vcc_lo
	v_lshl_add_u32 v55, 0x100000, v53, -1
	v_lshlrev_b32_e64 v84, v53, 0x80000
	v_and_b32_e32 v55, v55, v39
	v_cmp_eq_u32_e64 s16, v55, v84
	v_lshrrev_b32_e32 v55, v53, v39
	v_add_nc_u32_e32 v39, 0xffffff89, v48
	v_lshrrev_b32_e32 v48, 23, v55
	v_cndmask_b32_e64 v39, v39, 0xffffff8a, vcc_lo
	v_xor_b32_e32 v48, 1, v48
	v_add_nc_u32_e32 v39, v53, v39
	v_bfe_u32 v53, v55, 20, 1
	v_add_nc_u32_e32 v53, -1, v53
	v_cndmask_b32_e64 v53, 0, v53, s16
	s_mov_b32 s16, exec_lo
	v_add_nc_u32_e32 v53, v53, v55
	v_and_b32_e32 v53, 0xfffff, v53
	v_add_nc_u32_e32 v53, v53, v55
                                        ; implicit-def: $vgpr55
	v_cmpx_ne_u32_e64 v39, v48
	s_xor_b32 s16, exec_lo, s16
; %bb.14977:                            ;   in Loop: Header=BB6_14082 Depth=3
	v_cmp_lt_u32_e32 vcc_lo, 0xffffff, v53
	v_sub_nc_u32_e32 v39, v39, v48
	v_cndmask_b32_e64 v48, 0, 1, vcc_lo
	v_add_co_ci_u32_e64 v55, null, 0, v39, vcc_lo
	v_lshrrev_b32_e32 v53, v48, v53
; %bb.14978:                            ;   in Loop: Header=BB6_14082 Depth=3
	s_andn2_saveexec_b32 s16, s16
; %bb.14979:                            ;   in Loop: Header=BB6_14082 Depth=3
	v_bfe_u32 v55, v53, 23, 1
; %bb.14980:                            ;   in Loop: Header=BB6_14082 Depth=3
	s_or_b32 exec_lo, exec_lo, s16
	v_lshrrev_b32_e32 v48, 20, v53
	v_cmp_gt_i32_e32 vcc_lo, 16, v55
	v_and_b32_sdwa v39, v50, v62 dst_sel:DWORD dst_unused:UNUSED_PAD src0_sel:BYTE_3 src1_sel:DWORD
	v_min_i32_e32 v50, 15, v55
	v_cndmask_b32_e32 v48, 7, v48, vcc_lo
	v_lshlrev_b32_e32 v50, 3, v50
	v_or_b32_e32 v53, v55, v48
	v_and_b32_e32 v48, 7, v48
	v_cmp_ne_u32_e32 vcc_lo, 0, v53
	v_or3_b32 v39, v50, v39, v48
	v_cndmask_b32_e32 v39, 0, v39, vcc_lo
.LBB6_14981:                            ;   in Loop: Header=BB6_14082 Depth=3
	s_or_b32 exec_lo, exec_lo, s73
.LBB6_14982:                            ;   in Loop: Header=BB6_14082 Depth=3
	s_or_b32 exec_lo, exec_lo, s23
	s_andn2_b32 vcc_lo, exec_lo, s19
	s_mov_b32 s16, -1
                                        ; implicit-def: $vgpr48
	s_cbranch_vccnz .LBB6_14996
; %bb.14983:                            ;   in Loop: Header=BB6_14082 Depth=3
	v_cmp_gt_i16_sdwa s23, v36, v61 src0_sel:BYTE_0 src1_sel:DWORD
	s_mov_b32 s16, 0
	s_and_saveexec_b32 s73, s23
	s_xor_b32 s23, exec_lo, s73
	s_cbranch_execz .LBB6_15432
; %bb.14984:                            ;   in Loop: Header=BB6_14082 Depth=3
	v_cmp_eq_u16_sdwa s74, v36, v62 src0_sel:BYTE_0 src1_sel:DWORD
	s_mov_b32 s16, -1
	s_and_saveexec_b32 s73, s74
; %bb.14985:                            ;   in Loop: Header=BB6_14082 Depth=3
	s_xor_b32 s16, exec_lo, -1
; %bb.14986:                            ;   in Loop: Header=BB6_14082 Depth=3
	s_or_b32 exec_lo, exec_lo, s73
	s_and_b32 s16, s16, exec_lo
	s_or_saveexec_b32 s23, s23
	s_waitcnt vmcnt(7) lgkmcnt(7)
	v_mov_b32_e32 v48, 0x7f800001
	s_xor_b32 exec_lo, exec_lo, s23
	s_cbranch_execnz .LBB6_15433
.LBB6_14987:                            ;   in Loop: Header=BB6_14082 Depth=3
	s_or_b32 exec_lo, exec_lo, s23
	s_and_saveexec_b32 s23, s16
	s_cbranch_execz .LBB6_14989
.LBB6_14988:                            ;   in Loop: Header=BB6_14082 Depth=3
	v_and_b32_e32 v48, 7, v36
	v_lshrrev_b16 v53, 3, v36
	v_lshlrev_b32_e32 v84, 24, v36
	v_ffbh_u32_e32 v50, v48
	v_and_b32_e32 v53, 15, v53
	v_min_u32_e32 v50, 32, v50
	v_cmp_eq_u32_e32 vcc_lo, 0, v53
	v_subrev_nc_u32_e32 v55, 28, v50
	v_sub_nc_u32_e32 v50, 29, v50
	v_lshlrev_b32_e32 v55, v55, v36
	v_cndmask_b32_e32 v50, v53, v50, vcc_lo
	v_and_b32_e32 v53, 0x80000000, v84
	v_and_b32_e32 v55, 7, v55
	v_lshl_add_u32 v50, v50, 23, 0x3b800000
	v_cndmask_b32_e32 v48, v48, v55, vcc_lo
	v_lshlrev_b32_e32 v48, 20, v48
	v_or3_b32 v48, v53, v50, v48
.LBB6_14989:                            ;   in Loop: Header=BB6_14082 Depth=3
	s_or_b32 exec_lo, exec_lo, s23
	s_waitcnt vmcnt(6) lgkmcnt(6)
	v_cmp_gt_i16_sdwa s23, v37, v61 src0_sel:BYTE_0 src1_sel:DWORD
	s_mov_b32 s16, 0
	s_and_saveexec_b32 s73, s23
	s_xor_b32 s23, exec_lo, s73
	s_cbranch_execz .LBB6_15434
; %bb.14990:                            ;   in Loop: Header=BB6_14082 Depth=3
	v_cmp_eq_u16_sdwa s74, v37, v62 src0_sel:BYTE_0 src1_sel:DWORD
	s_mov_b32 s16, -1
	s_and_saveexec_b32 s73, s74
; %bb.14991:                            ;   in Loop: Header=BB6_14082 Depth=3
	s_xor_b32 s16, exec_lo, -1
; %bb.14992:                            ;   in Loop: Header=BB6_14082 Depth=3
	s_or_b32 exec_lo, exec_lo, s73
	s_and_b32 s16, s16, exec_lo
	s_or_saveexec_b32 s23, s23
	v_mov_b32_e32 v50, 0x7f800001
	s_xor_b32 exec_lo, exec_lo, s23
	s_cbranch_execnz .LBB6_15435
.LBB6_14993:                            ;   in Loop: Header=BB6_14082 Depth=3
	s_or_b32 exec_lo, exec_lo, s23
	s_and_saveexec_b32 s23, s16
	s_cbranch_execz .LBB6_14995
.LBB6_14994:                            ;   in Loop: Header=BB6_14082 Depth=3
	v_and_b32_e32 v50, 7, v37
	v_lshrrev_b16 v55, 3, v37
	v_lshlrev_b32_e32 v86, 24, v37
	v_ffbh_u32_e32 v53, v50
	v_and_b32_e32 v55, 15, v55
	v_min_u32_e32 v53, 32, v53
	v_cmp_eq_u32_e32 vcc_lo, 0, v55
	v_subrev_nc_u32_e32 v84, 28, v53
	v_sub_nc_u32_e32 v53, 29, v53
	v_lshlrev_b32_e32 v84, v84, v37
	v_cndmask_b32_e32 v53, v55, v53, vcc_lo
	v_and_b32_e32 v55, 0x80000000, v86
	v_and_b32_e32 v84, 7, v84
	v_lshl_add_u32 v53, v53, 23, 0x3b800000
	v_cndmask_b32_e32 v50, v50, v84, vcc_lo
	v_lshlrev_b32_e32 v50, 20, v50
	v_or3_b32 v50, v55, v53, v50
.LBB6_14995:                            ;   in Loop: Header=BB6_14082 Depth=3
	s_or_b32 exec_lo, exec_lo, s23
	v_max_f32_e32 v50, v50, v50
	v_max_f32_e32 v48, v48, v48
	;; [unrolled: 1-line block ×3, first 2 shown]
	s_branch .LBB6_15010
.LBB6_14996:                            ;   in Loop: Header=BB6_14082 Depth=3
	s_and_b32 vcc_lo, exec_lo, s16
	s_cbranch_vccz .LBB6_15010
; %bb.14997:                            ;   in Loop: Header=BB6_14082 Depth=3
	v_cmp_gt_i16_sdwa s23, v36, v61 src0_sel:BYTE_0 src1_sel:DWORD
	s_mov_b32 s16, 0
	s_and_saveexec_b32 s73, s23
	s_xor_b32 s23, exec_lo, s73
	s_cbranch_execz .LBB6_15436
; %bb.14998:                            ;   in Loop: Header=BB6_14082 Depth=3
	v_cmp_eq_u16_sdwa s74, v36, v62 src0_sel:BYTE_0 src1_sel:DWORD
	s_mov_b32 s16, -1
	s_and_saveexec_b32 s73, s74
; %bb.14999:                            ;   in Loop: Header=BB6_14082 Depth=3
	s_xor_b32 s16, exec_lo, -1
; %bb.15000:                            ;   in Loop: Header=BB6_14082 Depth=3
	s_or_b32 exec_lo, exec_lo, s73
	s_and_b32 s16, s16, exec_lo
	s_or_saveexec_b32 s23, s23
	s_waitcnt vmcnt(7) lgkmcnt(7)
	v_mov_b32_e32 v48, 0x7f800001
	s_xor_b32 exec_lo, exec_lo, s23
	s_cbranch_execnz .LBB6_15437
.LBB6_15001:                            ;   in Loop: Header=BB6_14082 Depth=3
	s_or_b32 exec_lo, exec_lo, s23
	s_and_saveexec_b32 s23, s16
	s_cbranch_execz .LBB6_15003
.LBB6_15002:                            ;   in Loop: Header=BB6_14082 Depth=3
	v_and_b32_e32 v48, 7, v36
	v_lshrrev_b16 v53, 3, v36
	v_ffbh_u32_e32 v50, v48
	v_and_b32_e32 v53, 15, v53
	v_min_u32_e32 v50, 32, v50
	v_cmp_eq_u32_e32 vcc_lo, 0, v53
	v_subrev_nc_u32_e32 v55, 28, v50
	v_sub_nc_u32_e32 v50, 29, v50
	v_lshlrev_b32_e32 v55, v55, v36
	v_lshlrev_b32_e32 v36, 24, v36
	v_cndmask_b32_e32 v50, v53, v50, vcc_lo
	v_and_b32_e32 v55, 7, v55
	v_and_b32_e32 v36, 0x80000000, v36
	v_lshl_add_u32 v50, v50, 23, 0x3b800000
	v_cndmask_b32_e32 v48, v48, v55, vcc_lo
	v_lshlrev_b32_e32 v48, 20, v48
	v_or3_b32 v48, v36, v50, v48
.LBB6_15003:                            ;   in Loop: Header=BB6_14082 Depth=3
	s_or_b32 exec_lo, exec_lo, s23
	s_waitcnt vmcnt(6) lgkmcnt(6)
	v_cmp_gt_i16_sdwa s23, v37, v61 src0_sel:BYTE_0 src1_sel:DWORD
	s_mov_b32 s16, 0
	s_and_saveexec_b32 s73, s23
	s_xor_b32 s23, exec_lo, s73
	s_cbranch_execz .LBB6_15438
; %bb.15004:                            ;   in Loop: Header=BB6_14082 Depth=3
	v_cmp_eq_u16_sdwa s74, v37, v62 src0_sel:BYTE_0 src1_sel:DWORD
	s_mov_b32 s16, -1
	s_and_saveexec_b32 s73, s74
; %bb.15005:                            ;   in Loop: Header=BB6_14082 Depth=3
	s_xor_b32 s16, exec_lo, -1
; %bb.15006:                            ;   in Loop: Header=BB6_14082 Depth=3
	s_or_b32 exec_lo, exec_lo, s73
	s_and_b32 s16, s16, exec_lo
	s_or_saveexec_b32 s23, s23
	v_mov_b32_e32 v36, 0x7f800001
	s_xor_b32 exec_lo, exec_lo, s23
	s_cbranch_execnz .LBB6_15439
.LBB6_15007:                            ;   in Loop: Header=BB6_14082 Depth=3
	s_or_b32 exec_lo, exec_lo, s23
	s_and_saveexec_b32 s23, s16
	s_cbranch_execz .LBB6_15009
.LBB6_15008:                            ;   in Loop: Header=BB6_14082 Depth=3
	v_and_b32_e32 v36, 7, v37
	v_lshrrev_b16 v53, 3, v37
	v_ffbh_u32_e32 v50, v36
	v_and_b32_e32 v53, 15, v53
	v_min_u32_e32 v50, 32, v50
	v_cmp_eq_u32_e32 vcc_lo, 0, v53
	v_subrev_nc_u32_e32 v55, 28, v50
	v_sub_nc_u32_e32 v50, 29, v50
	v_lshlrev_b32_e32 v55, v55, v37
	v_lshlrev_b32_e32 v37, 24, v37
	v_cndmask_b32_e32 v50, v53, v50, vcc_lo
	v_and_b32_e32 v55, 7, v55
	v_and_b32_e32 v37, 0x80000000, v37
	v_lshl_add_u32 v50, v50, 23, 0x3b800000
	v_cndmask_b32_e32 v36, v36, v55, vcc_lo
	v_lshlrev_b32_e32 v36, 20, v36
	v_or3_b32 v36, v37, v50, v36
.LBB6_15009:                            ;   in Loop: Header=BB6_14082 Depth=3
	s_or_b32 exec_lo, exec_lo, s23
	v_max_f32_e32 v36, v36, v36
	v_max_f32_e32 v37, v48, v48
	v_min_f32_e32 v48, v37, v36
.LBB6_15010:                            ;   in Loop: Header=BB6_14082 Depth=3
	s_waitcnt vmcnt(7) lgkmcnt(7)
	v_and_b32_e32 v36, 0x7f800000, v48
	v_cmp_ne_u32_e32 vcc_lo, 0x7f800000, v36
	v_mov_b32_e32 v36, 0x80
	s_and_saveexec_b32 s23, vcc_lo
	s_cbranch_execz .LBB6_15018
; %bb.15011:                            ;   in Loop: Header=BB6_14082 Depth=3
	v_mov_b32_e32 v36, 0
	s_mov_b32 s73, exec_lo
	v_cmpx_ne_u32_e32 0, v48
	s_cbranch_execz .LBB6_15017
; %bb.15012:                            ;   in Loop: Header=BB6_14082 Depth=3
	s_waitcnt vmcnt(6) lgkmcnt(6)
	v_bfe_u32 v37, v48, 23, 8
	v_and_b32_e32 v36, 0x7fffff, v48
	v_cmp_gt_u32_e64 s16, 0x79, v37
	v_sub_nc_u32_e32 v50, 0x78, v37
	v_cmp_eq_u32_e32 vcc_lo, 0, v37
	v_or_b32_e32 v53, 0x800000, v36
	v_cndmask_b32_e64 v50, 0, v50, s16
	v_cndmask_b32_e32 v36, v53, v36, vcc_lo
	v_cndmask_b32_e64 v50, v50, 0x77, vcc_lo
	v_lshl_add_u32 v53, 0x100000, v50, -1
	v_lshlrev_b32_e64 v55, v50, 0x80000
	v_and_b32_e32 v53, v53, v36
	v_cmp_eq_u32_e64 s16, v53, v55
	v_lshrrev_b32_e32 v53, v50, v36
	v_add_nc_u32_e32 v36, 0xffffff89, v37
	v_lshrrev_b32_e32 v37, 23, v53
	v_cndmask_b32_e64 v36, v36, 0xffffff8a, vcc_lo
	v_xor_b32_e32 v37, 1, v37
	v_add_nc_u32_e32 v36, v50, v36
	v_bfe_u32 v50, v53, 20, 1
	v_add_nc_u32_e32 v50, -1, v50
	v_cndmask_b32_e64 v50, 0, v50, s16
	s_mov_b32 s16, exec_lo
	v_add_nc_u32_e32 v50, v50, v53
	v_and_b32_e32 v50, 0xfffff, v50
	v_add_nc_u32_e32 v50, v50, v53
                                        ; implicit-def: $vgpr53
	v_cmpx_ne_u32_e64 v36, v37
	s_xor_b32 s16, exec_lo, s16
; %bb.15013:                            ;   in Loop: Header=BB6_14082 Depth=3
	v_cmp_lt_u32_e32 vcc_lo, 0xffffff, v50
	v_sub_nc_u32_e32 v36, v36, v37
	v_cndmask_b32_e64 v37, 0, 1, vcc_lo
	v_add_co_ci_u32_e64 v53, null, 0, v36, vcc_lo
	v_lshrrev_b32_e32 v50, v37, v50
; %bb.15014:                            ;   in Loop: Header=BB6_14082 Depth=3
	s_andn2_saveexec_b32 s16, s16
; %bb.15015:                            ;   in Loop: Header=BB6_14082 Depth=3
	v_bfe_u32 v53, v50, 23, 1
; %bb.15016:                            ;   in Loop: Header=BB6_14082 Depth=3
	s_or_b32 exec_lo, exec_lo, s16
	v_lshrrev_b32_e32 v37, 20, v50
	v_cmp_gt_i32_e32 vcc_lo, 16, v53
	v_and_b32_sdwa v36, v48, v62 dst_sel:DWORD dst_unused:UNUSED_PAD src0_sel:BYTE_3 src1_sel:DWORD
	v_min_i32_e32 v48, 15, v53
	v_cndmask_b32_e32 v37, 7, v37, vcc_lo
	v_lshlrev_b32_e32 v48, 3, v48
	v_or_b32_e32 v50, v53, v37
	v_and_b32_e32 v37, 7, v37
	v_cmp_ne_u32_e32 vcc_lo, 0, v50
	v_or3_b32 v36, v48, v36, v37
	v_cndmask_b32_e32 v36, 0, v36, vcc_lo
.LBB6_15017:                            ;   in Loop: Header=BB6_14082 Depth=3
	s_or_b32 exec_lo, exec_lo, s73
.LBB6_15018:                            ;   in Loop: Header=BB6_14082 Depth=3
	s_or_b32 exec_lo, exec_lo, s23
	s_andn2_b32 vcc_lo, exec_lo, s19
	s_mov_b32 s16, -1
                                        ; implicit-def: $vgpr37
	s_cbranch_vccnz .LBB6_15032
; %bb.15019:                            ;   in Loop: Header=BB6_14082 Depth=3
	v_cmp_gt_i16_sdwa s23, v33, v61 src0_sel:BYTE_0 src1_sel:DWORD
	s_mov_b32 s16, 0
	s_and_saveexec_b32 s73, s23
	s_xor_b32 s23, exec_lo, s73
	s_cbranch_execz .LBB6_15440
; %bb.15020:                            ;   in Loop: Header=BB6_14082 Depth=3
	v_cmp_eq_u16_sdwa s74, v33, v62 src0_sel:BYTE_0 src1_sel:DWORD
	s_mov_b32 s16, -1
	s_and_saveexec_b32 s73, s74
; %bb.15021:                            ;   in Loop: Header=BB6_14082 Depth=3
	s_xor_b32 s16, exec_lo, -1
; %bb.15022:                            ;   in Loop: Header=BB6_14082 Depth=3
	s_or_b32 exec_lo, exec_lo, s73
	s_and_b32 s16, s16, exec_lo
	s_or_saveexec_b32 s23, s23
	s_waitcnt vmcnt(6) lgkmcnt(6)
	v_mov_b32_e32 v37, 0x7f800001
	s_xor_b32 exec_lo, exec_lo, s23
	s_cbranch_execnz .LBB6_15441
.LBB6_15023:                            ;   in Loop: Header=BB6_14082 Depth=3
	s_or_b32 exec_lo, exec_lo, s23
	s_and_saveexec_b32 s23, s16
	s_cbranch_execz .LBB6_15025
.LBB6_15024:                            ;   in Loop: Header=BB6_14082 Depth=3
	v_and_b32_e32 v37, 7, v33
	v_lshrrev_b16 v50, 3, v33
	v_lshlrev_b32_e32 v55, 24, v33
	v_ffbh_u32_e32 v48, v37
	v_and_b32_e32 v50, 15, v50
	v_min_u32_e32 v48, 32, v48
	v_cmp_eq_u32_e32 vcc_lo, 0, v50
	v_subrev_nc_u32_e32 v53, 28, v48
	v_sub_nc_u32_e32 v48, 29, v48
	v_lshlrev_b32_e32 v53, v53, v33
	v_cndmask_b32_e32 v48, v50, v48, vcc_lo
	v_and_b32_e32 v50, 0x80000000, v55
	v_and_b32_e32 v53, 7, v53
	v_lshl_add_u32 v48, v48, 23, 0x3b800000
	v_cndmask_b32_e32 v37, v37, v53, vcc_lo
	v_lshlrev_b32_e32 v37, 20, v37
	v_or3_b32 v37, v50, v48, v37
.LBB6_15025:                            ;   in Loop: Header=BB6_14082 Depth=3
	s_or_b32 exec_lo, exec_lo, s23
	s_waitcnt vmcnt(5) lgkmcnt(5)
	v_cmp_gt_i16_sdwa s23, v34, v61 src0_sel:BYTE_0 src1_sel:DWORD
	s_mov_b32 s16, 0
	s_and_saveexec_b32 s73, s23
	s_xor_b32 s23, exec_lo, s73
	s_cbranch_execz .LBB6_15442
; %bb.15026:                            ;   in Loop: Header=BB6_14082 Depth=3
	v_cmp_eq_u16_sdwa s74, v34, v62 src0_sel:BYTE_0 src1_sel:DWORD
	s_mov_b32 s16, -1
	s_and_saveexec_b32 s73, s74
; %bb.15027:                            ;   in Loop: Header=BB6_14082 Depth=3
	s_xor_b32 s16, exec_lo, -1
; %bb.15028:                            ;   in Loop: Header=BB6_14082 Depth=3
	s_or_b32 exec_lo, exec_lo, s73
	s_and_b32 s16, s16, exec_lo
	s_or_saveexec_b32 s23, s23
	v_mov_b32_e32 v48, 0x7f800001
	s_xor_b32 exec_lo, exec_lo, s23
	s_cbranch_execnz .LBB6_15443
.LBB6_15029:                            ;   in Loop: Header=BB6_14082 Depth=3
	s_or_b32 exec_lo, exec_lo, s23
	s_and_saveexec_b32 s23, s16
	s_cbranch_execz .LBB6_15031
.LBB6_15030:                            ;   in Loop: Header=BB6_14082 Depth=3
	v_and_b32_e32 v48, 7, v34
	v_lshrrev_b16 v53, 3, v34
	v_lshlrev_b32_e32 v84, 24, v34
	v_ffbh_u32_e32 v50, v48
	v_and_b32_e32 v53, 15, v53
	v_min_u32_e32 v50, 32, v50
	v_cmp_eq_u32_e32 vcc_lo, 0, v53
	v_subrev_nc_u32_e32 v55, 28, v50
	v_sub_nc_u32_e32 v50, 29, v50
	v_lshlrev_b32_e32 v55, v55, v34
	v_cndmask_b32_e32 v50, v53, v50, vcc_lo
	v_and_b32_e32 v53, 0x80000000, v84
	v_and_b32_e32 v55, 7, v55
	v_lshl_add_u32 v50, v50, 23, 0x3b800000
	v_cndmask_b32_e32 v48, v48, v55, vcc_lo
	v_lshlrev_b32_e32 v48, 20, v48
	v_or3_b32 v48, v53, v50, v48
.LBB6_15031:                            ;   in Loop: Header=BB6_14082 Depth=3
	s_or_b32 exec_lo, exec_lo, s23
	v_max_f32_e32 v48, v48, v48
	v_max_f32_e32 v37, v37, v37
	;; [unrolled: 1-line block ×3, first 2 shown]
	s_branch .LBB6_15046
.LBB6_15032:                            ;   in Loop: Header=BB6_14082 Depth=3
	s_and_b32 vcc_lo, exec_lo, s16
	s_cbranch_vccz .LBB6_15046
; %bb.15033:                            ;   in Loop: Header=BB6_14082 Depth=3
	v_cmp_gt_i16_sdwa s23, v33, v61 src0_sel:BYTE_0 src1_sel:DWORD
	s_mov_b32 s16, 0
	s_and_saveexec_b32 s73, s23
	s_xor_b32 s23, exec_lo, s73
	s_cbranch_execz .LBB6_15444
; %bb.15034:                            ;   in Loop: Header=BB6_14082 Depth=3
	v_cmp_eq_u16_sdwa s74, v33, v62 src0_sel:BYTE_0 src1_sel:DWORD
	s_mov_b32 s16, -1
	s_and_saveexec_b32 s73, s74
; %bb.15035:                            ;   in Loop: Header=BB6_14082 Depth=3
	s_xor_b32 s16, exec_lo, -1
; %bb.15036:                            ;   in Loop: Header=BB6_14082 Depth=3
	s_or_b32 exec_lo, exec_lo, s73
	s_and_b32 s16, s16, exec_lo
	s_or_saveexec_b32 s23, s23
	s_waitcnt vmcnt(6) lgkmcnt(6)
	v_mov_b32_e32 v37, 0x7f800001
	s_xor_b32 exec_lo, exec_lo, s23
	s_cbranch_execnz .LBB6_15445
.LBB6_15037:                            ;   in Loop: Header=BB6_14082 Depth=3
	s_or_b32 exec_lo, exec_lo, s23
	s_and_saveexec_b32 s23, s16
	s_cbranch_execz .LBB6_15039
.LBB6_15038:                            ;   in Loop: Header=BB6_14082 Depth=3
	v_and_b32_e32 v37, 7, v33
	v_lshrrev_b16 v50, 3, v33
	v_ffbh_u32_e32 v48, v37
	v_and_b32_e32 v50, 15, v50
	v_min_u32_e32 v48, 32, v48
	v_cmp_eq_u32_e32 vcc_lo, 0, v50
	v_subrev_nc_u32_e32 v53, 28, v48
	v_sub_nc_u32_e32 v48, 29, v48
	v_lshlrev_b32_e32 v53, v53, v33
	v_lshlrev_b32_e32 v33, 24, v33
	v_cndmask_b32_e32 v48, v50, v48, vcc_lo
	v_and_b32_e32 v53, 7, v53
	v_and_b32_e32 v33, 0x80000000, v33
	v_lshl_add_u32 v48, v48, 23, 0x3b800000
	v_cndmask_b32_e32 v37, v37, v53, vcc_lo
	v_lshlrev_b32_e32 v37, 20, v37
	v_or3_b32 v37, v33, v48, v37
.LBB6_15039:                            ;   in Loop: Header=BB6_14082 Depth=3
	s_or_b32 exec_lo, exec_lo, s23
	s_waitcnt vmcnt(5) lgkmcnt(5)
	v_cmp_gt_i16_sdwa s23, v34, v61 src0_sel:BYTE_0 src1_sel:DWORD
	s_mov_b32 s16, 0
	s_and_saveexec_b32 s73, s23
	s_xor_b32 s23, exec_lo, s73
	s_cbranch_execz .LBB6_15446
; %bb.15040:                            ;   in Loop: Header=BB6_14082 Depth=3
	v_cmp_eq_u16_sdwa s74, v34, v62 src0_sel:BYTE_0 src1_sel:DWORD
	s_mov_b32 s16, -1
	s_and_saveexec_b32 s73, s74
; %bb.15041:                            ;   in Loop: Header=BB6_14082 Depth=3
	s_xor_b32 s16, exec_lo, -1
; %bb.15042:                            ;   in Loop: Header=BB6_14082 Depth=3
	s_or_b32 exec_lo, exec_lo, s73
	s_and_b32 s16, s16, exec_lo
	s_or_saveexec_b32 s23, s23
	v_mov_b32_e32 v33, 0x7f800001
	s_xor_b32 exec_lo, exec_lo, s23
	s_cbranch_execnz .LBB6_15447
.LBB6_15043:                            ;   in Loop: Header=BB6_14082 Depth=3
	s_or_b32 exec_lo, exec_lo, s23
	s_and_saveexec_b32 s23, s16
	s_cbranch_execz .LBB6_15045
.LBB6_15044:                            ;   in Loop: Header=BB6_14082 Depth=3
	v_and_b32_e32 v33, 7, v34
	v_lshrrev_b16 v50, 3, v34
	v_ffbh_u32_e32 v48, v33
	v_and_b32_e32 v50, 15, v50
	v_min_u32_e32 v48, 32, v48
	v_cmp_eq_u32_e32 vcc_lo, 0, v50
	v_subrev_nc_u32_e32 v53, 28, v48
	v_sub_nc_u32_e32 v48, 29, v48
	v_lshlrev_b32_e32 v53, v53, v34
	v_lshlrev_b32_e32 v34, 24, v34
	v_cndmask_b32_e32 v48, v50, v48, vcc_lo
	v_and_b32_e32 v53, 7, v53
	v_and_b32_e32 v34, 0x80000000, v34
	v_lshl_add_u32 v48, v48, 23, 0x3b800000
	v_cndmask_b32_e32 v33, v33, v53, vcc_lo
	v_lshlrev_b32_e32 v33, 20, v33
	v_or3_b32 v33, v34, v48, v33
.LBB6_15045:                            ;   in Loop: Header=BB6_14082 Depth=3
	s_or_b32 exec_lo, exec_lo, s23
	v_max_f32_e32 v33, v33, v33
	v_max_f32_e32 v34, v37, v37
	v_min_f32_e32 v37, v34, v33
.LBB6_15046:                            ;   in Loop: Header=BB6_14082 Depth=3
	s_waitcnt vmcnt(6) lgkmcnt(6)
	v_and_b32_e32 v33, 0x7f800000, v37
	v_cmp_ne_u32_e32 vcc_lo, 0x7f800000, v33
	v_mov_b32_e32 v33, 0x80
	s_and_saveexec_b32 s23, vcc_lo
	s_cbranch_execz .LBB6_15054
; %bb.15047:                            ;   in Loop: Header=BB6_14082 Depth=3
	v_mov_b32_e32 v33, 0
	s_mov_b32 s73, exec_lo
	v_cmpx_ne_u32_e32 0, v37
	s_cbranch_execz .LBB6_15053
; %bb.15048:                            ;   in Loop: Header=BB6_14082 Depth=3
	s_waitcnt vmcnt(5) lgkmcnt(5)
	v_bfe_u32 v34, v37, 23, 8
	v_and_b32_e32 v33, 0x7fffff, v37
	v_cmp_gt_u32_e64 s16, 0x79, v34
	v_sub_nc_u32_e32 v48, 0x78, v34
	v_cmp_eq_u32_e32 vcc_lo, 0, v34
	v_or_b32_e32 v50, 0x800000, v33
	v_cndmask_b32_e64 v48, 0, v48, s16
	v_cndmask_b32_e32 v33, v50, v33, vcc_lo
	v_cndmask_b32_e64 v48, v48, 0x77, vcc_lo
	v_lshl_add_u32 v50, 0x100000, v48, -1
	v_lshlrev_b32_e64 v53, v48, 0x80000
	v_and_b32_e32 v50, v50, v33
	v_cmp_eq_u32_e64 s16, v50, v53
	v_lshrrev_b32_e32 v50, v48, v33
	v_add_nc_u32_e32 v33, 0xffffff89, v34
	v_lshrrev_b32_e32 v34, 23, v50
	v_cndmask_b32_e64 v33, v33, 0xffffff8a, vcc_lo
	v_xor_b32_e32 v34, 1, v34
	v_add_nc_u32_e32 v33, v48, v33
	v_bfe_u32 v48, v50, 20, 1
	v_add_nc_u32_e32 v48, -1, v48
	v_cndmask_b32_e64 v48, 0, v48, s16
	s_mov_b32 s16, exec_lo
	v_add_nc_u32_e32 v48, v48, v50
	v_and_b32_e32 v48, 0xfffff, v48
	v_add_nc_u32_e32 v50, v48, v50
                                        ; implicit-def: $vgpr48
	v_cmpx_ne_u32_e64 v33, v34
	s_xor_b32 s16, exec_lo, s16
; %bb.15049:                            ;   in Loop: Header=BB6_14082 Depth=3
	v_cmp_lt_u32_e32 vcc_lo, 0xffffff, v50
	v_sub_nc_u32_e32 v33, v33, v34
	v_cndmask_b32_e64 v34, 0, 1, vcc_lo
	v_add_co_ci_u32_e64 v48, null, 0, v33, vcc_lo
	v_lshrrev_b32_e32 v50, v34, v50
; %bb.15050:                            ;   in Loop: Header=BB6_14082 Depth=3
	s_andn2_saveexec_b32 s16, s16
; %bb.15051:                            ;   in Loop: Header=BB6_14082 Depth=3
	v_bfe_u32 v48, v50, 23, 1
; %bb.15052:                            ;   in Loop: Header=BB6_14082 Depth=3
	s_or_b32 exec_lo, exec_lo, s16
	v_lshrrev_b32_e32 v33, 20, v50
	v_cmp_gt_i32_e32 vcc_lo, 16, v48
	v_min_i32_e32 v34, 15, v48
	v_and_b32_sdwa v37, v37, v62 dst_sel:DWORD dst_unused:UNUSED_PAD src0_sel:BYTE_3 src1_sel:DWORD
	v_cndmask_b32_e32 v33, 7, v33, vcc_lo
	v_lshlrev_b32_e32 v34, 3, v34
	v_and_b32_e32 v50, 7, v33
	v_or_b32_e32 v33, v48, v33
	v_or3_b32 v34, v34, v37, v50
	v_cmp_ne_u32_e32 vcc_lo, 0, v33
	v_cndmask_b32_e32 v33, 0, v34, vcc_lo
.LBB6_15053:                            ;   in Loop: Header=BB6_14082 Depth=3
	s_or_b32 exec_lo, exec_lo, s73
.LBB6_15054:                            ;   in Loop: Header=BB6_14082 Depth=3
	s_or_b32 exec_lo, exec_lo, s23
	s_andn2_b32 vcc_lo, exec_lo, s19
	s_mov_b32 s16, -1
                                        ; implicit-def: $vgpr34
	s_cbranch_vccnz .LBB6_15068
; %bb.15055:                            ;   in Loop: Header=BB6_14082 Depth=3
	v_cmp_gt_i16_sdwa s23, v29, v61 src0_sel:BYTE_0 src1_sel:DWORD
	s_mov_b32 s16, 0
	s_and_saveexec_b32 s73, s23
	s_xor_b32 s23, exec_lo, s73
	s_cbranch_execz .LBB6_15448
; %bb.15056:                            ;   in Loop: Header=BB6_14082 Depth=3
	v_cmp_eq_u16_sdwa s74, v29, v62 src0_sel:BYTE_0 src1_sel:DWORD
	s_mov_b32 s16, -1
	s_and_saveexec_b32 s73, s74
; %bb.15057:                            ;   in Loop: Header=BB6_14082 Depth=3
	s_xor_b32 s16, exec_lo, -1
; %bb.15058:                            ;   in Loop: Header=BB6_14082 Depth=3
	s_or_b32 exec_lo, exec_lo, s73
	s_and_b32 s16, s16, exec_lo
	s_or_saveexec_b32 s23, s23
	s_waitcnt vmcnt(5) lgkmcnt(5)
	v_mov_b32_e32 v34, 0x7f800001
	s_xor_b32 exec_lo, exec_lo, s23
	s_cbranch_execnz .LBB6_15449
.LBB6_15059:                            ;   in Loop: Header=BB6_14082 Depth=3
	s_or_b32 exec_lo, exec_lo, s23
	s_and_saveexec_b32 s23, s16
	s_cbranch_execz .LBB6_15061
.LBB6_15060:                            ;   in Loop: Header=BB6_14082 Depth=3
	v_and_b32_e32 v34, 7, v29
	v_lshrrev_b16 v48, 3, v29
	v_lshlrev_b32_e32 v53, 24, v29
	v_ffbh_u32_e32 v37, v34
	v_and_b32_e32 v48, 15, v48
	v_min_u32_e32 v37, 32, v37
	v_cmp_eq_u32_e32 vcc_lo, 0, v48
	v_subrev_nc_u32_e32 v50, 28, v37
	v_sub_nc_u32_e32 v37, 29, v37
	v_lshlrev_b32_e32 v50, v50, v29
	v_cndmask_b32_e32 v37, v48, v37, vcc_lo
	v_and_b32_e32 v48, 0x80000000, v53
	v_and_b32_e32 v50, 7, v50
	v_lshl_add_u32 v37, v37, 23, 0x3b800000
	v_cndmask_b32_e32 v34, v34, v50, vcc_lo
	v_lshlrev_b32_e32 v34, 20, v34
	v_or3_b32 v34, v48, v37, v34
.LBB6_15061:                            ;   in Loop: Header=BB6_14082 Depth=3
	s_or_b32 exec_lo, exec_lo, s23
	s_waitcnt vmcnt(4) lgkmcnt(4)
	v_cmp_gt_i16_sdwa s23, v30, v61 src0_sel:BYTE_0 src1_sel:DWORD
	s_mov_b32 s16, 0
	s_and_saveexec_b32 s73, s23
	s_xor_b32 s23, exec_lo, s73
	s_cbranch_execz .LBB6_15450
; %bb.15062:                            ;   in Loop: Header=BB6_14082 Depth=3
	v_cmp_eq_u16_sdwa s74, v30, v62 src0_sel:BYTE_0 src1_sel:DWORD
	s_mov_b32 s16, -1
	s_and_saveexec_b32 s73, s74
; %bb.15063:                            ;   in Loop: Header=BB6_14082 Depth=3
	s_xor_b32 s16, exec_lo, -1
; %bb.15064:                            ;   in Loop: Header=BB6_14082 Depth=3
	s_or_b32 exec_lo, exec_lo, s73
	s_and_b32 s16, s16, exec_lo
	s_or_saveexec_b32 s23, s23
	v_mov_b32_e32 v37, 0x7f800001
	s_xor_b32 exec_lo, exec_lo, s23
	s_cbranch_execnz .LBB6_15451
.LBB6_15065:                            ;   in Loop: Header=BB6_14082 Depth=3
	s_or_b32 exec_lo, exec_lo, s23
	s_and_saveexec_b32 s23, s16
	s_cbranch_execz .LBB6_15067
.LBB6_15066:                            ;   in Loop: Header=BB6_14082 Depth=3
	v_and_b32_e32 v37, 7, v30
	v_lshrrev_b16 v50, 3, v30
	v_lshlrev_b32_e32 v55, 24, v30
	v_ffbh_u32_e32 v48, v37
	v_and_b32_e32 v50, 15, v50
	v_min_u32_e32 v48, 32, v48
	v_cmp_eq_u32_e32 vcc_lo, 0, v50
	v_subrev_nc_u32_e32 v53, 28, v48
	v_sub_nc_u32_e32 v48, 29, v48
	v_lshlrev_b32_e32 v53, v53, v30
	v_cndmask_b32_e32 v48, v50, v48, vcc_lo
	v_and_b32_e32 v50, 0x80000000, v55
	v_and_b32_e32 v53, 7, v53
	v_lshl_add_u32 v48, v48, 23, 0x3b800000
	v_cndmask_b32_e32 v37, v37, v53, vcc_lo
	v_lshlrev_b32_e32 v37, 20, v37
	v_or3_b32 v37, v50, v48, v37
.LBB6_15067:                            ;   in Loop: Header=BB6_14082 Depth=3
	s_or_b32 exec_lo, exec_lo, s23
	v_max_f32_e32 v37, v37, v37
	v_max_f32_e32 v34, v34, v34
	;; [unrolled: 1-line block ×3, first 2 shown]
	s_branch .LBB6_15082
.LBB6_15068:                            ;   in Loop: Header=BB6_14082 Depth=3
	s_and_b32 vcc_lo, exec_lo, s16
	s_cbranch_vccz .LBB6_15082
; %bb.15069:                            ;   in Loop: Header=BB6_14082 Depth=3
	v_cmp_gt_i16_sdwa s23, v29, v61 src0_sel:BYTE_0 src1_sel:DWORD
	s_mov_b32 s16, 0
	s_and_saveexec_b32 s73, s23
	s_xor_b32 s23, exec_lo, s73
	s_cbranch_execz .LBB6_15452
; %bb.15070:                            ;   in Loop: Header=BB6_14082 Depth=3
	v_cmp_eq_u16_sdwa s74, v29, v62 src0_sel:BYTE_0 src1_sel:DWORD
	s_mov_b32 s16, -1
	s_and_saveexec_b32 s73, s74
; %bb.15071:                            ;   in Loop: Header=BB6_14082 Depth=3
	s_xor_b32 s16, exec_lo, -1
; %bb.15072:                            ;   in Loop: Header=BB6_14082 Depth=3
	s_or_b32 exec_lo, exec_lo, s73
	s_and_b32 s16, s16, exec_lo
	s_or_saveexec_b32 s23, s23
	s_waitcnt vmcnt(5) lgkmcnt(5)
	v_mov_b32_e32 v34, 0x7f800001
	s_xor_b32 exec_lo, exec_lo, s23
	s_cbranch_execnz .LBB6_15453
.LBB6_15073:                            ;   in Loop: Header=BB6_14082 Depth=3
	s_or_b32 exec_lo, exec_lo, s23
	s_and_saveexec_b32 s23, s16
	s_cbranch_execz .LBB6_15075
.LBB6_15074:                            ;   in Loop: Header=BB6_14082 Depth=3
	v_and_b32_e32 v34, 7, v29
	v_lshrrev_b16 v48, 3, v29
	v_ffbh_u32_e32 v37, v34
	v_and_b32_e32 v48, 15, v48
	v_min_u32_e32 v37, 32, v37
	v_cmp_eq_u32_e32 vcc_lo, 0, v48
	v_subrev_nc_u32_e32 v50, 28, v37
	v_sub_nc_u32_e32 v37, 29, v37
	v_lshlrev_b32_e32 v50, v50, v29
	v_lshlrev_b32_e32 v29, 24, v29
	v_cndmask_b32_e32 v37, v48, v37, vcc_lo
	v_and_b32_e32 v50, 7, v50
	v_and_b32_e32 v29, 0x80000000, v29
	v_lshl_add_u32 v37, v37, 23, 0x3b800000
	v_cndmask_b32_e32 v34, v34, v50, vcc_lo
	v_lshlrev_b32_e32 v34, 20, v34
	v_or3_b32 v34, v29, v37, v34
.LBB6_15075:                            ;   in Loop: Header=BB6_14082 Depth=3
	s_or_b32 exec_lo, exec_lo, s23
	s_waitcnt vmcnt(4) lgkmcnt(4)
	v_cmp_gt_i16_sdwa s23, v30, v61 src0_sel:BYTE_0 src1_sel:DWORD
	s_mov_b32 s16, 0
	s_and_saveexec_b32 s73, s23
	s_xor_b32 s23, exec_lo, s73
	s_cbranch_execz .LBB6_15454
; %bb.15076:                            ;   in Loop: Header=BB6_14082 Depth=3
	v_cmp_eq_u16_sdwa s74, v30, v62 src0_sel:BYTE_0 src1_sel:DWORD
	s_mov_b32 s16, -1
	s_and_saveexec_b32 s73, s74
; %bb.15077:                            ;   in Loop: Header=BB6_14082 Depth=3
	s_xor_b32 s16, exec_lo, -1
; %bb.15078:                            ;   in Loop: Header=BB6_14082 Depth=3
	s_or_b32 exec_lo, exec_lo, s73
	s_and_b32 s16, s16, exec_lo
	s_or_saveexec_b32 s23, s23
	v_mov_b32_e32 v29, 0x7f800001
	s_xor_b32 exec_lo, exec_lo, s23
	s_cbranch_execnz .LBB6_15455
.LBB6_15079:                            ;   in Loop: Header=BB6_14082 Depth=3
	s_or_b32 exec_lo, exec_lo, s23
	s_and_saveexec_b32 s23, s16
	s_cbranch_execz .LBB6_15081
.LBB6_15080:                            ;   in Loop: Header=BB6_14082 Depth=3
	v_and_b32_e32 v29, 7, v30
	v_lshrrev_b16 v48, 3, v30
	v_ffbh_u32_e32 v37, v29
	v_and_b32_e32 v48, 15, v48
	v_min_u32_e32 v37, 32, v37
	v_cmp_eq_u32_e32 vcc_lo, 0, v48
	v_subrev_nc_u32_e32 v50, 28, v37
	v_sub_nc_u32_e32 v37, 29, v37
	v_lshlrev_b32_e32 v50, v50, v30
	v_lshlrev_b32_e32 v30, 24, v30
	v_cndmask_b32_e32 v37, v48, v37, vcc_lo
	v_and_b32_e32 v50, 7, v50
	v_and_b32_e32 v30, 0x80000000, v30
	v_lshl_add_u32 v37, v37, 23, 0x3b800000
	v_cndmask_b32_e32 v29, v29, v50, vcc_lo
	v_lshlrev_b32_e32 v29, 20, v29
	v_or3_b32 v29, v30, v37, v29
.LBB6_15081:                            ;   in Loop: Header=BB6_14082 Depth=3
	s_or_b32 exec_lo, exec_lo, s23
	v_max_f32_e32 v29, v29, v29
	v_max_f32_e32 v30, v34, v34
	v_min_f32_e32 v34, v30, v29
.LBB6_15082:                            ;   in Loop: Header=BB6_14082 Depth=3
	s_waitcnt vmcnt(5) lgkmcnt(5)
	v_and_b32_e32 v29, 0x7f800000, v34
	v_cmp_ne_u32_e32 vcc_lo, 0x7f800000, v29
	v_mov_b32_e32 v29, 0x80
	s_and_saveexec_b32 s23, vcc_lo
	s_cbranch_execz .LBB6_15090
; %bb.15083:                            ;   in Loop: Header=BB6_14082 Depth=3
	v_mov_b32_e32 v29, 0
	s_mov_b32 s73, exec_lo
	v_cmpx_ne_u32_e32 0, v34
	s_cbranch_execz .LBB6_15089
; %bb.15084:                            ;   in Loop: Header=BB6_14082 Depth=3
	s_waitcnt vmcnt(4) lgkmcnt(4)
	v_bfe_u32 v30, v34, 23, 8
	v_and_b32_e32 v29, 0x7fffff, v34
	v_cmp_gt_u32_e64 s16, 0x79, v30
	v_sub_nc_u32_e32 v37, 0x78, v30
	v_cmp_eq_u32_e32 vcc_lo, 0, v30
	v_or_b32_e32 v48, 0x800000, v29
	v_cndmask_b32_e64 v37, 0, v37, s16
	v_cndmask_b32_e32 v29, v48, v29, vcc_lo
	v_cndmask_b32_e64 v37, v37, 0x77, vcc_lo
	v_lshl_add_u32 v48, 0x100000, v37, -1
	v_lshlrev_b32_e64 v50, v37, 0x80000
	v_and_b32_e32 v48, v48, v29
	v_cmp_eq_u32_e64 s16, v48, v50
	v_lshrrev_b32_e32 v48, v37, v29
	v_add_nc_u32_e32 v29, 0xffffff89, v30
	v_lshrrev_b32_e32 v30, 23, v48
	v_cndmask_b32_e64 v29, v29, 0xffffff8a, vcc_lo
	v_xor_b32_e32 v30, 1, v30
	v_add_nc_u32_e32 v29, v37, v29
	v_bfe_u32 v37, v48, 20, 1
	v_add_nc_u32_e32 v37, -1, v37
	v_cndmask_b32_e64 v37, 0, v37, s16
	s_mov_b32 s16, exec_lo
	v_add_nc_u32_e32 v37, v37, v48
	v_and_b32_e32 v37, 0xfffff, v37
	v_add_nc_u32_e32 v48, v37, v48
                                        ; implicit-def: $vgpr37
	v_cmpx_ne_u32_e64 v29, v30
	s_xor_b32 s16, exec_lo, s16
; %bb.15085:                            ;   in Loop: Header=BB6_14082 Depth=3
	v_cmp_lt_u32_e32 vcc_lo, 0xffffff, v48
	v_sub_nc_u32_e32 v29, v29, v30
	v_cndmask_b32_e64 v30, 0, 1, vcc_lo
	v_add_co_ci_u32_e64 v37, null, 0, v29, vcc_lo
	v_lshrrev_b32_e32 v48, v30, v48
; %bb.15086:                            ;   in Loop: Header=BB6_14082 Depth=3
	s_andn2_saveexec_b32 s16, s16
; %bb.15087:                            ;   in Loop: Header=BB6_14082 Depth=3
	v_bfe_u32 v37, v48, 23, 1
; %bb.15088:                            ;   in Loop: Header=BB6_14082 Depth=3
	s_or_b32 exec_lo, exec_lo, s16
	v_lshrrev_b32_e32 v29, 20, v48
	v_cmp_gt_i32_e32 vcc_lo, 16, v37
	v_min_i32_e32 v30, 15, v37
	v_and_b32_sdwa v34, v34, v62 dst_sel:DWORD dst_unused:UNUSED_PAD src0_sel:BYTE_3 src1_sel:DWORD
	v_cndmask_b32_e32 v29, 7, v29, vcc_lo
	v_lshlrev_b32_e32 v30, 3, v30
	v_and_b32_e32 v48, 7, v29
	v_or_b32_e32 v29, v37, v29
	v_or3_b32 v30, v30, v34, v48
	v_cmp_ne_u32_e32 vcc_lo, 0, v29
	v_cndmask_b32_e32 v29, 0, v30, vcc_lo
.LBB6_15089:                            ;   in Loop: Header=BB6_14082 Depth=3
	s_or_b32 exec_lo, exec_lo, s73
.LBB6_15090:                            ;   in Loop: Header=BB6_14082 Depth=3
	s_or_b32 exec_lo, exec_lo, s23
	s_andn2_b32 vcc_lo, exec_lo, s19
	s_mov_b32 s16, -1
                                        ; implicit-def: $vgpr30
	s_cbranch_vccnz .LBB6_15104
; %bb.15091:                            ;   in Loop: Header=BB6_14082 Depth=3
	v_cmp_gt_i16_sdwa s23, v26, v61 src0_sel:BYTE_0 src1_sel:DWORD
	s_mov_b32 s16, 0
	s_and_saveexec_b32 s73, s23
	s_xor_b32 s23, exec_lo, s73
	s_cbranch_execz .LBB6_15456
; %bb.15092:                            ;   in Loop: Header=BB6_14082 Depth=3
	v_cmp_eq_u16_sdwa s74, v26, v62 src0_sel:BYTE_0 src1_sel:DWORD
	s_mov_b32 s16, -1
	s_and_saveexec_b32 s73, s74
; %bb.15093:                            ;   in Loop: Header=BB6_14082 Depth=3
	s_xor_b32 s16, exec_lo, -1
; %bb.15094:                            ;   in Loop: Header=BB6_14082 Depth=3
	s_or_b32 exec_lo, exec_lo, s73
	s_and_b32 s16, s16, exec_lo
	s_or_saveexec_b32 s23, s23
	s_waitcnt vmcnt(4) lgkmcnt(4)
	v_mov_b32_e32 v30, 0x7f800001
	s_xor_b32 exec_lo, exec_lo, s23
	s_cbranch_execnz .LBB6_15457
.LBB6_15095:                            ;   in Loop: Header=BB6_14082 Depth=3
	s_or_b32 exec_lo, exec_lo, s23
	s_and_saveexec_b32 s23, s16
	s_cbranch_execz .LBB6_15097
.LBB6_15096:                            ;   in Loop: Header=BB6_14082 Depth=3
	v_and_b32_e32 v30, 7, v26
	v_lshrrev_b16 v37, 3, v26
	v_lshlrev_b32_e32 v50, 24, v26
	v_ffbh_u32_e32 v34, v30
	v_and_b32_e32 v37, 15, v37
	v_min_u32_e32 v34, 32, v34
	v_cmp_eq_u32_e32 vcc_lo, 0, v37
	v_subrev_nc_u32_e32 v48, 28, v34
	v_sub_nc_u32_e32 v34, 29, v34
	v_lshlrev_b32_e32 v48, v48, v26
	v_cndmask_b32_e32 v34, v37, v34, vcc_lo
	v_and_b32_e32 v37, 0x80000000, v50
	v_and_b32_e32 v48, 7, v48
	v_lshl_add_u32 v34, v34, 23, 0x3b800000
	v_cndmask_b32_e32 v30, v30, v48, vcc_lo
	v_lshlrev_b32_e32 v30, 20, v30
	v_or3_b32 v30, v37, v34, v30
.LBB6_15097:                            ;   in Loop: Header=BB6_14082 Depth=3
	s_or_b32 exec_lo, exec_lo, s23
	s_waitcnt vmcnt(3) lgkmcnt(3)
	v_cmp_gt_i16_sdwa s23, v27, v61 src0_sel:BYTE_0 src1_sel:DWORD
	s_mov_b32 s16, 0
	s_and_saveexec_b32 s73, s23
	s_xor_b32 s23, exec_lo, s73
	s_cbranch_execz .LBB6_15458
; %bb.15098:                            ;   in Loop: Header=BB6_14082 Depth=3
	v_cmp_eq_u16_sdwa s74, v27, v62 src0_sel:BYTE_0 src1_sel:DWORD
	s_mov_b32 s16, -1
	s_and_saveexec_b32 s73, s74
; %bb.15099:                            ;   in Loop: Header=BB6_14082 Depth=3
	s_xor_b32 s16, exec_lo, -1
; %bb.15100:                            ;   in Loop: Header=BB6_14082 Depth=3
	s_or_b32 exec_lo, exec_lo, s73
	s_and_b32 s16, s16, exec_lo
	s_or_saveexec_b32 s23, s23
	v_mov_b32_e32 v34, 0x7f800001
	s_xor_b32 exec_lo, exec_lo, s23
	s_cbranch_execnz .LBB6_15459
.LBB6_15101:                            ;   in Loop: Header=BB6_14082 Depth=3
	s_or_b32 exec_lo, exec_lo, s23
	s_and_saveexec_b32 s23, s16
	s_cbranch_execz .LBB6_15103
.LBB6_15102:                            ;   in Loop: Header=BB6_14082 Depth=3
	v_and_b32_e32 v34, 7, v27
	v_lshrrev_b16 v48, 3, v27
	v_lshlrev_b32_e32 v53, 24, v27
	v_ffbh_u32_e32 v37, v34
	v_and_b32_e32 v48, 15, v48
	v_min_u32_e32 v37, 32, v37
	v_cmp_eq_u32_e32 vcc_lo, 0, v48
	v_subrev_nc_u32_e32 v50, 28, v37
	v_sub_nc_u32_e32 v37, 29, v37
	v_lshlrev_b32_e32 v50, v50, v27
	v_cndmask_b32_e32 v37, v48, v37, vcc_lo
	v_and_b32_e32 v48, 0x80000000, v53
	v_and_b32_e32 v50, 7, v50
	v_lshl_add_u32 v37, v37, 23, 0x3b800000
	v_cndmask_b32_e32 v34, v34, v50, vcc_lo
	v_lshlrev_b32_e32 v34, 20, v34
	v_or3_b32 v34, v48, v37, v34
.LBB6_15103:                            ;   in Loop: Header=BB6_14082 Depth=3
	s_or_b32 exec_lo, exec_lo, s23
	v_max_f32_e32 v34, v34, v34
	v_max_f32_e32 v30, v30, v30
	;; [unrolled: 1-line block ×3, first 2 shown]
	s_branch .LBB6_15118
.LBB6_15104:                            ;   in Loop: Header=BB6_14082 Depth=3
	s_and_b32 vcc_lo, exec_lo, s16
	s_cbranch_vccz .LBB6_15118
; %bb.15105:                            ;   in Loop: Header=BB6_14082 Depth=3
	v_cmp_gt_i16_sdwa s23, v26, v61 src0_sel:BYTE_0 src1_sel:DWORD
	s_mov_b32 s16, 0
	s_and_saveexec_b32 s73, s23
	s_xor_b32 s23, exec_lo, s73
	s_cbranch_execz .LBB6_15460
; %bb.15106:                            ;   in Loop: Header=BB6_14082 Depth=3
	v_cmp_eq_u16_sdwa s74, v26, v62 src0_sel:BYTE_0 src1_sel:DWORD
	s_mov_b32 s16, -1
	s_and_saveexec_b32 s73, s74
; %bb.15107:                            ;   in Loop: Header=BB6_14082 Depth=3
	s_xor_b32 s16, exec_lo, -1
; %bb.15108:                            ;   in Loop: Header=BB6_14082 Depth=3
	s_or_b32 exec_lo, exec_lo, s73
	s_and_b32 s16, s16, exec_lo
	s_or_saveexec_b32 s23, s23
	s_waitcnt vmcnt(4) lgkmcnt(4)
	v_mov_b32_e32 v30, 0x7f800001
	s_xor_b32 exec_lo, exec_lo, s23
	s_cbranch_execnz .LBB6_15461
.LBB6_15109:                            ;   in Loop: Header=BB6_14082 Depth=3
	s_or_b32 exec_lo, exec_lo, s23
	s_and_saveexec_b32 s23, s16
	s_cbranch_execz .LBB6_15111
.LBB6_15110:                            ;   in Loop: Header=BB6_14082 Depth=3
	v_and_b32_e32 v30, 7, v26
	v_lshrrev_b16 v37, 3, v26
	v_ffbh_u32_e32 v34, v30
	v_and_b32_e32 v37, 15, v37
	v_min_u32_e32 v34, 32, v34
	v_cmp_eq_u32_e32 vcc_lo, 0, v37
	v_subrev_nc_u32_e32 v48, 28, v34
	v_sub_nc_u32_e32 v34, 29, v34
	v_lshlrev_b32_e32 v48, v48, v26
	v_lshlrev_b32_e32 v26, 24, v26
	v_cndmask_b32_e32 v34, v37, v34, vcc_lo
	v_and_b32_e32 v48, 7, v48
	v_and_b32_e32 v26, 0x80000000, v26
	v_lshl_add_u32 v34, v34, 23, 0x3b800000
	v_cndmask_b32_e32 v30, v30, v48, vcc_lo
	v_lshlrev_b32_e32 v30, 20, v30
	v_or3_b32 v30, v26, v34, v30
.LBB6_15111:                            ;   in Loop: Header=BB6_14082 Depth=3
	s_or_b32 exec_lo, exec_lo, s23
	s_waitcnt vmcnt(3) lgkmcnt(3)
	v_cmp_gt_i16_sdwa s23, v27, v61 src0_sel:BYTE_0 src1_sel:DWORD
	s_mov_b32 s16, 0
	s_and_saveexec_b32 s73, s23
	s_xor_b32 s23, exec_lo, s73
	s_cbranch_execz .LBB6_15462
; %bb.15112:                            ;   in Loop: Header=BB6_14082 Depth=3
	v_cmp_eq_u16_sdwa s74, v27, v62 src0_sel:BYTE_0 src1_sel:DWORD
	s_mov_b32 s16, -1
	s_and_saveexec_b32 s73, s74
; %bb.15113:                            ;   in Loop: Header=BB6_14082 Depth=3
	s_xor_b32 s16, exec_lo, -1
; %bb.15114:                            ;   in Loop: Header=BB6_14082 Depth=3
	s_or_b32 exec_lo, exec_lo, s73
	s_and_b32 s16, s16, exec_lo
	s_or_saveexec_b32 s23, s23
	v_mov_b32_e32 v26, 0x7f800001
	s_xor_b32 exec_lo, exec_lo, s23
	s_cbranch_execnz .LBB6_15463
.LBB6_15115:                            ;   in Loop: Header=BB6_14082 Depth=3
	s_or_b32 exec_lo, exec_lo, s23
	s_and_saveexec_b32 s23, s16
	s_cbranch_execz .LBB6_15117
.LBB6_15116:                            ;   in Loop: Header=BB6_14082 Depth=3
	v_and_b32_e32 v26, 7, v27
	v_lshrrev_b16 v37, 3, v27
	v_ffbh_u32_e32 v34, v26
	v_and_b32_e32 v37, 15, v37
	v_min_u32_e32 v34, 32, v34
	v_cmp_eq_u32_e32 vcc_lo, 0, v37
	v_subrev_nc_u32_e32 v48, 28, v34
	v_sub_nc_u32_e32 v34, 29, v34
	v_lshlrev_b32_e32 v48, v48, v27
	v_lshlrev_b32_e32 v27, 24, v27
	v_cndmask_b32_e32 v34, v37, v34, vcc_lo
	v_and_b32_e32 v48, 7, v48
	v_and_b32_e32 v27, 0x80000000, v27
	v_lshl_add_u32 v34, v34, 23, 0x3b800000
	v_cndmask_b32_e32 v26, v26, v48, vcc_lo
	v_lshlrev_b32_e32 v26, 20, v26
	v_or3_b32 v26, v27, v34, v26
.LBB6_15117:                            ;   in Loop: Header=BB6_14082 Depth=3
	s_or_b32 exec_lo, exec_lo, s23
	v_max_f32_e32 v26, v26, v26
	v_max_f32_e32 v27, v30, v30
	v_min_f32_e32 v30, v27, v26
.LBB6_15118:                            ;   in Loop: Header=BB6_14082 Depth=3
	s_waitcnt vmcnt(4) lgkmcnt(4)
	v_and_b32_e32 v26, 0x7f800000, v30
	v_cmp_ne_u32_e32 vcc_lo, 0x7f800000, v26
	v_mov_b32_e32 v26, 0x80
	s_and_saveexec_b32 s23, vcc_lo
	s_cbranch_execz .LBB6_15126
; %bb.15119:                            ;   in Loop: Header=BB6_14082 Depth=3
	v_mov_b32_e32 v26, 0
	s_mov_b32 s73, exec_lo
	v_cmpx_ne_u32_e32 0, v30
	s_cbranch_execz .LBB6_15125
; %bb.15120:                            ;   in Loop: Header=BB6_14082 Depth=3
	s_waitcnt vmcnt(3) lgkmcnt(3)
	v_bfe_u32 v27, v30, 23, 8
	v_and_b32_e32 v26, 0x7fffff, v30
	v_cmp_gt_u32_e64 s16, 0x79, v27
	v_sub_nc_u32_e32 v34, 0x78, v27
	v_cmp_eq_u32_e32 vcc_lo, 0, v27
	v_or_b32_e32 v37, 0x800000, v26
	v_cndmask_b32_e64 v34, 0, v34, s16
	v_cndmask_b32_e32 v26, v37, v26, vcc_lo
	v_cndmask_b32_e64 v34, v34, 0x77, vcc_lo
	v_lshl_add_u32 v37, 0x100000, v34, -1
	v_lshlrev_b32_e64 v48, v34, 0x80000
	v_and_b32_e32 v37, v37, v26
	v_cmp_eq_u32_e64 s16, v37, v48
	v_lshrrev_b32_e32 v37, v34, v26
	v_add_nc_u32_e32 v26, 0xffffff89, v27
	v_lshrrev_b32_e32 v27, 23, v37
	v_cndmask_b32_e64 v26, v26, 0xffffff8a, vcc_lo
	v_xor_b32_e32 v27, 1, v27
	v_add_nc_u32_e32 v26, v34, v26
	v_bfe_u32 v34, v37, 20, 1
	v_add_nc_u32_e32 v34, -1, v34
	v_cndmask_b32_e64 v34, 0, v34, s16
	s_mov_b32 s16, exec_lo
	v_add_nc_u32_e32 v34, v34, v37
	v_and_b32_e32 v34, 0xfffff, v34
	v_add_nc_u32_e32 v37, v34, v37
                                        ; implicit-def: $vgpr34
	v_cmpx_ne_u32_e64 v26, v27
	s_xor_b32 s16, exec_lo, s16
; %bb.15121:                            ;   in Loop: Header=BB6_14082 Depth=3
	v_cmp_lt_u32_e32 vcc_lo, 0xffffff, v37
	v_sub_nc_u32_e32 v26, v26, v27
	v_cndmask_b32_e64 v27, 0, 1, vcc_lo
	v_add_co_ci_u32_e64 v34, null, 0, v26, vcc_lo
	v_lshrrev_b32_e32 v37, v27, v37
; %bb.15122:                            ;   in Loop: Header=BB6_14082 Depth=3
	s_andn2_saveexec_b32 s16, s16
; %bb.15123:                            ;   in Loop: Header=BB6_14082 Depth=3
	v_bfe_u32 v34, v37, 23, 1
; %bb.15124:                            ;   in Loop: Header=BB6_14082 Depth=3
	s_or_b32 exec_lo, exec_lo, s16
	v_lshrrev_b32_e32 v26, 20, v37
	v_cmp_gt_i32_e32 vcc_lo, 16, v34
	v_min_i32_e32 v27, 15, v34
	v_and_b32_sdwa v30, v30, v62 dst_sel:DWORD dst_unused:UNUSED_PAD src0_sel:BYTE_3 src1_sel:DWORD
	v_cndmask_b32_e32 v26, 7, v26, vcc_lo
	v_lshlrev_b32_e32 v27, 3, v27
	v_and_b32_e32 v37, 7, v26
	v_or_b32_e32 v26, v34, v26
	v_or3_b32 v27, v27, v30, v37
	v_cmp_ne_u32_e32 vcc_lo, 0, v26
	v_cndmask_b32_e32 v26, 0, v27, vcc_lo
.LBB6_15125:                            ;   in Loop: Header=BB6_14082 Depth=3
	s_or_b32 exec_lo, exec_lo, s73
.LBB6_15126:                            ;   in Loop: Header=BB6_14082 Depth=3
	s_or_b32 exec_lo, exec_lo, s23
	s_andn2_b32 vcc_lo, exec_lo, s19
	s_mov_b32 s16, -1
                                        ; implicit-def: $vgpr27
	s_cbranch_vccnz .LBB6_15140
; %bb.15127:                            ;   in Loop: Header=BB6_14082 Depth=3
	v_cmp_gt_i16_sdwa s23, v23, v61 src0_sel:BYTE_0 src1_sel:DWORD
	s_mov_b32 s16, 0
	s_and_saveexec_b32 s73, s23
	s_xor_b32 s23, exec_lo, s73
	s_cbranch_execz .LBB6_15464
; %bb.15128:                            ;   in Loop: Header=BB6_14082 Depth=3
	v_cmp_eq_u16_sdwa s74, v23, v62 src0_sel:BYTE_0 src1_sel:DWORD
	s_mov_b32 s16, -1
	s_and_saveexec_b32 s73, s74
; %bb.15129:                            ;   in Loop: Header=BB6_14082 Depth=3
	s_xor_b32 s16, exec_lo, -1
; %bb.15130:                            ;   in Loop: Header=BB6_14082 Depth=3
	s_or_b32 exec_lo, exec_lo, s73
	s_and_b32 s16, s16, exec_lo
	s_or_saveexec_b32 s23, s23
	s_waitcnt vmcnt(3) lgkmcnt(3)
	v_mov_b32_e32 v27, 0x7f800001
	s_xor_b32 exec_lo, exec_lo, s23
	s_cbranch_execnz .LBB6_15465
.LBB6_15131:                            ;   in Loop: Header=BB6_14082 Depth=3
	s_or_b32 exec_lo, exec_lo, s23
	s_and_saveexec_b32 s23, s16
	s_cbranch_execz .LBB6_15133
.LBB6_15132:                            ;   in Loop: Header=BB6_14082 Depth=3
	v_and_b32_e32 v27, 7, v23
	v_lshrrev_b16 v34, 3, v23
	v_lshlrev_b32_e32 v48, 24, v23
	v_ffbh_u32_e32 v30, v27
	v_and_b32_e32 v34, 15, v34
	v_min_u32_e32 v30, 32, v30
	v_cmp_eq_u32_e32 vcc_lo, 0, v34
	v_subrev_nc_u32_e32 v37, 28, v30
	v_sub_nc_u32_e32 v30, 29, v30
	v_lshlrev_b32_e32 v37, v37, v23
	v_cndmask_b32_e32 v30, v34, v30, vcc_lo
	v_and_b32_e32 v34, 0x80000000, v48
	v_and_b32_e32 v37, 7, v37
	v_lshl_add_u32 v30, v30, 23, 0x3b800000
	v_cndmask_b32_e32 v27, v27, v37, vcc_lo
	v_lshlrev_b32_e32 v27, 20, v27
	v_or3_b32 v27, v34, v30, v27
.LBB6_15133:                            ;   in Loop: Header=BB6_14082 Depth=3
	s_or_b32 exec_lo, exec_lo, s23
	s_waitcnt vmcnt(2) lgkmcnt(2)
	v_cmp_gt_i16_sdwa s23, v24, v61 src0_sel:BYTE_0 src1_sel:DWORD
	s_mov_b32 s16, 0
	s_and_saveexec_b32 s73, s23
	s_xor_b32 s23, exec_lo, s73
	s_cbranch_execz .LBB6_15466
; %bb.15134:                            ;   in Loop: Header=BB6_14082 Depth=3
	v_cmp_eq_u16_sdwa s74, v24, v62 src0_sel:BYTE_0 src1_sel:DWORD
	s_mov_b32 s16, -1
	s_and_saveexec_b32 s73, s74
; %bb.15135:                            ;   in Loop: Header=BB6_14082 Depth=3
	s_xor_b32 s16, exec_lo, -1
; %bb.15136:                            ;   in Loop: Header=BB6_14082 Depth=3
	s_or_b32 exec_lo, exec_lo, s73
	s_and_b32 s16, s16, exec_lo
	s_or_saveexec_b32 s23, s23
	v_mov_b32_e32 v30, 0x7f800001
	s_xor_b32 exec_lo, exec_lo, s23
	s_cbranch_execnz .LBB6_15467
.LBB6_15137:                            ;   in Loop: Header=BB6_14082 Depth=3
	s_or_b32 exec_lo, exec_lo, s23
	s_and_saveexec_b32 s23, s16
	s_cbranch_execz .LBB6_15139
.LBB6_15138:                            ;   in Loop: Header=BB6_14082 Depth=3
	v_and_b32_e32 v30, 7, v24
	v_lshrrev_b16 v37, 3, v24
	v_lshlrev_b32_e32 v50, 24, v24
	v_ffbh_u32_e32 v34, v30
	v_and_b32_e32 v37, 15, v37
	v_min_u32_e32 v34, 32, v34
	v_cmp_eq_u32_e32 vcc_lo, 0, v37
	v_subrev_nc_u32_e32 v48, 28, v34
	v_sub_nc_u32_e32 v34, 29, v34
	v_lshlrev_b32_e32 v48, v48, v24
	v_cndmask_b32_e32 v34, v37, v34, vcc_lo
	v_and_b32_e32 v37, 0x80000000, v50
	v_and_b32_e32 v48, 7, v48
	v_lshl_add_u32 v34, v34, 23, 0x3b800000
	v_cndmask_b32_e32 v30, v30, v48, vcc_lo
	v_lshlrev_b32_e32 v30, 20, v30
	v_or3_b32 v30, v37, v34, v30
.LBB6_15139:                            ;   in Loop: Header=BB6_14082 Depth=3
	s_or_b32 exec_lo, exec_lo, s23
	v_max_f32_e32 v30, v30, v30
	v_max_f32_e32 v27, v27, v27
	;; [unrolled: 1-line block ×3, first 2 shown]
	s_branch .LBB6_15154
.LBB6_15140:                            ;   in Loop: Header=BB6_14082 Depth=3
	s_and_b32 vcc_lo, exec_lo, s16
	s_cbranch_vccz .LBB6_15154
; %bb.15141:                            ;   in Loop: Header=BB6_14082 Depth=3
	v_cmp_gt_i16_sdwa s23, v23, v61 src0_sel:BYTE_0 src1_sel:DWORD
	s_mov_b32 s16, 0
	s_and_saveexec_b32 s73, s23
	s_xor_b32 s23, exec_lo, s73
	s_cbranch_execz .LBB6_15468
; %bb.15142:                            ;   in Loop: Header=BB6_14082 Depth=3
	v_cmp_eq_u16_sdwa s74, v23, v62 src0_sel:BYTE_0 src1_sel:DWORD
	s_mov_b32 s16, -1
	s_and_saveexec_b32 s73, s74
; %bb.15143:                            ;   in Loop: Header=BB6_14082 Depth=3
	s_xor_b32 s16, exec_lo, -1
; %bb.15144:                            ;   in Loop: Header=BB6_14082 Depth=3
	s_or_b32 exec_lo, exec_lo, s73
	s_and_b32 s16, s16, exec_lo
	s_or_saveexec_b32 s23, s23
	s_waitcnt vmcnt(3) lgkmcnt(3)
	v_mov_b32_e32 v27, 0x7f800001
	s_xor_b32 exec_lo, exec_lo, s23
	s_cbranch_execnz .LBB6_15469
.LBB6_15145:                            ;   in Loop: Header=BB6_14082 Depth=3
	s_or_b32 exec_lo, exec_lo, s23
	s_and_saveexec_b32 s23, s16
	s_cbranch_execz .LBB6_15147
.LBB6_15146:                            ;   in Loop: Header=BB6_14082 Depth=3
	v_and_b32_e32 v27, 7, v23
	v_lshrrev_b16 v34, 3, v23
	v_ffbh_u32_e32 v30, v27
	v_and_b32_e32 v34, 15, v34
	v_min_u32_e32 v30, 32, v30
	v_cmp_eq_u32_e32 vcc_lo, 0, v34
	v_subrev_nc_u32_e32 v37, 28, v30
	v_sub_nc_u32_e32 v30, 29, v30
	v_lshlrev_b32_e32 v37, v37, v23
	v_lshlrev_b32_e32 v23, 24, v23
	v_cndmask_b32_e32 v30, v34, v30, vcc_lo
	v_and_b32_e32 v37, 7, v37
	v_and_b32_e32 v23, 0x80000000, v23
	v_lshl_add_u32 v30, v30, 23, 0x3b800000
	v_cndmask_b32_e32 v27, v27, v37, vcc_lo
	v_lshlrev_b32_e32 v27, 20, v27
	v_or3_b32 v27, v23, v30, v27
.LBB6_15147:                            ;   in Loop: Header=BB6_14082 Depth=3
	s_or_b32 exec_lo, exec_lo, s23
	s_waitcnt vmcnt(2) lgkmcnt(2)
	v_cmp_gt_i16_sdwa s23, v24, v61 src0_sel:BYTE_0 src1_sel:DWORD
	s_mov_b32 s16, 0
	s_and_saveexec_b32 s73, s23
	s_xor_b32 s23, exec_lo, s73
	s_cbranch_execz .LBB6_15470
; %bb.15148:                            ;   in Loop: Header=BB6_14082 Depth=3
	v_cmp_eq_u16_sdwa s74, v24, v62 src0_sel:BYTE_0 src1_sel:DWORD
	s_mov_b32 s16, -1
	s_and_saveexec_b32 s73, s74
; %bb.15149:                            ;   in Loop: Header=BB6_14082 Depth=3
	s_xor_b32 s16, exec_lo, -1
; %bb.15150:                            ;   in Loop: Header=BB6_14082 Depth=3
	s_or_b32 exec_lo, exec_lo, s73
	s_and_b32 s16, s16, exec_lo
	s_or_saveexec_b32 s23, s23
	v_mov_b32_e32 v23, 0x7f800001
	s_xor_b32 exec_lo, exec_lo, s23
	s_cbranch_execnz .LBB6_15471
.LBB6_15151:                            ;   in Loop: Header=BB6_14082 Depth=3
	s_or_b32 exec_lo, exec_lo, s23
	s_and_saveexec_b32 s23, s16
	s_cbranch_execz .LBB6_15153
.LBB6_15152:                            ;   in Loop: Header=BB6_14082 Depth=3
	v_and_b32_e32 v23, 7, v24
	v_lshrrev_b16 v34, 3, v24
	v_ffbh_u32_e32 v30, v23
	v_and_b32_e32 v34, 15, v34
	v_min_u32_e32 v30, 32, v30
	v_cmp_eq_u32_e32 vcc_lo, 0, v34
	v_subrev_nc_u32_e32 v37, 28, v30
	v_sub_nc_u32_e32 v30, 29, v30
	v_lshlrev_b32_e32 v37, v37, v24
	v_lshlrev_b32_e32 v24, 24, v24
	v_cndmask_b32_e32 v30, v34, v30, vcc_lo
	v_and_b32_e32 v37, 7, v37
	v_and_b32_e32 v24, 0x80000000, v24
	v_lshl_add_u32 v30, v30, 23, 0x3b800000
	v_cndmask_b32_e32 v23, v23, v37, vcc_lo
	v_lshlrev_b32_e32 v23, 20, v23
	v_or3_b32 v23, v24, v30, v23
.LBB6_15153:                            ;   in Loop: Header=BB6_14082 Depth=3
	s_or_b32 exec_lo, exec_lo, s23
	v_max_f32_e32 v23, v23, v23
	v_max_f32_e32 v24, v27, v27
	v_min_f32_e32 v27, v24, v23
.LBB6_15154:                            ;   in Loop: Header=BB6_14082 Depth=3
	s_waitcnt vmcnt(3) lgkmcnt(3)
	v_and_b32_e32 v23, 0x7f800000, v27
	v_cmp_ne_u32_e32 vcc_lo, 0x7f800000, v23
	v_mov_b32_e32 v23, 0x80
	s_and_saveexec_b32 s23, vcc_lo
	s_cbranch_execz .LBB6_15162
; %bb.15155:                            ;   in Loop: Header=BB6_14082 Depth=3
	v_mov_b32_e32 v23, 0
	s_mov_b32 s73, exec_lo
	v_cmpx_ne_u32_e32 0, v27
	s_cbranch_execz .LBB6_15161
; %bb.15156:                            ;   in Loop: Header=BB6_14082 Depth=3
	v_bfe_u32 v23, v27, 23, 8
	s_waitcnt vmcnt(2) lgkmcnt(2)
	v_and_b32_e32 v24, 0x7fffff, v27
	v_sub_nc_u32_e32 v30, 0x78, v23
	v_cmp_gt_u32_e32 vcc_lo, 0x79, v23
	v_or_b32_e32 v34, 0x800000, v24
	v_cndmask_b32_e32 v30, 0, v30, vcc_lo
	v_cmp_eq_u32_e32 vcc_lo, 0, v23
	v_add_nc_u32_e32 v23, 0xffffff89, v23
	v_cndmask_b32_e64 v30, v30, 0x77, vcc_lo
	v_cndmask_b32_e32 v24, v34, v24, vcc_lo
	v_cndmask_b32_e64 v23, v23, 0xffffff8a, vcc_lo
	v_lshl_add_u32 v34, 0x100000, v30, -1
	v_lshrrev_b32_e32 v37, v30, v24
	v_lshlrev_b32_e64 v50, v30, 0x80000
	v_add_nc_u32_e32 v30, v30, v23
	v_and_b32_e32 v24, v34, v24
	v_bfe_u32 v48, v37, 20, 1
	v_cmp_eq_u32_e64 s16, v24, v50
	v_add_nc_u32_e32 v34, -1, v48
	v_cndmask_b32_e64 v24, 0, v34, s16
	v_lshrrev_b32_e32 v34, 23, v37
	s_mov_b32 s16, exec_lo
	v_add_nc_u32_e32 v24, v24, v37
	v_xor_b32_e32 v34, 1, v34
	v_and_b32_e32 v23, 0xfffff, v24
	v_add_nc_u32_e32 v24, v23, v37
                                        ; implicit-def: $vgpr23
	v_cmpx_ne_u32_e64 v30, v34
	s_xor_b32 s16, exec_lo, s16
; %bb.15157:                            ;   in Loop: Header=BB6_14082 Depth=3
	v_cmp_lt_u32_e32 vcc_lo, 0xffffff, v24
	v_sub_nc_u32_e32 v23, v30, v34
	v_cndmask_b32_e64 v30, 0, 1, vcc_lo
	v_add_co_ci_u32_e64 v23, null, 0, v23, vcc_lo
	v_lshrrev_b32_e32 v24, v30, v24
; %bb.15158:                            ;   in Loop: Header=BB6_14082 Depth=3
	s_andn2_saveexec_b32 s16, s16
; %bb.15159:                            ;   in Loop: Header=BB6_14082 Depth=3
	v_bfe_u32 v23, v24, 23, 1
; %bb.15160:                            ;   in Loop: Header=BB6_14082 Depth=3
	s_or_b32 exec_lo, exec_lo, s16
	v_lshrrev_b32_e32 v24, 20, v24
	v_cmp_gt_i32_e32 vcc_lo, 16, v23
	v_min_i32_e32 v30, 15, v23
	v_and_b32_sdwa v27, v27, v62 dst_sel:DWORD dst_unused:UNUSED_PAD src0_sel:BYTE_3 src1_sel:DWORD
	v_cndmask_b32_e32 v24, 7, v24, vcc_lo
	v_lshlrev_b32_e32 v30, 3, v30
	v_and_b32_e32 v34, 7, v24
	v_or_b32_e32 v23, v23, v24
	v_or3_b32 v24, v30, v27, v34
	v_cmp_ne_u32_e32 vcc_lo, 0, v23
	v_cndmask_b32_e32 v23, 0, v24, vcc_lo
.LBB6_15161:                            ;   in Loop: Header=BB6_14082 Depth=3
	s_or_b32 exec_lo, exec_lo, s73
.LBB6_15162:                            ;   in Loop: Header=BB6_14082 Depth=3
	s_or_b32 exec_lo, exec_lo, s23
	s_andn2_b32 vcc_lo, exec_lo, s19
	s_mov_b32 s16, -1
                                        ; implicit-def: $vgpr24
	s_cbranch_vccnz .LBB6_15176
; %bb.15163:                            ;   in Loop: Header=BB6_14082 Depth=3
	v_cmp_gt_i16_sdwa s23, v21, v61 src0_sel:BYTE_0 src1_sel:DWORD
	s_mov_b32 s16, 0
	s_and_saveexec_b32 s73, s23
	s_xor_b32 s23, exec_lo, s73
	s_cbranch_execz .LBB6_15472
; %bb.15164:                            ;   in Loop: Header=BB6_14082 Depth=3
	v_cmp_eq_u16_sdwa s74, v21, v62 src0_sel:BYTE_0 src1_sel:DWORD
	s_mov_b32 s16, -1
	s_and_saveexec_b32 s73, s74
; %bb.15165:                            ;   in Loop: Header=BB6_14082 Depth=3
	s_xor_b32 s16, exec_lo, -1
; %bb.15166:                            ;   in Loop: Header=BB6_14082 Depth=3
	s_or_b32 exec_lo, exec_lo, s73
	s_and_b32 s16, s16, exec_lo
	s_or_saveexec_b32 s23, s23
	s_waitcnt vmcnt(2) lgkmcnt(2)
	v_mov_b32_e32 v24, 0x7f800001
	s_xor_b32 exec_lo, exec_lo, s23
	s_cbranch_execnz .LBB6_15473
.LBB6_15167:                            ;   in Loop: Header=BB6_14082 Depth=3
	s_or_b32 exec_lo, exec_lo, s23
	s_and_saveexec_b32 s23, s16
	s_cbranch_execz .LBB6_15169
.LBB6_15168:                            ;   in Loop: Header=BB6_14082 Depth=3
	v_and_b32_e32 v24, 7, v21
	v_lshrrev_b16 v30, 3, v21
	v_lshlrev_b32_e32 v37, 24, v21
	v_ffbh_u32_e32 v27, v24
	v_and_b32_e32 v30, 15, v30
	v_min_u32_e32 v27, 32, v27
	v_cmp_eq_u32_e32 vcc_lo, 0, v30
	v_subrev_nc_u32_e32 v34, 28, v27
	v_sub_nc_u32_e32 v27, 29, v27
	v_lshlrev_b32_e32 v34, v34, v21
	v_cndmask_b32_e32 v27, v30, v27, vcc_lo
	v_and_b32_e32 v30, 0x80000000, v37
	v_and_b32_e32 v34, 7, v34
	v_lshl_add_u32 v27, v27, 23, 0x3b800000
	v_cndmask_b32_e32 v24, v24, v34, vcc_lo
	v_lshlrev_b32_e32 v24, 20, v24
	v_or3_b32 v24, v30, v27, v24
.LBB6_15169:                            ;   in Loop: Header=BB6_14082 Depth=3
	s_or_b32 exec_lo, exec_lo, s23
	s_waitcnt vmcnt(1) lgkmcnt(1)
	v_cmp_gt_i16_sdwa s23, v22, v61 src0_sel:BYTE_0 src1_sel:DWORD
	s_mov_b32 s16, 0
	s_and_saveexec_b32 s73, s23
	s_xor_b32 s23, exec_lo, s73
	s_cbranch_execz .LBB6_15474
; %bb.15170:                            ;   in Loop: Header=BB6_14082 Depth=3
	v_cmp_eq_u16_sdwa s74, v22, v62 src0_sel:BYTE_0 src1_sel:DWORD
	s_mov_b32 s16, -1
	s_and_saveexec_b32 s73, s74
; %bb.15171:                            ;   in Loop: Header=BB6_14082 Depth=3
	s_xor_b32 s16, exec_lo, -1
; %bb.15172:                            ;   in Loop: Header=BB6_14082 Depth=3
	s_or_b32 exec_lo, exec_lo, s73
	s_and_b32 s16, s16, exec_lo
	s_or_saveexec_b32 s23, s23
	v_mov_b32_e32 v27, 0x7f800001
	s_xor_b32 exec_lo, exec_lo, s23
	s_cbranch_execnz .LBB6_15475
.LBB6_15173:                            ;   in Loop: Header=BB6_14082 Depth=3
	s_or_b32 exec_lo, exec_lo, s23
	s_and_saveexec_b32 s23, s16
	s_cbranch_execz .LBB6_15175
.LBB6_15174:                            ;   in Loop: Header=BB6_14082 Depth=3
	v_and_b32_e32 v27, 7, v22
	v_lshrrev_b16 v34, 3, v22
	v_lshlrev_b32_e32 v48, 24, v22
	v_ffbh_u32_e32 v30, v27
	v_and_b32_e32 v34, 15, v34
	v_min_u32_e32 v30, 32, v30
	v_cmp_eq_u32_e32 vcc_lo, 0, v34
	v_subrev_nc_u32_e32 v37, 28, v30
	v_sub_nc_u32_e32 v30, 29, v30
	v_lshlrev_b32_e32 v37, v37, v22
	v_cndmask_b32_e32 v30, v34, v30, vcc_lo
	v_and_b32_e32 v34, 0x80000000, v48
	v_and_b32_e32 v37, 7, v37
	v_lshl_add_u32 v30, v30, 23, 0x3b800000
	v_cndmask_b32_e32 v27, v27, v37, vcc_lo
	v_lshlrev_b32_e32 v27, 20, v27
	v_or3_b32 v27, v34, v30, v27
.LBB6_15175:                            ;   in Loop: Header=BB6_14082 Depth=3
	s_or_b32 exec_lo, exec_lo, s23
	v_max_f32_e32 v27, v27, v27
	v_max_f32_e32 v24, v24, v24
	;; [unrolled: 1-line block ×3, first 2 shown]
	s_branch .LBB6_15190
.LBB6_15176:                            ;   in Loop: Header=BB6_14082 Depth=3
	s_and_b32 vcc_lo, exec_lo, s16
	s_cbranch_vccz .LBB6_15190
; %bb.15177:                            ;   in Loop: Header=BB6_14082 Depth=3
	v_cmp_gt_i16_sdwa s23, v21, v61 src0_sel:BYTE_0 src1_sel:DWORD
	s_mov_b32 s16, 0
	s_and_saveexec_b32 s73, s23
	s_xor_b32 s23, exec_lo, s73
	s_cbranch_execz .LBB6_15476
; %bb.15178:                            ;   in Loop: Header=BB6_14082 Depth=3
	v_cmp_eq_u16_sdwa s74, v21, v62 src0_sel:BYTE_0 src1_sel:DWORD
	s_mov_b32 s16, -1
	s_and_saveexec_b32 s73, s74
; %bb.15179:                            ;   in Loop: Header=BB6_14082 Depth=3
	s_xor_b32 s16, exec_lo, -1
; %bb.15180:                            ;   in Loop: Header=BB6_14082 Depth=3
	s_or_b32 exec_lo, exec_lo, s73
	s_and_b32 s16, s16, exec_lo
	s_or_saveexec_b32 s23, s23
	s_waitcnt vmcnt(2) lgkmcnt(2)
	v_mov_b32_e32 v24, 0x7f800001
	s_xor_b32 exec_lo, exec_lo, s23
	s_cbranch_execnz .LBB6_15477
.LBB6_15181:                            ;   in Loop: Header=BB6_14082 Depth=3
	s_or_b32 exec_lo, exec_lo, s23
	s_and_saveexec_b32 s23, s16
	s_cbranch_execz .LBB6_15183
.LBB6_15182:                            ;   in Loop: Header=BB6_14082 Depth=3
	v_and_b32_e32 v24, 7, v21
	v_lshrrev_b16 v30, 3, v21
	v_ffbh_u32_e32 v27, v24
	v_and_b32_e32 v30, 15, v30
	v_min_u32_e32 v27, 32, v27
	v_cmp_eq_u32_e32 vcc_lo, 0, v30
	v_subrev_nc_u32_e32 v34, 28, v27
	v_sub_nc_u32_e32 v27, 29, v27
	v_lshlrev_b32_e32 v34, v34, v21
	v_lshlrev_b32_e32 v21, 24, v21
	v_cndmask_b32_e32 v27, v30, v27, vcc_lo
	v_and_b32_e32 v34, 7, v34
	v_and_b32_e32 v21, 0x80000000, v21
	v_lshl_add_u32 v27, v27, 23, 0x3b800000
	v_cndmask_b32_e32 v24, v24, v34, vcc_lo
	v_lshlrev_b32_e32 v24, 20, v24
	v_or3_b32 v24, v21, v27, v24
.LBB6_15183:                            ;   in Loop: Header=BB6_14082 Depth=3
	s_or_b32 exec_lo, exec_lo, s23
	s_waitcnt vmcnt(1) lgkmcnt(1)
	v_cmp_gt_i16_sdwa s23, v22, v61 src0_sel:BYTE_0 src1_sel:DWORD
	s_mov_b32 s16, 0
	s_and_saveexec_b32 s73, s23
	s_xor_b32 s23, exec_lo, s73
	s_cbranch_execz .LBB6_15478
; %bb.15184:                            ;   in Loop: Header=BB6_14082 Depth=3
	v_cmp_eq_u16_sdwa s74, v22, v62 src0_sel:BYTE_0 src1_sel:DWORD
	s_mov_b32 s16, -1
	s_and_saveexec_b32 s73, s74
; %bb.15185:                            ;   in Loop: Header=BB6_14082 Depth=3
	s_xor_b32 s16, exec_lo, -1
; %bb.15186:                            ;   in Loop: Header=BB6_14082 Depth=3
	s_or_b32 exec_lo, exec_lo, s73
	s_and_b32 s16, s16, exec_lo
	s_or_saveexec_b32 s23, s23
	v_mov_b32_e32 v21, 0x7f800001
	s_xor_b32 exec_lo, exec_lo, s23
	s_cbranch_execnz .LBB6_15479
.LBB6_15187:                            ;   in Loop: Header=BB6_14082 Depth=3
	s_or_b32 exec_lo, exec_lo, s23
	s_and_saveexec_b32 s23, s16
	s_cbranch_execz .LBB6_15189
.LBB6_15188:                            ;   in Loop: Header=BB6_14082 Depth=3
	v_and_b32_e32 v21, 7, v22
	v_lshrrev_b16 v30, 3, v22
	v_ffbh_u32_e32 v27, v21
	v_and_b32_e32 v30, 15, v30
	v_min_u32_e32 v27, 32, v27
	v_cmp_eq_u32_e32 vcc_lo, 0, v30
	v_subrev_nc_u32_e32 v34, 28, v27
	v_sub_nc_u32_e32 v27, 29, v27
	v_lshlrev_b32_e32 v34, v34, v22
	v_lshlrev_b32_e32 v22, 24, v22
	v_cndmask_b32_e32 v27, v30, v27, vcc_lo
	v_and_b32_e32 v34, 7, v34
	v_and_b32_e32 v22, 0x80000000, v22
	v_lshl_add_u32 v27, v27, 23, 0x3b800000
	v_cndmask_b32_e32 v21, v21, v34, vcc_lo
	v_lshlrev_b32_e32 v21, 20, v21
	v_or3_b32 v21, v22, v27, v21
.LBB6_15189:                            ;   in Loop: Header=BB6_14082 Depth=3
	s_or_b32 exec_lo, exec_lo, s23
	v_max_f32_e32 v21, v21, v21
	v_max_f32_e32 v22, v24, v24
	v_min_f32_e32 v24, v22, v21
.LBB6_15190:                            ;   in Loop: Header=BB6_14082 Depth=3
	s_waitcnt vmcnt(2) lgkmcnt(2)
	v_and_b32_e32 v21, 0x7f800000, v24
	v_cmp_ne_u32_e32 vcc_lo, 0x7f800000, v21
	v_mov_b32_e32 v21, 0x80
	s_and_saveexec_b32 s23, vcc_lo
	s_cbranch_execz .LBB6_15198
; %bb.15191:                            ;   in Loop: Header=BB6_14082 Depth=3
	v_mov_b32_e32 v21, 0
	s_mov_b32 s73, exec_lo
	v_cmpx_ne_u32_e32 0, v24
	s_cbranch_execz .LBB6_15197
; %bb.15192:                            ;   in Loop: Header=BB6_14082 Depth=3
	v_bfe_u32 v21, v24, 23, 8
	s_waitcnt vmcnt(1) lgkmcnt(1)
	v_and_b32_e32 v22, 0x7fffff, v24
	v_sub_nc_u32_e32 v27, 0x78, v21
	v_cmp_gt_u32_e32 vcc_lo, 0x79, v21
	v_or_b32_e32 v30, 0x800000, v22
	v_cndmask_b32_e32 v27, 0, v27, vcc_lo
	v_cmp_eq_u32_e32 vcc_lo, 0, v21
	v_add_nc_u32_e32 v21, 0xffffff89, v21
	v_cndmask_b32_e64 v27, v27, 0x77, vcc_lo
	v_cndmask_b32_e32 v22, v30, v22, vcc_lo
	v_cndmask_b32_e64 v21, v21, 0xffffff8a, vcc_lo
	v_lshl_add_u32 v30, 0x100000, v27, -1
	v_lshrrev_b32_e32 v34, v27, v22
	v_lshlrev_b32_e64 v48, v27, 0x80000
	v_add_nc_u32_e32 v27, v27, v21
	v_and_b32_e32 v22, v30, v22
	v_bfe_u32 v37, v34, 20, 1
	v_cmp_eq_u32_e64 s16, v22, v48
	v_add_nc_u32_e32 v30, -1, v37
	v_cndmask_b32_e64 v22, 0, v30, s16
	v_lshrrev_b32_e32 v30, 23, v34
	s_mov_b32 s16, exec_lo
	v_add_nc_u32_e32 v22, v22, v34
	v_xor_b32_e32 v30, 1, v30
	v_and_b32_e32 v21, 0xfffff, v22
	v_add_nc_u32_e32 v22, v21, v34
                                        ; implicit-def: $vgpr21
	v_cmpx_ne_u32_e64 v27, v30
	s_xor_b32 s16, exec_lo, s16
; %bb.15193:                            ;   in Loop: Header=BB6_14082 Depth=3
	v_cmp_lt_u32_e32 vcc_lo, 0xffffff, v22
	v_sub_nc_u32_e32 v21, v27, v30
	v_cndmask_b32_e64 v27, 0, 1, vcc_lo
	v_add_co_ci_u32_e64 v21, null, 0, v21, vcc_lo
	v_lshrrev_b32_e32 v22, v27, v22
; %bb.15194:                            ;   in Loop: Header=BB6_14082 Depth=3
	s_andn2_saveexec_b32 s16, s16
; %bb.15195:                            ;   in Loop: Header=BB6_14082 Depth=3
	v_bfe_u32 v21, v22, 23, 1
; %bb.15196:                            ;   in Loop: Header=BB6_14082 Depth=3
	s_or_b32 exec_lo, exec_lo, s16
	v_lshrrev_b32_e32 v22, 20, v22
	v_cmp_gt_i32_e32 vcc_lo, 16, v21
	v_min_i32_e32 v27, 15, v21
	v_and_b32_sdwa v24, v24, v62 dst_sel:DWORD dst_unused:UNUSED_PAD src0_sel:BYTE_3 src1_sel:DWORD
	v_cndmask_b32_e32 v22, 7, v22, vcc_lo
	v_lshlrev_b32_e32 v27, 3, v27
	v_and_b32_e32 v30, 7, v22
	v_or_b32_e32 v21, v21, v22
	v_or3_b32 v22, v27, v24, v30
	v_cmp_ne_u32_e32 vcc_lo, 0, v21
	v_cndmask_b32_e32 v21, 0, v22, vcc_lo
.LBB6_15197:                            ;   in Loop: Header=BB6_14082 Depth=3
	s_or_b32 exec_lo, exec_lo, s73
.LBB6_15198:                            ;   in Loop: Header=BB6_14082 Depth=3
	s_or_b32 exec_lo, exec_lo, s23
	s_andn2_b32 vcc_lo, exec_lo, s19
	s_mov_b32 s16, -1
                                        ; implicit-def: $vgpr22
	s_cbranch_vccnz .LBB6_15212
; %bb.15199:                            ;   in Loop: Header=BB6_14082 Depth=3
	v_cmp_gt_i16_sdwa s23, v18, v61 src0_sel:BYTE_0 src1_sel:DWORD
	s_mov_b32 s16, 0
	s_and_saveexec_b32 s73, s23
	s_xor_b32 s23, exec_lo, s73
	s_cbranch_execz .LBB6_15480
; %bb.15200:                            ;   in Loop: Header=BB6_14082 Depth=3
	v_cmp_eq_u16_sdwa s74, v18, v62 src0_sel:BYTE_0 src1_sel:DWORD
	s_mov_b32 s16, -1
	s_and_saveexec_b32 s73, s74
; %bb.15201:                            ;   in Loop: Header=BB6_14082 Depth=3
	s_xor_b32 s16, exec_lo, -1
; %bb.15202:                            ;   in Loop: Header=BB6_14082 Depth=3
	s_or_b32 exec_lo, exec_lo, s73
	s_and_b32 s16, s16, exec_lo
	s_or_saveexec_b32 s23, s23
	s_waitcnt vmcnt(1) lgkmcnt(1)
	v_mov_b32_e32 v22, 0x7f800001
	s_xor_b32 exec_lo, exec_lo, s23
	s_cbranch_execnz .LBB6_15481
.LBB6_15203:                            ;   in Loop: Header=BB6_14082 Depth=3
	s_or_b32 exec_lo, exec_lo, s23
	s_and_saveexec_b32 s23, s16
	s_cbranch_execz .LBB6_15205
.LBB6_15204:                            ;   in Loop: Header=BB6_14082 Depth=3
	v_and_b32_e32 v22, 7, v18
	v_lshrrev_b16 v27, 3, v18
	v_lshlrev_b32_e32 v34, 24, v18
	v_ffbh_u32_e32 v24, v22
	v_and_b32_e32 v27, 15, v27
	v_min_u32_e32 v24, 32, v24
	v_cmp_eq_u32_e32 vcc_lo, 0, v27
	v_subrev_nc_u32_e32 v30, 28, v24
	v_sub_nc_u32_e32 v24, 29, v24
	v_lshlrev_b32_e32 v30, v30, v18
	v_cndmask_b32_e32 v24, v27, v24, vcc_lo
	v_and_b32_e32 v27, 0x80000000, v34
	v_and_b32_e32 v30, 7, v30
	v_lshl_add_u32 v24, v24, 23, 0x3b800000
	v_cndmask_b32_e32 v22, v22, v30, vcc_lo
	v_lshlrev_b32_e32 v22, 20, v22
	v_or3_b32 v22, v27, v24, v22
.LBB6_15205:                            ;   in Loop: Header=BB6_14082 Depth=3
	s_or_b32 exec_lo, exec_lo, s23
	s_waitcnt vmcnt(0) lgkmcnt(0)
	v_cmp_gt_i16_sdwa s23, v19, v61 src0_sel:BYTE_0 src1_sel:DWORD
	s_mov_b32 s16, 0
	s_and_saveexec_b32 s73, s23
	s_xor_b32 s23, exec_lo, s73
	s_cbranch_execz .LBB6_15482
; %bb.15206:                            ;   in Loop: Header=BB6_14082 Depth=3
	v_cmp_eq_u16_sdwa s74, v19, v62 src0_sel:BYTE_0 src1_sel:DWORD
	s_mov_b32 s16, -1
	s_and_saveexec_b32 s73, s74
; %bb.15207:                            ;   in Loop: Header=BB6_14082 Depth=3
	s_xor_b32 s16, exec_lo, -1
; %bb.15208:                            ;   in Loop: Header=BB6_14082 Depth=3
	s_or_b32 exec_lo, exec_lo, s73
	s_and_b32 s16, s16, exec_lo
	s_or_saveexec_b32 s23, s23
	v_mov_b32_e32 v24, 0x7f800001
	s_xor_b32 exec_lo, exec_lo, s23
	s_cbranch_execnz .LBB6_15483
.LBB6_15209:                            ;   in Loop: Header=BB6_14082 Depth=3
	s_or_b32 exec_lo, exec_lo, s23
	s_and_saveexec_b32 s23, s16
	s_cbranch_execz .LBB6_15211
.LBB6_15210:                            ;   in Loop: Header=BB6_14082 Depth=3
	v_and_b32_e32 v24, 7, v19
	v_lshrrev_b16 v30, 3, v19
	v_lshlrev_b32_e32 v37, 24, v19
	v_ffbh_u32_e32 v27, v24
	v_and_b32_e32 v30, 15, v30
	v_min_u32_e32 v27, 32, v27
	v_cmp_eq_u32_e32 vcc_lo, 0, v30
	v_subrev_nc_u32_e32 v34, 28, v27
	v_sub_nc_u32_e32 v27, 29, v27
	v_lshlrev_b32_e32 v34, v34, v19
	v_cndmask_b32_e32 v27, v30, v27, vcc_lo
	v_and_b32_e32 v30, 0x80000000, v37
	v_and_b32_e32 v34, 7, v34
	v_lshl_add_u32 v27, v27, 23, 0x3b800000
	v_cndmask_b32_e32 v24, v24, v34, vcc_lo
	v_lshlrev_b32_e32 v24, 20, v24
	v_or3_b32 v24, v30, v27, v24
.LBB6_15211:                            ;   in Loop: Header=BB6_14082 Depth=3
	s_or_b32 exec_lo, exec_lo, s23
	v_max_f32_e32 v24, v24, v24
	v_max_f32_e32 v22, v22, v22
	v_max_f32_e32 v22, v22, v24
	s_branch .LBB6_15226
.LBB6_15212:                            ;   in Loop: Header=BB6_14082 Depth=3
	s_and_b32 vcc_lo, exec_lo, s16
	s_cbranch_vccz .LBB6_15226
; %bb.15213:                            ;   in Loop: Header=BB6_14082 Depth=3
	v_cmp_gt_i16_sdwa s23, v18, v61 src0_sel:BYTE_0 src1_sel:DWORD
	s_mov_b32 s16, 0
	s_and_saveexec_b32 s73, s23
	s_xor_b32 s23, exec_lo, s73
	s_cbranch_execz .LBB6_15484
; %bb.15214:                            ;   in Loop: Header=BB6_14082 Depth=3
	v_cmp_eq_u16_sdwa s74, v18, v62 src0_sel:BYTE_0 src1_sel:DWORD
	s_mov_b32 s16, -1
	s_and_saveexec_b32 s73, s74
; %bb.15215:                            ;   in Loop: Header=BB6_14082 Depth=3
	s_xor_b32 s16, exec_lo, -1
; %bb.15216:                            ;   in Loop: Header=BB6_14082 Depth=3
	s_or_b32 exec_lo, exec_lo, s73
	s_and_b32 s16, s16, exec_lo
	s_or_saveexec_b32 s23, s23
	s_waitcnt vmcnt(1) lgkmcnt(1)
	v_mov_b32_e32 v22, 0x7f800001
	s_xor_b32 exec_lo, exec_lo, s23
	s_cbranch_execnz .LBB6_15485
.LBB6_15217:                            ;   in Loop: Header=BB6_14082 Depth=3
	s_or_b32 exec_lo, exec_lo, s23
	s_and_saveexec_b32 s23, s16
	s_cbranch_execz .LBB6_15219
.LBB6_15218:                            ;   in Loop: Header=BB6_14082 Depth=3
	v_and_b32_e32 v22, 7, v18
	v_lshrrev_b16 v27, 3, v18
	v_ffbh_u32_e32 v24, v22
	v_and_b32_e32 v27, 15, v27
	v_min_u32_e32 v24, 32, v24
	v_cmp_eq_u32_e32 vcc_lo, 0, v27
	v_subrev_nc_u32_e32 v30, 28, v24
	v_sub_nc_u32_e32 v24, 29, v24
	v_lshlrev_b32_e32 v30, v30, v18
	v_lshlrev_b32_e32 v18, 24, v18
	v_cndmask_b32_e32 v24, v27, v24, vcc_lo
	v_and_b32_e32 v30, 7, v30
	v_and_b32_e32 v18, 0x80000000, v18
	v_lshl_add_u32 v24, v24, 23, 0x3b800000
	v_cndmask_b32_e32 v22, v22, v30, vcc_lo
	v_lshlrev_b32_e32 v22, 20, v22
	v_or3_b32 v22, v18, v24, v22
.LBB6_15219:                            ;   in Loop: Header=BB6_14082 Depth=3
	s_or_b32 exec_lo, exec_lo, s23
	s_waitcnt vmcnt(0) lgkmcnt(0)
	v_cmp_gt_i16_sdwa s23, v19, v61 src0_sel:BYTE_0 src1_sel:DWORD
	s_mov_b32 s16, 0
	s_and_saveexec_b32 s73, s23
	s_xor_b32 s23, exec_lo, s73
	s_cbranch_execz .LBB6_15486
; %bb.15220:                            ;   in Loop: Header=BB6_14082 Depth=3
	v_cmp_eq_u16_sdwa s74, v19, v62 src0_sel:BYTE_0 src1_sel:DWORD
	s_mov_b32 s16, -1
	s_and_saveexec_b32 s73, s74
; %bb.15221:                            ;   in Loop: Header=BB6_14082 Depth=3
	s_xor_b32 s16, exec_lo, -1
; %bb.15222:                            ;   in Loop: Header=BB6_14082 Depth=3
	s_or_b32 exec_lo, exec_lo, s73
	s_and_b32 s16, s16, exec_lo
	s_or_saveexec_b32 s23, s23
	v_mov_b32_e32 v18, 0x7f800001
	s_xor_b32 exec_lo, exec_lo, s23
	s_cbranch_execnz .LBB6_15487
.LBB6_15223:                            ;   in Loop: Header=BB6_14082 Depth=3
	s_or_b32 exec_lo, exec_lo, s23
	s_and_saveexec_b32 s23, s16
	s_cbranch_execz .LBB6_15225
.LBB6_15224:                            ;   in Loop: Header=BB6_14082 Depth=3
	v_and_b32_e32 v18, 7, v19
	v_lshrrev_b16 v27, 3, v19
	v_ffbh_u32_e32 v24, v18
	v_and_b32_e32 v27, 15, v27
	v_min_u32_e32 v24, 32, v24
	v_cmp_eq_u32_e32 vcc_lo, 0, v27
	v_subrev_nc_u32_e32 v30, 28, v24
	v_sub_nc_u32_e32 v24, 29, v24
	v_lshlrev_b32_e32 v30, v30, v19
	v_lshlrev_b32_e32 v19, 24, v19
	v_cndmask_b32_e32 v24, v27, v24, vcc_lo
	v_and_b32_e32 v30, 7, v30
	v_and_b32_e32 v19, 0x80000000, v19
	v_lshl_add_u32 v24, v24, 23, 0x3b800000
	v_cndmask_b32_e32 v18, v18, v30, vcc_lo
	v_lshlrev_b32_e32 v18, 20, v18
	v_or3_b32 v18, v19, v24, v18
.LBB6_15225:                            ;   in Loop: Header=BB6_14082 Depth=3
	s_or_b32 exec_lo, exec_lo, s23
	v_max_f32_e32 v18, v18, v18
	v_max_f32_e32 v19, v22, v22
	v_min_f32_e32 v22, v19, v18
.LBB6_15226:                            ;   in Loop: Header=BB6_14082 Depth=3
	s_waitcnt vmcnt(1) lgkmcnt(1)
	v_and_b32_e32 v18, 0x7f800000, v22
	v_cmp_ne_u32_e32 vcc_lo, 0x7f800000, v18
	v_mov_b32_e32 v18, 0x80
	s_and_saveexec_b32 s23, vcc_lo
	s_cbranch_execz .LBB6_14081
; %bb.15227:                            ;   in Loop: Header=BB6_14082 Depth=3
	v_mov_b32_e32 v18, 0
	s_mov_b32 s73, exec_lo
	v_cmpx_ne_u32_e32 0, v22
	s_cbranch_execz .LBB6_14080
; %bb.15228:                            ;   in Loop: Header=BB6_14082 Depth=3
	v_bfe_u32 v18, v22, 23, 8
	s_waitcnt vmcnt(0) lgkmcnt(0)
	v_and_b32_e32 v19, 0x7fffff, v22
	v_sub_nc_u32_e32 v24, 0x78, v18
	v_cmp_gt_u32_e32 vcc_lo, 0x79, v18
	v_or_b32_e32 v27, 0x800000, v19
	v_cndmask_b32_e32 v24, 0, v24, vcc_lo
	v_cmp_eq_u32_e32 vcc_lo, 0, v18
	v_add_nc_u32_e32 v18, 0xffffff89, v18
	v_cndmask_b32_e64 v24, v24, 0x77, vcc_lo
	v_cndmask_b32_e32 v19, v27, v19, vcc_lo
	v_cndmask_b32_e64 v18, v18, 0xffffff8a, vcc_lo
	v_lshl_add_u32 v27, 0x100000, v24, -1
	v_lshrrev_b32_e32 v30, v24, v19
	v_lshlrev_b32_e64 v37, v24, 0x80000
	v_add_nc_u32_e32 v24, v24, v18
	v_and_b32_e32 v19, v27, v19
	v_bfe_u32 v34, v30, 20, 1
	v_cmp_eq_u32_e64 s16, v19, v37
	v_add_nc_u32_e32 v27, -1, v34
	v_cndmask_b32_e64 v19, 0, v27, s16
	v_lshrrev_b32_e32 v27, 23, v30
	s_mov_b32 s16, exec_lo
	v_add_nc_u32_e32 v19, v19, v30
	v_xor_b32_e32 v27, 1, v27
	v_and_b32_e32 v18, 0xfffff, v19
	v_add_nc_u32_e32 v19, v18, v30
                                        ; implicit-def: $vgpr18
	v_cmpx_ne_u32_e64 v24, v27
	s_xor_b32 s16, exec_lo, s16
; %bb.15229:                            ;   in Loop: Header=BB6_14082 Depth=3
	v_cmp_lt_u32_e32 vcc_lo, 0xffffff, v19
	v_sub_nc_u32_e32 v18, v24, v27
	v_cndmask_b32_e64 v24, 0, 1, vcc_lo
	v_add_co_ci_u32_e64 v18, null, 0, v18, vcc_lo
	v_lshrrev_b32_e32 v19, v24, v19
; %bb.15230:                            ;   in Loop: Header=BB6_14082 Depth=3
	s_andn2_saveexec_b32 s16, s16
	s_cbranch_execz .LBB6_14079
; %bb.15231:                            ;   in Loop: Header=BB6_14082 Depth=3
	v_bfe_u32 v18, v19, 23, 1
	s_branch .LBB6_14079
.LBB6_15232:                            ;   in Loop: Header=BB6_14082 Depth=3
	s_or_saveexec_b32 s16, s16
	v_mov_b32_e32 v60, 0x7f800001
	s_xor_b32 exec_lo, exec_lo, s16
	s_cbranch_execz .LBB6_14087
.LBB6_15233:                            ;   in Loop: Header=BB6_14082 Depth=3
	v_cmp_ne_u16_sdwa s73, v46, v2 src0_sel:BYTE_0 src1_sel:DWORD
	v_mov_b32_e32 v60, 0
	s_andn2_b32 s23, s23, exec_lo
	s_and_b32 s73, s73, exec_lo
	s_or_b32 s23, s23, s73
	s_or_b32 exec_lo, exec_lo, s16
	s_and_saveexec_b32 s16, s23
	s_cbranch_execnz .LBB6_14088
	s_branch .LBB6_14089
.LBB6_15234:                            ;   in Loop: Header=BB6_14082 Depth=3
	s_or_saveexec_b32 s16, s16
	v_mov_b32_e32 v86, 0x7f800001
	s_xor_b32 exec_lo, exec_lo, s16
	s_cbranch_execz .LBB6_14093
.LBB6_15235:                            ;   in Loop: Header=BB6_14082 Depth=3
	v_cmp_ne_u16_sdwa s73, v20, v2 src0_sel:BYTE_0 src1_sel:DWORD
	v_mov_b32_e32 v86, 0
	s_andn2_b32 s23, s23, exec_lo
	s_and_b32 s73, s73, exec_lo
	s_or_b32 s23, s23, s73
	s_or_b32 exec_lo, exec_lo, s16
	s_and_saveexec_b32 s16, s23
	s_cbranch_execnz .LBB6_14094
	s_branch .LBB6_14095
.LBB6_15236:                            ;   in Loop: Header=BB6_14082 Depth=3
	s_or_saveexec_b32 s16, s16
	v_mov_b32_e32 v60, 0x7f800001
	s_xor_b32 exec_lo, exec_lo, s16
	s_cbranch_execz .LBB6_14101
.LBB6_15237:                            ;   in Loop: Header=BB6_14082 Depth=3
	v_cmp_ne_u16_sdwa s73, v46, v2 src0_sel:BYTE_0 src1_sel:DWORD
	v_mov_b32_e32 v60, 0
	s_andn2_b32 s23, s23, exec_lo
	s_and_b32 s73, s73, exec_lo
	s_or_b32 s23, s23, s73
	s_or_b32 exec_lo, exec_lo, s16
	s_and_saveexec_b32 s16, s23
	s_cbranch_execnz .LBB6_14102
	s_branch .LBB6_14103
.LBB6_15238:                            ;   in Loop: Header=BB6_14082 Depth=3
	s_or_saveexec_b32 s16, s16
	v_mov_b32_e32 v86, 0x7f800001
	s_xor_b32 exec_lo, exec_lo, s16
	s_cbranch_execz .LBB6_14107
.LBB6_15239:                            ;   in Loop: Header=BB6_14082 Depth=3
	v_cmp_ne_u16_sdwa s73, v20, v2 src0_sel:BYTE_0 src1_sel:DWORD
	v_mov_b32_e32 v86, 0
	s_andn2_b32 s23, s23, exec_lo
	s_and_b32 s73, s73, exec_lo
	s_or_b32 s23, s23, s73
	s_or_b32 exec_lo, exec_lo, s16
	s_and_saveexec_b32 s16, s23
	s_cbranch_execnz .LBB6_14108
	s_branch .LBB6_14109
.LBB6_15240:                            ;   in Loop: Header=BB6_14082 Depth=3
	s_or_saveexec_b32 s23, s23
	v_mov_b32_e32 v46, 0x7f800001
	s_xor_b32 exec_lo, exec_lo, s23
	s_cbranch_execz .LBB6_14123
.LBB6_15241:                            ;   in Loop: Header=BB6_14082 Depth=3
	v_cmp_ne_u16_sdwa s73, v74, v2 src0_sel:BYTE_0 src1_sel:DWORD
	v_mov_b32_e32 v46, 0
	s_andn2_b32 s16, s16, exec_lo
	s_and_b32 s73, s73, exec_lo
	s_or_b32 s16, s16, s73
	s_or_b32 exec_lo, exec_lo, s23
	s_and_saveexec_b32 s23, s16
	s_cbranch_execnz .LBB6_14124
	s_branch .LBB6_14125
.LBB6_15242:                            ;   in Loop: Header=BB6_14082 Depth=3
	s_or_saveexec_b32 s23, s23
	v_mov_b32_e32 v86, 0x7f800001
	s_xor_b32 exec_lo, exec_lo, s23
	s_cbranch_execz .LBB6_14129
.LBB6_15243:                            ;   in Loop: Header=BB6_14082 Depth=3
	v_cmp_ne_u16_sdwa s73, v25, v2 src0_sel:BYTE_0 src1_sel:DWORD
	v_mov_b32_e32 v86, 0
	s_andn2_b32 s16, s16, exec_lo
	s_and_b32 s73, s73, exec_lo
	s_or_b32 s16, s16, s73
	s_or_b32 exec_lo, exec_lo, s23
	s_and_saveexec_b32 s23, s16
	s_cbranch_execnz .LBB6_14130
	s_branch .LBB6_14131
.LBB6_15244:                            ;   in Loop: Header=BB6_14082 Depth=3
	s_or_saveexec_b32 s23, s23
	v_mov_b32_e32 v46, 0x7f800001
	s_xor_b32 exec_lo, exec_lo, s23
	s_cbranch_execz .LBB6_14137
.LBB6_15245:                            ;   in Loop: Header=BB6_14082 Depth=3
	v_cmp_ne_u16_sdwa s73, v74, v2 src0_sel:BYTE_0 src1_sel:DWORD
	v_mov_b32_e32 v46, 0
	s_andn2_b32 s16, s16, exec_lo
	s_and_b32 s73, s73, exec_lo
	s_or_b32 s16, s16, s73
	s_or_b32 exec_lo, exec_lo, s23
	s_and_saveexec_b32 s23, s16
	s_cbranch_execnz .LBB6_14138
	s_branch .LBB6_14139
.LBB6_15246:                            ;   in Loop: Header=BB6_14082 Depth=3
	s_or_saveexec_b32 s23, s23
	v_mov_b32_e32 v86, 0x7f800001
	s_xor_b32 exec_lo, exec_lo, s23
	s_cbranch_execz .LBB6_14143
.LBB6_15247:                            ;   in Loop: Header=BB6_14082 Depth=3
	v_cmp_ne_u16_sdwa s73, v25, v2 src0_sel:BYTE_0 src1_sel:DWORD
	v_mov_b32_e32 v86, 0
	s_andn2_b32 s16, s16, exec_lo
	s_and_b32 s73, s73, exec_lo
	s_or_b32 s16, s16, s73
	s_or_b32 exec_lo, exec_lo, s23
	s_and_saveexec_b32 s23, s16
	s_cbranch_execnz .LBB6_14144
	s_branch .LBB6_14145
.LBB6_15248:                            ;   in Loop: Header=BB6_14082 Depth=3
	s_or_saveexec_b32 s23, s23
	v_mov_b32_e32 v46, 0x7f800001
	s_xor_b32 exec_lo, exec_lo, s23
	s_cbranch_execz .LBB6_14159
.LBB6_15249:                            ;   in Loop: Header=BB6_14082 Depth=3
	v_cmp_ne_u16_sdwa s73, v122, v2 src0_sel:BYTE_0 src1_sel:DWORD
	v_mov_b32_e32 v46, 0
	s_andn2_b32 s16, s16, exec_lo
	s_and_b32 s73, s73, exec_lo
	s_or_b32 s16, s16, s73
	s_or_b32 exec_lo, exec_lo, s23
	s_and_saveexec_b32 s23, s16
	s_cbranch_execnz .LBB6_14160
	s_branch .LBB6_14161
.LBB6_15250:                            ;   in Loop: Header=BB6_14082 Depth=3
	s_or_saveexec_b32 s23, s23
	v_mov_b32_e32 v86, 0x7f800001
	s_xor_b32 exec_lo, exec_lo, s23
	s_cbranch_execz .LBB6_14165
.LBB6_15251:                            ;   in Loop: Header=BB6_14082 Depth=3
	v_cmp_ne_u16_sdwa s73, v28, v2 src0_sel:BYTE_0 src1_sel:DWORD
	v_mov_b32_e32 v86, 0
	s_andn2_b32 s16, s16, exec_lo
	s_and_b32 s73, s73, exec_lo
	s_or_b32 s16, s16, s73
	s_or_b32 exec_lo, exec_lo, s23
	s_and_saveexec_b32 s23, s16
	s_cbranch_execnz .LBB6_14166
	s_branch .LBB6_14167
.LBB6_15252:                            ;   in Loop: Header=BB6_14082 Depth=3
	s_or_saveexec_b32 s23, s23
	v_mov_b32_e32 v46, 0x7f800001
	s_xor_b32 exec_lo, exec_lo, s23
	s_cbranch_execz .LBB6_14173
.LBB6_15253:                            ;   in Loop: Header=BB6_14082 Depth=3
	v_cmp_ne_u16_sdwa s73, v122, v2 src0_sel:BYTE_0 src1_sel:DWORD
	v_mov_b32_e32 v46, 0
	s_andn2_b32 s16, s16, exec_lo
	s_and_b32 s73, s73, exec_lo
	s_or_b32 s16, s16, s73
	s_or_b32 exec_lo, exec_lo, s23
	s_and_saveexec_b32 s23, s16
	s_cbranch_execnz .LBB6_14174
	s_branch .LBB6_14175
.LBB6_15254:                            ;   in Loop: Header=BB6_14082 Depth=3
	s_or_saveexec_b32 s23, s23
	v_mov_b32_e32 v86, 0x7f800001
	s_xor_b32 exec_lo, exec_lo, s23
	s_cbranch_execz .LBB6_14179
.LBB6_15255:                            ;   in Loop: Header=BB6_14082 Depth=3
	v_cmp_ne_u16_sdwa s73, v28, v2 src0_sel:BYTE_0 src1_sel:DWORD
	v_mov_b32_e32 v86, 0
	s_andn2_b32 s16, s16, exec_lo
	s_and_b32 s73, s73, exec_lo
	s_or_b32 s16, s16, s73
	s_or_b32 exec_lo, exec_lo, s23
	s_and_saveexec_b32 s23, s16
	s_cbranch_execnz .LBB6_14180
	s_branch .LBB6_14181
.LBB6_15256:                            ;   in Loop: Header=BB6_14082 Depth=3
	s_or_saveexec_b32 s23, s23
	v_mov_b32_e32 v46, 0x7f800001
	s_xor_b32 exec_lo, exec_lo, s23
	s_cbranch_execz .LBB6_14195
.LBB6_15257:                            ;   in Loop: Header=BB6_14082 Depth=3
	v_cmp_ne_u16_sdwa s73, v121, v2 src0_sel:BYTE_0 src1_sel:DWORD
	v_mov_b32_e32 v46, 0
	s_andn2_b32 s16, s16, exec_lo
	s_and_b32 s73, s73, exec_lo
	s_or_b32 s16, s16, s73
	s_or_b32 exec_lo, exec_lo, s23
	s_and_saveexec_b32 s23, s16
	s_cbranch_execnz .LBB6_14196
	s_branch .LBB6_14197
.LBB6_15258:                            ;   in Loop: Header=BB6_14082 Depth=3
	s_or_saveexec_b32 s23, s23
	v_mov_b32_e32 v86, 0x7f800001
	s_xor_b32 exec_lo, exec_lo, s23
	s_cbranch_execz .LBB6_14201
.LBB6_15259:                            ;   in Loop: Header=BB6_14082 Depth=3
	v_cmp_ne_u16_sdwa s73, v32, v2 src0_sel:BYTE_0 src1_sel:DWORD
	v_mov_b32_e32 v86, 0
	s_andn2_b32 s16, s16, exec_lo
	s_and_b32 s73, s73, exec_lo
	s_or_b32 s16, s16, s73
	s_or_b32 exec_lo, exec_lo, s23
	s_and_saveexec_b32 s23, s16
	s_cbranch_execnz .LBB6_14202
	s_branch .LBB6_14203
.LBB6_15260:                            ;   in Loop: Header=BB6_14082 Depth=3
	s_or_saveexec_b32 s23, s23
	v_mov_b32_e32 v46, 0x7f800001
	s_xor_b32 exec_lo, exec_lo, s23
	s_cbranch_execz .LBB6_14209
.LBB6_15261:                            ;   in Loop: Header=BB6_14082 Depth=3
	v_cmp_ne_u16_sdwa s73, v121, v2 src0_sel:BYTE_0 src1_sel:DWORD
	v_mov_b32_e32 v46, 0
	s_andn2_b32 s16, s16, exec_lo
	s_and_b32 s73, s73, exec_lo
	s_or_b32 s16, s16, s73
	s_or_b32 exec_lo, exec_lo, s23
	s_and_saveexec_b32 s23, s16
	s_cbranch_execnz .LBB6_14210
	s_branch .LBB6_14211
.LBB6_15262:                            ;   in Loop: Header=BB6_14082 Depth=3
	s_or_saveexec_b32 s23, s23
	v_mov_b32_e32 v86, 0x7f800001
	s_xor_b32 exec_lo, exec_lo, s23
	s_cbranch_execz .LBB6_14215
.LBB6_15263:                            ;   in Loop: Header=BB6_14082 Depth=3
	v_cmp_ne_u16_sdwa s73, v32, v2 src0_sel:BYTE_0 src1_sel:DWORD
	v_mov_b32_e32 v86, 0
	s_andn2_b32 s16, s16, exec_lo
	s_and_b32 s73, s73, exec_lo
	s_or_b32 s16, s16, s73
	s_or_b32 exec_lo, exec_lo, s23
	s_and_saveexec_b32 s23, s16
	s_cbranch_execnz .LBB6_14216
	s_branch .LBB6_14217
.LBB6_15264:                            ;   in Loop: Header=BB6_14082 Depth=3
	s_or_saveexec_b32 s23, s23
	v_mov_b32_e32 v46, 0x7f800001
	s_xor_b32 exec_lo, exec_lo, s23
	s_cbranch_execz .LBB6_14231
.LBB6_15265:                            ;   in Loop: Header=BB6_14082 Depth=3
	v_cmp_ne_u16_sdwa s73, v88, v2 src0_sel:BYTE_0 src1_sel:DWORD
	v_mov_b32_e32 v46, 0
	s_andn2_b32 s16, s16, exec_lo
	s_and_b32 s73, s73, exec_lo
	s_or_b32 s16, s16, s73
	s_or_b32 exec_lo, exec_lo, s23
	s_and_saveexec_b32 s23, s16
	s_cbranch_execnz .LBB6_14232
	s_branch .LBB6_14233
.LBB6_15266:                            ;   in Loop: Header=BB6_14082 Depth=3
	s_or_saveexec_b32 s23, s23
	v_mov_b32_e32 v86, 0x7f800001
	s_xor_b32 exec_lo, exec_lo, s23
	s_cbranch_execz .LBB6_14237
.LBB6_15267:                            ;   in Loop: Header=BB6_14082 Depth=3
	v_cmp_ne_u16_sdwa s73, v35, v2 src0_sel:BYTE_0 src1_sel:DWORD
	v_mov_b32_e32 v86, 0
	s_andn2_b32 s16, s16, exec_lo
	s_and_b32 s73, s73, exec_lo
	s_or_b32 s16, s16, s73
	s_or_b32 exec_lo, exec_lo, s23
	s_and_saveexec_b32 s23, s16
	s_cbranch_execnz .LBB6_14238
	s_branch .LBB6_14239
.LBB6_15268:                            ;   in Loop: Header=BB6_14082 Depth=3
	s_or_saveexec_b32 s23, s23
	v_mov_b32_e32 v46, 0x7f800001
	s_xor_b32 exec_lo, exec_lo, s23
	s_cbranch_execz .LBB6_14245
.LBB6_15269:                            ;   in Loop: Header=BB6_14082 Depth=3
	v_cmp_ne_u16_sdwa s73, v88, v2 src0_sel:BYTE_0 src1_sel:DWORD
	v_mov_b32_e32 v46, 0
	s_andn2_b32 s16, s16, exec_lo
	s_and_b32 s73, s73, exec_lo
	s_or_b32 s16, s16, s73
	s_or_b32 exec_lo, exec_lo, s23
	s_and_saveexec_b32 s23, s16
	s_cbranch_execnz .LBB6_14246
	s_branch .LBB6_14247
.LBB6_15270:                            ;   in Loop: Header=BB6_14082 Depth=3
	s_or_saveexec_b32 s23, s23
	v_mov_b32_e32 v86, 0x7f800001
	s_xor_b32 exec_lo, exec_lo, s23
	s_cbranch_execz .LBB6_14251
.LBB6_15271:                            ;   in Loop: Header=BB6_14082 Depth=3
	v_cmp_ne_u16_sdwa s73, v35, v2 src0_sel:BYTE_0 src1_sel:DWORD
	v_mov_b32_e32 v86, 0
	s_andn2_b32 s16, s16, exec_lo
	s_and_b32 s73, s73, exec_lo
	s_or_b32 s16, s16, s73
	s_or_b32 exec_lo, exec_lo, s23
	s_and_saveexec_b32 s23, s16
	s_cbranch_execnz .LBB6_14252
	s_branch .LBB6_14253
.LBB6_15272:                            ;   in Loop: Header=BB6_14082 Depth=3
	s_or_saveexec_b32 s23, s23
	v_mov_b32_e32 v46, 0x7f800001
	s_xor_b32 exec_lo, exec_lo, s23
	s_cbranch_execz .LBB6_14267
.LBB6_15273:                            ;   in Loop: Header=BB6_14082 Depth=3
	v_cmp_ne_u16_sdwa s73, v120, v2 src0_sel:BYTE_0 src1_sel:DWORD
	v_mov_b32_e32 v46, 0
	s_andn2_b32 s16, s16, exec_lo
	s_and_b32 s73, s73, exec_lo
	s_or_b32 s16, s16, s73
	s_or_b32 exec_lo, exec_lo, s23
	s_and_saveexec_b32 s23, s16
	s_cbranch_execnz .LBB6_14268
	s_branch .LBB6_14269
.LBB6_15274:                            ;   in Loop: Header=BB6_14082 Depth=3
	s_or_saveexec_b32 s23, s23
	v_mov_b32_e32 v86, 0x7f800001
	s_xor_b32 exec_lo, exec_lo, s23
	s_cbranch_execz .LBB6_14273
.LBB6_15275:                            ;   in Loop: Header=BB6_14082 Depth=3
	v_cmp_ne_u16_sdwa s73, v38, v2 src0_sel:BYTE_0 src1_sel:DWORD
	v_mov_b32_e32 v86, 0
	s_andn2_b32 s16, s16, exec_lo
	s_and_b32 s73, s73, exec_lo
	s_or_b32 s16, s16, s73
	s_or_b32 exec_lo, exec_lo, s23
	s_and_saveexec_b32 s23, s16
	s_cbranch_execnz .LBB6_14274
	s_branch .LBB6_14275
.LBB6_15276:                            ;   in Loop: Header=BB6_14082 Depth=3
	s_or_saveexec_b32 s23, s23
	v_mov_b32_e32 v46, 0x7f800001
	s_xor_b32 exec_lo, exec_lo, s23
	s_cbranch_execz .LBB6_14281
.LBB6_15277:                            ;   in Loop: Header=BB6_14082 Depth=3
	v_cmp_ne_u16_sdwa s73, v120, v2 src0_sel:BYTE_0 src1_sel:DWORD
	v_mov_b32_e32 v46, 0
	s_andn2_b32 s16, s16, exec_lo
	s_and_b32 s73, s73, exec_lo
	s_or_b32 s16, s16, s73
	s_or_b32 exec_lo, exec_lo, s23
	s_and_saveexec_b32 s23, s16
	s_cbranch_execnz .LBB6_14282
	s_branch .LBB6_14283
.LBB6_15278:                            ;   in Loop: Header=BB6_14082 Depth=3
	s_or_saveexec_b32 s23, s23
	v_mov_b32_e32 v86, 0x7f800001
	s_xor_b32 exec_lo, exec_lo, s23
	s_cbranch_execz .LBB6_14287
.LBB6_15279:                            ;   in Loop: Header=BB6_14082 Depth=3
	v_cmp_ne_u16_sdwa s73, v38, v2 src0_sel:BYTE_0 src1_sel:DWORD
	v_mov_b32_e32 v86, 0
	s_andn2_b32 s16, s16, exec_lo
	s_and_b32 s73, s73, exec_lo
	s_or_b32 s16, s16, s73
	s_or_b32 exec_lo, exec_lo, s23
	s_and_saveexec_b32 s23, s16
	s_cbranch_execnz .LBB6_14288
	s_branch .LBB6_14289
.LBB6_15280:                            ;   in Loop: Header=BB6_14082 Depth=3
	s_or_saveexec_b32 s23, s23
	v_mov_b32_e32 v46, 0x7f800001
	s_xor_b32 exec_lo, exec_lo, s23
	s_cbranch_execz .LBB6_14303
.LBB6_15281:                            ;   in Loop: Header=BB6_14082 Depth=3
	v_cmp_ne_u16_sdwa s73, v111, v2 src0_sel:BYTE_0 src1_sel:DWORD
	v_mov_b32_e32 v46, 0
	s_andn2_b32 s16, s16, exec_lo
	s_and_b32 s73, s73, exec_lo
	s_or_b32 s16, s16, s73
	s_or_b32 exec_lo, exec_lo, s23
	s_and_saveexec_b32 s23, s16
	s_cbranch_execnz .LBB6_14304
	s_branch .LBB6_14305
.LBB6_15282:                            ;   in Loop: Header=BB6_14082 Depth=3
	s_or_saveexec_b32 s23, s23
	v_mov_b32_e32 v86, 0x7f800001
	s_xor_b32 exec_lo, exec_lo, s23
	s_cbranch_execz .LBB6_14309
.LBB6_15283:                            ;   in Loop: Header=BB6_14082 Depth=3
	v_cmp_ne_u16_sdwa s73, v49, v2 src0_sel:BYTE_0 src1_sel:DWORD
	v_mov_b32_e32 v86, 0
	s_andn2_b32 s16, s16, exec_lo
	s_and_b32 s73, s73, exec_lo
	s_or_b32 s16, s16, s73
	s_or_b32 exec_lo, exec_lo, s23
	s_and_saveexec_b32 s23, s16
	s_cbranch_execnz .LBB6_14310
	s_branch .LBB6_14311
.LBB6_15284:                            ;   in Loop: Header=BB6_14082 Depth=3
	s_or_saveexec_b32 s23, s23
	v_mov_b32_e32 v46, 0x7f800001
	s_xor_b32 exec_lo, exec_lo, s23
	s_cbranch_execz .LBB6_14317
.LBB6_15285:                            ;   in Loop: Header=BB6_14082 Depth=3
	v_cmp_ne_u16_sdwa s73, v111, v2 src0_sel:BYTE_0 src1_sel:DWORD
	v_mov_b32_e32 v46, 0
	s_andn2_b32 s16, s16, exec_lo
	s_and_b32 s73, s73, exec_lo
	s_or_b32 s16, s16, s73
	s_or_b32 exec_lo, exec_lo, s23
	s_and_saveexec_b32 s23, s16
	s_cbranch_execnz .LBB6_14318
	s_branch .LBB6_14319
.LBB6_15286:                            ;   in Loop: Header=BB6_14082 Depth=3
	s_or_saveexec_b32 s23, s23
	v_mov_b32_e32 v86, 0x7f800001
	s_xor_b32 exec_lo, exec_lo, s23
	s_cbranch_execz .LBB6_14323
.LBB6_15287:                            ;   in Loop: Header=BB6_14082 Depth=3
	v_cmp_ne_u16_sdwa s73, v49, v2 src0_sel:BYTE_0 src1_sel:DWORD
	v_mov_b32_e32 v86, 0
	s_andn2_b32 s16, s16, exec_lo
	s_and_b32 s73, s73, exec_lo
	s_or_b32 s16, s16, s73
	s_or_b32 exec_lo, exec_lo, s23
	s_and_saveexec_b32 s23, s16
	s_cbranch_execnz .LBB6_14324
	s_branch .LBB6_14325
.LBB6_15288:                            ;   in Loop: Header=BB6_14082 Depth=3
	s_or_saveexec_b32 s23, s23
	v_mov_b32_e32 v46, 0x7f800001
	s_xor_b32 exec_lo, exec_lo, s23
	s_cbranch_execz .LBB6_14339
.LBB6_15289:                            ;   in Loop: Header=BB6_14082 Depth=3
	v_cmp_ne_u16_sdwa s73, v99, v2 src0_sel:BYTE_0 src1_sel:DWORD
	v_mov_b32_e32 v46, 0
	s_andn2_b32 s16, s16, exec_lo
	s_and_b32 s73, s73, exec_lo
	s_or_b32 s16, s16, s73
	s_or_b32 exec_lo, exec_lo, s23
	s_and_saveexec_b32 s23, s16
	s_cbranch_execnz .LBB6_14340
	s_branch .LBB6_14341
.LBB6_15290:                            ;   in Loop: Header=BB6_14082 Depth=3
	s_or_saveexec_b32 s23, s23
	v_mov_b32_e32 v86, 0x7f800001
	s_xor_b32 exec_lo, exec_lo, s23
	s_cbranch_execz .LBB6_14345
.LBB6_15291:                            ;   in Loop: Header=BB6_14082 Depth=3
	v_cmp_ne_u16_sdwa s73, v51, v2 src0_sel:BYTE_0 src1_sel:DWORD
	v_mov_b32_e32 v86, 0
	s_andn2_b32 s16, s16, exec_lo
	s_and_b32 s73, s73, exec_lo
	s_or_b32 s16, s16, s73
	s_or_b32 exec_lo, exec_lo, s23
	s_and_saveexec_b32 s23, s16
	s_cbranch_execnz .LBB6_14346
	s_branch .LBB6_14347
.LBB6_15292:                            ;   in Loop: Header=BB6_14082 Depth=3
	s_or_saveexec_b32 s23, s23
	v_mov_b32_e32 v46, 0x7f800001
	s_xor_b32 exec_lo, exec_lo, s23
	s_cbranch_execz .LBB6_14353
.LBB6_15293:                            ;   in Loop: Header=BB6_14082 Depth=3
	v_cmp_ne_u16_sdwa s73, v99, v2 src0_sel:BYTE_0 src1_sel:DWORD
	v_mov_b32_e32 v46, 0
	s_andn2_b32 s16, s16, exec_lo
	s_and_b32 s73, s73, exec_lo
	s_or_b32 s16, s16, s73
	s_or_b32 exec_lo, exec_lo, s23
	s_and_saveexec_b32 s23, s16
	s_cbranch_execnz .LBB6_14354
	s_branch .LBB6_14355
.LBB6_15294:                            ;   in Loop: Header=BB6_14082 Depth=3
	s_or_saveexec_b32 s23, s23
	v_mov_b32_e32 v86, 0x7f800001
	s_xor_b32 exec_lo, exec_lo, s23
	s_cbranch_execz .LBB6_14359
.LBB6_15295:                            ;   in Loop: Header=BB6_14082 Depth=3
	v_cmp_ne_u16_sdwa s73, v51, v2 src0_sel:BYTE_0 src1_sel:DWORD
	v_mov_b32_e32 v86, 0
	s_andn2_b32 s16, s16, exec_lo
	s_and_b32 s73, s73, exec_lo
	s_or_b32 s16, s16, s73
	s_or_b32 exec_lo, exec_lo, s23
	s_and_saveexec_b32 s23, s16
	s_cbranch_execnz .LBB6_14360
	s_branch .LBB6_14361
.LBB6_15296:                            ;   in Loop: Header=BB6_14082 Depth=3
	s_or_saveexec_b32 s23, s23
	v_mov_b32_e32 v99, 0x7f800001
	s_xor_b32 exec_lo, exec_lo, s23
	s_cbranch_execz .LBB6_14375
.LBB6_15297:                            ;   in Loop: Header=BB6_14082 Depth=3
	v_cmp_ne_u16_sdwa s73, v1, v2 src0_sel:BYTE_0 src1_sel:DWORD
	v_mov_b32_e32 v99, 0
	s_andn2_b32 s16, s16, exec_lo
	s_and_b32 s73, s73, exec_lo
	s_or_b32 s16, s16, s73
	s_or_b32 exec_lo, exec_lo, s23
	s_and_saveexec_b32 s23, s16
	s_cbranch_execnz .LBB6_14376
	s_branch .LBB6_14377
.LBB6_15298:                            ;   in Loop: Header=BB6_14082 Depth=3
	s_or_saveexec_b32 s23, s23
	v_mov_b32_e32 v86, 0x7f800001
	s_xor_b32 exec_lo, exec_lo, s23
	s_cbranch_execz .LBB6_14381
.LBB6_15299:                            ;   in Loop: Header=BB6_14082 Depth=3
	v_cmp_ne_u16_sdwa s73, v98, v2 src0_sel:BYTE_0 src1_sel:DWORD
	v_mov_b32_e32 v86, 0
	s_andn2_b32 s16, s16, exec_lo
	s_and_b32 s73, s73, exec_lo
	s_or_b32 s16, s16, s73
	s_or_b32 exec_lo, exec_lo, s23
	s_and_saveexec_b32 s23, s16
	s_cbranch_execnz .LBB6_14382
	s_branch .LBB6_14383
.LBB6_15300:                            ;   in Loop: Header=BB6_14082 Depth=3
	s_or_saveexec_b32 s23, s23
	v_mov_b32_e32 v99, 0x7f800001
	s_xor_b32 exec_lo, exec_lo, s23
	s_cbranch_execz .LBB6_14389
.LBB6_15301:                            ;   in Loop: Header=BB6_14082 Depth=3
	v_cmp_ne_u16_sdwa s73, v1, v2 src0_sel:BYTE_0 src1_sel:DWORD
	v_mov_b32_e32 v99, 0
	s_andn2_b32 s16, s16, exec_lo
	s_and_b32 s73, s73, exec_lo
	s_or_b32 s16, s16, s73
	s_or_b32 exec_lo, exec_lo, s23
	s_and_saveexec_b32 s23, s16
	s_cbranch_execnz .LBB6_14390
	s_branch .LBB6_14391
.LBB6_15302:                            ;   in Loop: Header=BB6_14082 Depth=3
	s_or_saveexec_b32 s23, s23
	v_mov_b32_e32 v1, 0x7f800001
	s_xor_b32 exec_lo, exec_lo, s23
	s_cbranch_execz .LBB6_14395
.LBB6_15303:                            ;   in Loop: Header=BB6_14082 Depth=3
	v_cmp_ne_u16_sdwa s73, v98, v2 src0_sel:BYTE_0 src1_sel:DWORD
	v_mov_b32_e32 v1, 0
	s_andn2_b32 s16, s16, exec_lo
	s_and_b32 s73, s73, exec_lo
	s_or_b32 s16, s16, s73
	s_or_b32 exec_lo, exec_lo, s23
	s_and_saveexec_b32 s23, s16
	s_cbranch_execnz .LBB6_14396
	s_branch .LBB6_14397
.LBB6_15304:                            ;   in Loop: Header=BB6_14082 Depth=3
	s_or_saveexec_b32 s23, s23
	s_waitcnt vmcnt(23) lgkmcnt(23)
	v_mov_b32_e32 v98, 0x7f800001
	s_xor_b32 exec_lo, exec_lo, s23
	s_cbranch_execz .LBB6_14411
.LBB6_15305:                            ;   in Loop: Header=BB6_14082 Depth=3
	v_cmp_ne_u16_sdwa s73, v82, v2 src0_sel:BYTE_0 src1_sel:DWORD
	v_mov_b32_e32 v98, 0
	s_andn2_b32 s16, s16, exec_lo
	s_and_b32 s73, s73, exec_lo
	s_or_b32 s16, s16, s73
	s_or_b32 exec_lo, exec_lo, s23
	s_and_saveexec_b32 s23, s16
	s_cbranch_execnz .LBB6_14412
	s_branch .LBB6_14413
.LBB6_15306:                            ;   in Loop: Header=BB6_14082 Depth=3
	s_or_saveexec_b32 s23, s23
	v_mov_b32_e32 v86, 0x7f800001
	s_xor_b32 exec_lo, exec_lo, s23
	s_cbranch_execz .LBB6_14417
.LBB6_15307:                            ;   in Loop: Header=BB6_14082 Depth=3
	v_cmp_ne_u16_sdwa s73, v110, v2 src0_sel:BYTE_0 src1_sel:DWORD
	v_mov_b32_e32 v86, 0
	s_andn2_b32 s16, s16, exec_lo
	s_and_b32 s73, s73, exec_lo
	s_or_b32 s16, s16, s73
	s_or_b32 exec_lo, exec_lo, s23
	s_and_saveexec_b32 s23, s16
	s_cbranch_execnz .LBB6_14418
	s_branch .LBB6_14419
.LBB6_15308:                            ;   in Loop: Header=BB6_14082 Depth=3
	s_or_saveexec_b32 s23, s23
	s_waitcnt vmcnt(23) lgkmcnt(23)
	v_mov_b32_e32 v98, 0x7f800001
	s_xor_b32 exec_lo, exec_lo, s23
	s_cbranch_execz .LBB6_14425
.LBB6_15309:                            ;   in Loop: Header=BB6_14082 Depth=3
	v_cmp_ne_u16_sdwa s73, v82, v2 src0_sel:BYTE_0 src1_sel:DWORD
	v_mov_b32_e32 v98, 0
	s_andn2_b32 s16, s16, exec_lo
	s_and_b32 s73, s73, exec_lo
	s_or_b32 s16, s16, s73
	s_or_b32 exec_lo, exec_lo, s23
	s_and_saveexec_b32 s23, s16
	s_cbranch_execnz .LBB6_14426
	s_branch .LBB6_14427
.LBB6_15310:                            ;   in Loop: Header=BB6_14082 Depth=3
	s_or_saveexec_b32 s23, s23
	v_mov_b32_e32 v82, 0x7f800001
	s_xor_b32 exec_lo, exec_lo, s23
	s_cbranch_execz .LBB6_14431
.LBB6_15311:                            ;   in Loop: Header=BB6_14082 Depth=3
	v_cmp_ne_u16_sdwa s73, v110, v2 src0_sel:BYTE_0 src1_sel:DWORD
	v_mov_b32_e32 v82, 0
	s_andn2_b32 s16, s16, exec_lo
	s_and_b32 s73, s73, exec_lo
	s_or_b32 s16, s16, s73
	s_or_b32 exec_lo, exec_lo, s23
	s_and_saveexec_b32 s23, s16
	s_cbranch_execnz .LBB6_14432
	s_branch .LBB6_14433
.LBB6_15312:                            ;   in Loop: Header=BB6_14082 Depth=3
	s_or_saveexec_b32 s23, s23
	v_mov_b32_e32 v98, 0x7f800001
	s_xor_b32 exec_lo, exec_lo, s23
	s_cbranch_execz .LBB6_14447
.LBB6_15313:                            ;   in Loop: Header=BB6_14082 Depth=3
	v_cmp_ne_u16_sdwa s73, v85, v2 src0_sel:BYTE_0 src1_sel:DWORD
	v_mov_b32_e32 v98, 0
	s_andn2_b32 s16, s16, exec_lo
	s_and_b32 s73, s73, exec_lo
	s_or_b32 s16, s16, s73
	s_or_b32 exec_lo, exec_lo, s23
	s_and_saveexec_b32 s23, s16
	s_cbranch_execnz .LBB6_14448
	s_branch .LBB6_14449
.LBB6_15314:                            ;   in Loop: Header=BB6_14082 Depth=3
	s_or_saveexec_b32 s23, s23
	v_mov_b32_e32 v86, 0x7f800001
	s_xor_b32 exec_lo, exec_lo, s23
	s_cbranch_execz .LBB6_14453
.LBB6_15315:                            ;   in Loop: Header=BB6_14082 Depth=3
	v_cmp_ne_u16_sdwa s73, v109, v2 src0_sel:BYTE_0 src1_sel:DWORD
	v_mov_b32_e32 v86, 0
	s_andn2_b32 s16, s16, exec_lo
	s_and_b32 s73, s73, exec_lo
	s_or_b32 s16, s16, s73
	s_or_b32 exec_lo, exec_lo, s23
	s_and_saveexec_b32 s23, s16
	s_cbranch_execnz .LBB6_14454
	s_branch .LBB6_14455
.LBB6_15316:                            ;   in Loop: Header=BB6_14082 Depth=3
	s_or_saveexec_b32 s23, s23
	v_mov_b32_e32 v98, 0x7f800001
	s_xor_b32 exec_lo, exec_lo, s23
	s_cbranch_execz .LBB6_14461
.LBB6_15317:                            ;   in Loop: Header=BB6_14082 Depth=3
	v_cmp_ne_u16_sdwa s73, v85, v2 src0_sel:BYTE_0 src1_sel:DWORD
	v_mov_b32_e32 v98, 0
	s_andn2_b32 s16, s16, exec_lo
	s_and_b32 s73, s73, exec_lo
	s_or_b32 s16, s16, s73
	s_or_b32 exec_lo, exec_lo, s23
	s_and_saveexec_b32 s23, s16
	s_cbranch_execnz .LBB6_14462
	s_branch .LBB6_14463
.LBB6_15318:                            ;   in Loop: Header=BB6_14082 Depth=3
	s_or_saveexec_b32 s23, s23
	v_mov_b32_e32 v85, 0x7f800001
	s_xor_b32 exec_lo, exec_lo, s23
	s_cbranch_execz .LBB6_14467
.LBB6_15319:                            ;   in Loop: Header=BB6_14082 Depth=3
	v_cmp_ne_u16_sdwa s73, v109, v2 src0_sel:BYTE_0 src1_sel:DWORD
	v_mov_b32_e32 v85, 0
	s_andn2_b32 s16, s16, exec_lo
	s_and_b32 s73, s73, exec_lo
	s_or_b32 s16, s16, s73
	s_or_b32 exec_lo, exec_lo, s23
	s_and_saveexec_b32 s23, s16
	s_cbranch_execnz .LBB6_14468
	s_branch .LBB6_14469
.LBB6_15320:                            ;   in Loop: Header=BB6_14082 Depth=3
	s_or_saveexec_b32 s23, s23
	v_mov_b32_e32 v98, 0x7f800001
	s_xor_b32 exec_lo, exec_lo, s23
	s_cbranch_execz .LBB6_14483
.LBB6_15321:                            ;   in Loop: Header=BB6_14082 Depth=3
	v_cmp_ne_u16_sdwa s73, v112, v2 src0_sel:BYTE_0 src1_sel:DWORD
	v_mov_b32_e32 v98, 0
	s_andn2_b32 s16, s16, exec_lo
	s_and_b32 s73, s73, exec_lo
	s_or_b32 s16, s16, s73
	s_or_b32 exec_lo, exec_lo, s23
	s_and_saveexec_b32 s23, s16
	s_cbranch_execnz .LBB6_14484
	s_branch .LBB6_14485
.LBB6_15322:                            ;   in Loop: Header=BB6_14082 Depth=3
	s_or_saveexec_b32 s23, s23
	v_mov_b32_e32 v86, 0x7f800001
	s_xor_b32 exec_lo, exec_lo, s23
	s_cbranch_execz .LBB6_14489
.LBB6_15323:                            ;   in Loop: Header=BB6_14082 Depth=3
	v_cmp_ne_u16_sdwa s73, v108, v2 src0_sel:BYTE_0 src1_sel:DWORD
	v_mov_b32_e32 v86, 0
	s_andn2_b32 s16, s16, exec_lo
	s_and_b32 s73, s73, exec_lo
	s_or_b32 s16, s16, s73
	s_or_b32 exec_lo, exec_lo, s23
	s_and_saveexec_b32 s23, s16
	s_cbranch_execnz .LBB6_14490
	s_branch .LBB6_14491
.LBB6_15324:                            ;   in Loop: Header=BB6_14082 Depth=3
	s_or_saveexec_b32 s23, s23
	v_mov_b32_e32 v98, 0x7f800001
	s_xor_b32 exec_lo, exec_lo, s23
	s_cbranch_execz .LBB6_14497
.LBB6_15325:                            ;   in Loop: Header=BB6_14082 Depth=3
	v_cmp_ne_u16_sdwa s73, v112, v2 src0_sel:BYTE_0 src1_sel:DWORD
	v_mov_b32_e32 v98, 0
	s_andn2_b32 s16, s16, exec_lo
	s_and_b32 s73, s73, exec_lo
	s_or_b32 s16, s16, s73
	s_or_b32 exec_lo, exec_lo, s23
	s_and_saveexec_b32 s23, s16
	s_cbranch_execnz .LBB6_14498
	s_branch .LBB6_14499
.LBB6_15326:                            ;   in Loop: Header=BB6_14082 Depth=3
	s_or_saveexec_b32 s23, s23
	v_mov_b32_e32 v86, 0x7f800001
	s_xor_b32 exec_lo, exec_lo, s23
	s_cbranch_execz .LBB6_14503
.LBB6_15327:                            ;   in Loop: Header=BB6_14082 Depth=3
	v_cmp_ne_u16_sdwa s73, v108, v2 src0_sel:BYTE_0 src1_sel:DWORD
	v_mov_b32_e32 v86, 0
	s_andn2_b32 s16, s16, exec_lo
	s_and_b32 s73, s73, exec_lo
	s_or_b32 s16, s16, s73
	s_or_b32 exec_lo, exec_lo, s23
	s_and_saveexec_b32 s23, s16
	s_cbranch_execnz .LBB6_14504
	s_branch .LBB6_14505
.LBB6_15328:                            ;   in Loop: Header=BB6_14082 Depth=3
	s_or_saveexec_b32 s23, s23
	v_mov_b32_e32 v98, 0x7f800001
	s_xor_b32 exec_lo, exec_lo, s23
	s_cbranch_execz .LBB6_14519
.LBB6_15329:                            ;   in Loop: Header=BB6_14082 Depth=3
	v_cmp_ne_u16_sdwa s73, v115, v2 src0_sel:BYTE_0 src1_sel:DWORD
	v_mov_b32_e32 v98, 0
	s_andn2_b32 s16, s16, exec_lo
	s_and_b32 s73, s73, exec_lo
	s_or_b32 s16, s16, s73
	s_or_b32 exec_lo, exec_lo, s23
	s_and_saveexec_b32 s23, s16
	s_cbranch_execnz .LBB6_14520
	s_branch .LBB6_14521
.LBB6_15330:                            ;   in Loop: Header=BB6_14082 Depth=3
	s_or_saveexec_b32 s23, s23
	v_mov_b32_e32 v86, 0x7f800001
	s_xor_b32 exec_lo, exec_lo, s23
	s_cbranch_execz .LBB6_14525
.LBB6_15331:                            ;   in Loop: Header=BB6_14082 Depth=3
	v_cmp_ne_u16_sdwa s73, v107, v2 src0_sel:BYTE_0 src1_sel:DWORD
	v_mov_b32_e32 v86, 0
	s_andn2_b32 s16, s16, exec_lo
	s_and_b32 s73, s73, exec_lo
	s_or_b32 s16, s16, s73
	s_or_b32 exec_lo, exec_lo, s23
	s_and_saveexec_b32 s23, s16
	s_cbranch_execnz .LBB6_14526
	s_branch .LBB6_14527
.LBB6_15332:                            ;   in Loop: Header=BB6_14082 Depth=3
	s_or_saveexec_b32 s23, s23
	v_mov_b32_e32 v98, 0x7f800001
	s_xor_b32 exec_lo, exec_lo, s23
	s_cbranch_execz .LBB6_14533
.LBB6_15333:                            ;   in Loop: Header=BB6_14082 Depth=3
	v_cmp_ne_u16_sdwa s73, v115, v2 src0_sel:BYTE_0 src1_sel:DWORD
	v_mov_b32_e32 v98, 0
	s_andn2_b32 s16, s16, exec_lo
	s_and_b32 s73, s73, exec_lo
	s_or_b32 s16, s16, s73
	s_or_b32 exec_lo, exec_lo, s23
	s_and_saveexec_b32 s23, s16
	s_cbranch_execnz .LBB6_14534
	s_branch .LBB6_14535
.LBB6_15334:                            ;   in Loop: Header=BB6_14082 Depth=3
	s_or_saveexec_b32 s23, s23
	v_mov_b32_e32 v86, 0x7f800001
	s_xor_b32 exec_lo, exec_lo, s23
	s_cbranch_execz .LBB6_14539
.LBB6_15335:                            ;   in Loop: Header=BB6_14082 Depth=3
	v_cmp_ne_u16_sdwa s73, v107, v2 src0_sel:BYTE_0 src1_sel:DWORD
	v_mov_b32_e32 v86, 0
	s_andn2_b32 s16, s16, exec_lo
	s_and_b32 s73, s73, exec_lo
	s_or_b32 s16, s16, s73
	s_or_b32 exec_lo, exec_lo, s23
	s_and_saveexec_b32 s23, s16
	s_cbranch_execnz .LBB6_14540
	s_branch .LBB6_14541
.LBB6_15336:                            ;   in Loop: Header=BB6_14082 Depth=3
	s_or_saveexec_b32 s23, s23
	v_mov_b32_e32 v98, 0x7f800001
	s_xor_b32 exec_lo, exec_lo, s23
	s_cbranch_execz .LBB6_14555
.LBB6_15337:                            ;   in Loop: Header=BB6_14082 Depth=3
	v_cmp_ne_u16_sdwa s73, v118, v2 src0_sel:BYTE_0 src1_sel:DWORD
	v_mov_b32_e32 v98, 0
	s_andn2_b32 s16, s16, exec_lo
	s_and_b32 s73, s73, exec_lo
	s_or_b32 s16, s16, s73
	s_or_b32 exec_lo, exec_lo, s23
	s_and_saveexec_b32 s23, s16
	s_cbranch_execnz .LBB6_14556
	s_branch .LBB6_14557
.LBB6_15338:                            ;   in Loop: Header=BB6_14082 Depth=3
	s_or_saveexec_b32 s23, s23
	v_mov_b32_e32 v86, 0x7f800001
	s_xor_b32 exec_lo, exec_lo, s23
	s_cbranch_execz .LBB6_14561
.LBB6_15339:                            ;   in Loop: Header=BB6_14082 Depth=3
	v_cmp_ne_u16_sdwa s73, v57, v2 src0_sel:BYTE_0 src1_sel:DWORD
	v_mov_b32_e32 v86, 0
	s_andn2_b32 s16, s16, exec_lo
	s_and_b32 s73, s73, exec_lo
	s_or_b32 s16, s16, s73
	s_or_b32 exec_lo, exec_lo, s23
	s_and_saveexec_b32 s23, s16
	s_cbranch_execnz .LBB6_14562
	s_branch .LBB6_14563
.LBB6_15340:                            ;   in Loop: Header=BB6_14082 Depth=3
	s_or_saveexec_b32 s23, s23
	v_mov_b32_e32 v98, 0x7f800001
	s_xor_b32 exec_lo, exec_lo, s23
	s_cbranch_execz .LBB6_14569
.LBB6_15341:                            ;   in Loop: Header=BB6_14082 Depth=3
	v_cmp_ne_u16_sdwa s73, v118, v2 src0_sel:BYTE_0 src1_sel:DWORD
	v_mov_b32_e32 v98, 0
	s_andn2_b32 s16, s16, exec_lo
	s_and_b32 s73, s73, exec_lo
	s_or_b32 s16, s16, s73
	s_or_b32 exec_lo, exec_lo, s23
	s_and_saveexec_b32 s23, s16
	s_cbranch_execnz .LBB6_14570
	s_branch .LBB6_14571
.LBB6_15342:                            ;   in Loop: Header=BB6_14082 Depth=3
	s_or_saveexec_b32 s23, s23
	v_mov_b32_e32 v86, 0x7f800001
	s_xor_b32 exec_lo, exec_lo, s23
	s_cbranch_execz .LBB6_14575
.LBB6_15343:                            ;   in Loop: Header=BB6_14082 Depth=3
	v_cmp_ne_u16_sdwa s73, v57, v2 src0_sel:BYTE_0 src1_sel:DWORD
	v_mov_b32_e32 v86, 0
	s_andn2_b32 s16, s16, exec_lo
	s_and_b32 s73, s73, exec_lo
	s_or_b32 s16, s16, s73
	s_or_b32 exec_lo, exec_lo, s23
	s_and_saveexec_b32 s23, s16
	s_cbranch_execnz .LBB6_14576
	s_branch .LBB6_14577
.LBB6_15344:                            ;   in Loop: Header=BB6_14082 Depth=3
	s_or_saveexec_b32 s23, s23
	v_mov_b32_e32 v98, 0x7f800001
	s_xor_b32 exec_lo, exec_lo, s23
	s_cbranch_execz .LBB6_14591
.LBB6_15345:                            ;   in Loop: Header=BB6_14082 Depth=3
	v_cmp_ne_u16_sdwa s73, v41, v2 src0_sel:BYTE_0 src1_sel:DWORD
	v_mov_b32_e32 v98, 0
	s_andn2_b32 s16, s16, exec_lo
	s_and_b32 s73, s73, exec_lo
	s_or_b32 s16, s16, s73
	s_or_b32 exec_lo, exec_lo, s23
	s_and_saveexec_b32 s23, s16
	s_cbranch_execnz .LBB6_14592
	s_branch .LBB6_14593
.LBB6_15346:                            ;   in Loop: Header=BB6_14082 Depth=3
	s_or_saveexec_b32 s23, s23
	v_mov_b32_e32 v86, 0x7f800001
	s_xor_b32 exec_lo, exec_lo, s23
	s_cbranch_execz .LBB6_14597
.LBB6_15347:                            ;   in Loop: Header=BB6_14082 Depth=3
	v_cmp_ne_u16_sdwa s73, v56, v2 src0_sel:BYTE_0 src1_sel:DWORD
	v_mov_b32_e32 v86, 0
	s_andn2_b32 s16, s16, exec_lo
	s_and_b32 s73, s73, exec_lo
	s_or_b32 s16, s16, s73
	s_or_b32 exec_lo, exec_lo, s23
	s_and_saveexec_b32 s23, s16
	s_cbranch_execnz .LBB6_14598
	s_branch .LBB6_14599
.LBB6_15348:                            ;   in Loop: Header=BB6_14082 Depth=3
	s_or_saveexec_b32 s23, s23
	v_mov_b32_e32 v98, 0x7f800001
	s_xor_b32 exec_lo, exec_lo, s23
	s_cbranch_execz .LBB6_14605
.LBB6_15349:                            ;   in Loop: Header=BB6_14082 Depth=3
	v_cmp_ne_u16_sdwa s73, v41, v2 src0_sel:BYTE_0 src1_sel:DWORD
	v_mov_b32_e32 v98, 0
	s_andn2_b32 s16, s16, exec_lo
	s_and_b32 s73, s73, exec_lo
	s_or_b32 s16, s16, s73
	s_or_b32 exec_lo, exec_lo, s23
	s_and_saveexec_b32 s23, s16
	s_cbranch_execnz .LBB6_14606
	s_branch .LBB6_14607
.LBB6_15350:                            ;   in Loop: Header=BB6_14082 Depth=3
	s_or_saveexec_b32 s23, s23
	v_mov_b32_e32 v86, 0x7f800001
	s_xor_b32 exec_lo, exec_lo, s23
	s_cbranch_execz .LBB6_14611
.LBB6_15351:                            ;   in Loop: Header=BB6_14082 Depth=3
	v_cmp_ne_u16_sdwa s73, v56, v2 src0_sel:BYTE_0 src1_sel:DWORD
	v_mov_b32_e32 v86, 0
	s_andn2_b32 s16, s16, exec_lo
	s_and_b32 s73, s73, exec_lo
	s_or_b32 s16, s16, s73
	s_or_b32 exec_lo, exec_lo, s23
	s_and_saveexec_b32 s23, s16
	s_cbranch_execnz .LBB6_14612
	s_branch .LBB6_14613
.LBB6_15352:                            ;   in Loop: Header=BB6_14082 Depth=3
	s_or_saveexec_b32 s23, s23
	v_mov_b32_e32 v98, 0x7f800001
	s_xor_b32 exec_lo, exec_lo, s23
	s_cbranch_execz .LBB6_14627
.LBB6_15353:                            ;   in Loop: Header=BB6_14082 Depth=3
	v_cmp_ne_u16_sdwa s73, v42, v2 src0_sel:BYTE_0 src1_sel:DWORD
	v_mov_b32_e32 v98, 0
	s_andn2_b32 s16, s16, exec_lo
	s_and_b32 s73, s73, exec_lo
	s_or_b32 s16, s16, s73
	s_or_b32 exec_lo, exec_lo, s23
	s_and_saveexec_b32 s23, s16
	s_cbranch_execnz .LBB6_14628
	s_branch .LBB6_14629
.LBB6_15354:                            ;   in Loop: Header=BB6_14082 Depth=3
	s_or_saveexec_b32 s23, s23
	v_mov_b32_e32 v86, 0x7f800001
	s_xor_b32 exec_lo, exec_lo, s23
	s_cbranch_execz .LBB6_14633
.LBB6_15355:                            ;   in Loop: Header=BB6_14082 Depth=3
	v_cmp_ne_u16_sdwa s73, v43, v2 src0_sel:BYTE_0 src1_sel:DWORD
	v_mov_b32_e32 v86, 0
	s_andn2_b32 s16, s16, exec_lo
	s_and_b32 s73, s73, exec_lo
	s_or_b32 s16, s16, s73
	s_or_b32 exec_lo, exec_lo, s23
	s_and_saveexec_b32 s23, s16
	s_cbranch_execnz .LBB6_14634
	s_branch .LBB6_14635
.LBB6_15356:                            ;   in Loop: Header=BB6_14082 Depth=3
	s_or_saveexec_b32 s23, s23
	v_mov_b32_e32 v98, 0x7f800001
	s_xor_b32 exec_lo, exec_lo, s23
	s_cbranch_execz .LBB6_14641
.LBB6_15357:                            ;   in Loop: Header=BB6_14082 Depth=3
	v_cmp_ne_u16_sdwa s73, v42, v2 src0_sel:BYTE_0 src1_sel:DWORD
	v_mov_b32_e32 v98, 0
	s_andn2_b32 s16, s16, exec_lo
	s_and_b32 s73, s73, exec_lo
	s_or_b32 s16, s16, s73
	s_or_b32 exec_lo, exec_lo, s23
	s_and_saveexec_b32 s23, s16
	s_cbranch_execnz .LBB6_14642
	s_branch .LBB6_14643
.LBB6_15358:                            ;   in Loop: Header=BB6_14082 Depth=3
	s_or_saveexec_b32 s23, s23
	v_mov_b32_e32 v86, 0x7f800001
	s_xor_b32 exec_lo, exec_lo, s23
	s_cbranch_execz .LBB6_14647
.LBB6_15359:                            ;   in Loop: Header=BB6_14082 Depth=3
	v_cmp_ne_u16_sdwa s73, v43, v2 src0_sel:BYTE_0 src1_sel:DWORD
	v_mov_b32_e32 v86, 0
	s_andn2_b32 s16, s16, exec_lo
	s_and_b32 s73, s73, exec_lo
	s_or_b32 s16, s16, s73
	s_or_b32 exec_lo, exec_lo, s23
	s_and_saveexec_b32 s23, s16
	s_cbranch_execnz .LBB6_14648
	s_branch .LBB6_14649
.LBB6_15360:                            ;   in Loop: Header=BB6_14082 Depth=3
	s_or_saveexec_b32 s23, s23
	v_mov_b32_e32 v98, 0x7f800001
	s_xor_b32 exec_lo, exec_lo, s23
	s_cbranch_execz .LBB6_14663
.LBB6_15361:                            ;   in Loop: Header=BB6_14082 Depth=3
	v_cmp_ne_u16_sdwa s73, v119, v2 src0_sel:BYTE_0 src1_sel:DWORD
	v_mov_b32_e32 v98, 0
	s_andn2_b32 s16, s16, exec_lo
	s_and_b32 s73, s73, exec_lo
	s_or_b32 s16, s16, s73
	s_or_b32 exec_lo, exec_lo, s23
	s_and_saveexec_b32 s23, s16
	s_cbranch_execnz .LBB6_14664
	s_branch .LBB6_14665
.LBB6_15362:                            ;   in Loop: Header=BB6_14082 Depth=3
	s_or_saveexec_b32 s23, s23
	v_mov_b32_e32 v86, 0x7f800001
	s_xor_b32 exec_lo, exec_lo, s23
	s_cbranch_execz .LBB6_14669
.LBB6_15363:                            ;   in Loop: Header=BB6_14082 Depth=3
	v_cmp_ne_u16_sdwa s73, v40, v2 src0_sel:BYTE_0 src1_sel:DWORD
	v_mov_b32_e32 v86, 0
	s_andn2_b32 s16, s16, exec_lo
	s_and_b32 s73, s73, exec_lo
	s_or_b32 s16, s16, s73
	s_or_b32 exec_lo, exec_lo, s23
	s_and_saveexec_b32 s23, s16
	s_cbranch_execnz .LBB6_14670
	s_branch .LBB6_14671
.LBB6_15364:                            ;   in Loop: Header=BB6_14082 Depth=3
	s_or_saveexec_b32 s23, s23
	v_mov_b32_e32 v98, 0x7f800001
	s_xor_b32 exec_lo, exec_lo, s23
	s_cbranch_execz .LBB6_14677
.LBB6_15365:                            ;   in Loop: Header=BB6_14082 Depth=3
	v_cmp_ne_u16_sdwa s73, v119, v2 src0_sel:BYTE_0 src1_sel:DWORD
	v_mov_b32_e32 v98, 0
	s_andn2_b32 s16, s16, exec_lo
	s_and_b32 s73, s73, exec_lo
	s_or_b32 s16, s16, s73
	s_or_b32 exec_lo, exec_lo, s23
	s_and_saveexec_b32 s23, s16
	s_cbranch_execnz .LBB6_14678
	s_branch .LBB6_14679
.LBB6_15366:                            ;   in Loop: Header=BB6_14082 Depth=3
	s_or_saveexec_b32 s23, s23
	v_mov_b32_e32 v86, 0x7f800001
	s_xor_b32 exec_lo, exec_lo, s23
	s_cbranch_execz .LBB6_14683
.LBB6_15367:                            ;   in Loop: Header=BB6_14082 Depth=3
	v_cmp_ne_u16_sdwa s73, v40, v2 src0_sel:BYTE_0 src1_sel:DWORD
	v_mov_b32_e32 v86, 0
	s_andn2_b32 s16, s16, exec_lo
	s_and_b32 s73, s73, exec_lo
	s_or_b32 s16, s16, s73
	s_or_b32 exec_lo, exec_lo, s23
	s_and_saveexec_b32 s23, s16
	s_cbranch_execnz .LBB6_14684
	s_branch .LBB6_14685
.LBB6_15368:                            ;   in Loop: Header=BB6_14082 Depth=3
	s_or_saveexec_b32 s23, s23
	v_mov_b32_e32 v98, 0x7f800001
	s_xor_b32 exec_lo, exec_lo, s23
	s_cbranch_execz .LBB6_14699
.LBB6_15369:                            ;   in Loop: Header=BB6_14082 Depth=3
	v_cmp_ne_u16_sdwa s73, v116, v2 src0_sel:BYTE_0 src1_sel:DWORD
	v_mov_b32_e32 v98, 0
	s_andn2_b32 s16, s16, exec_lo
	s_and_b32 s73, s73, exec_lo
	s_or_b32 s16, s16, s73
	s_or_b32 exec_lo, exec_lo, s23
	s_and_saveexec_b32 s23, s16
	s_cbranch_execnz .LBB6_14700
	s_branch .LBB6_14701
.LBB6_15370:                            ;   in Loop: Header=BB6_14082 Depth=3
	s_or_saveexec_b32 s23, s23
	v_mov_b32_e32 v86, 0x7f800001
	s_xor_b32 exec_lo, exec_lo, s23
	s_cbranch_execz .LBB6_14705
.LBB6_15371:                            ;   in Loop: Header=BB6_14082 Depth=3
	v_cmp_ne_u16_sdwa s73, v117, v2 src0_sel:BYTE_0 src1_sel:DWORD
	v_mov_b32_e32 v86, 0
	s_andn2_b32 s16, s16, exec_lo
	s_and_b32 s73, s73, exec_lo
	s_or_b32 s16, s16, s73
	s_or_b32 exec_lo, exec_lo, s23
	s_and_saveexec_b32 s23, s16
	s_cbranch_execnz .LBB6_14706
	s_branch .LBB6_14707
.LBB6_15372:                            ;   in Loop: Header=BB6_14082 Depth=3
	s_or_saveexec_b32 s23, s23
	v_mov_b32_e32 v98, 0x7f800001
	s_xor_b32 exec_lo, exec_lo, s23
	s_cbranch_execz .LBB6_14713
.LBB6_15373:                            ;   in Loop: Header=BB6_14082 Depth=3
	v_cmp_ne_u16_sdwa s73, v116, v2 src0_sel:BYTE_0 src1_sel:DWORD
	v_mov_b32_e32 v98, 0
	s_andn2_b32 s16, s16, exec_lo
	s_and_b32 s73, s73, exec_lo
	s_or_b32 s16, s16, s73
	s_or_b32 exec_lo, exec_lo, s23
	s_and_saveexec_b32 s23, s16
	s_cbranch_execnz .LBB6_14714
	s_branch .LBB6_14715
.LBB6_15374:                            ;   in Loop: Header=BB6_14082 Depth=3
	s_or_saveexec_b32 s23, s23
	v_mov_b32_e32 v86, 0x7f800001
	s_xor_b32 exec_lo, exec_lo, s23
	s_cbranch_execz .LBB6_14719
.LBB6_15375:                            ;   in Loop: Header=BB6_14082 Depth=3
	v_cmp_ne_u16_sdwa s73, v117, v2 src0_sel:BYTE_0 src1_sel:DWORD
	v_mov_b32_e32 v86, 0
	s_andn2_b32 s16, s16, exec_lo
	s_and_b32 s73, s73, exec_lo
	s_or_b32 s16, s16, s73
	s_or_b32 exec_lo, exec_lo, s23
	s_and_saveexec_b32 s23, s16
	s_cbranch_execnz .LBB6_14720
	s_branch .LBB6_14721
.LBB6_15376:                            ;   in Loop: Header=BB6_14082 Depth=3
	s_or_saveexec_b32 s23, s23
	v_mov_b32_e32 v98, 0x7f800001
	s_xor_b32 exec_lo, exec_lo, s23
	s_cbranch_execz .LBB6_14735
.LBB6_15377:                            ;   in Loop: Header=BB6_14082 Depth=3
	v_cmp_ne_u16_sdwa s73, v113, v2 src0_sel:BYTE_0 src1_sel:DWORD
	v_mov_b32_e32 v98, 0
	s_andn2_b32 s16, s16, exec_lo
	s_and_b32 s73, s73, exec_lo
	s_or_b32 s16, s16, s73
	s_or_b32 exec_lo, exec_lo, s23
	s_and_saveexec_b32 s23, s16
	s_cbranch_execnz .LBB6_14736
	s_branch .LBB6_14737
.LBB6_15378:                            ;   in Loop: Header=BB6_14082 Depth=3
	s_or_saveexec_b32 s23, s23
	v_mov_b32_e32 v86, 0x7f800001
	s_xor_b32 exec_lo, exec_lo, s23
	s_cbranch_execz .LBB6_14741
.LBB6_15379:                            ;   in Loop: Header=BB6_14082 Depth=3
	v_cmp_ne_u16_sdwa s73, v114, v2 src0_sel:BYTE_0 src1_sel:DWORD
	v_mov_b32_e32 v86, 0
	s_andn2_b32 s16, s16, exec_lo
	s_and_b32 s73, s73, exec_lo
	s_or_b32 s16, s16, s73
	s_or_b32 exec_lo, exec_lo, s23
	s_and_saveexec_b32 s23, s16
	s_cbranch_execnz .LBB6_14742
	s_branch .LBB6_14743
.LBB6_15380:                            ;   in Loop: Header=BB6_14082 Depth=3
	s_or_saveexec_b32 s23, s23
	v_mov_b32_e32 v98, 0x7f800001
	s_xor_b32 exec_lo, exec_lo, s23
	s_cbranch_execz .LBB6_14749
.LBB6_15381:                            ;   in Loop: Header=BB6_14082 Depth=3
	v_cmp_ne_u16_sdwa s73, v113, v2 src0_sel:BYTE_0 src1_sel:DWORD
	v_mov_b32_e32 v98, 0
	s_andn2_b32 s16, s16, exec_lo
	s_and_b32 s73, s73, exec_lo
	s_or_b32 s16, s16, s73
	s_or_b32 exec_lo, exec_lo, s23
	s_and_saveexec_b32 s23, s16
	s_cbranch_execnz .LBB6_14750
	s_branch .LBB6_14751
.LBB6_15382:                            ;   in Loop: Header=BB6_14082 Depth=3
	s_or_saveexec_b32 s23, s23
	v_mov_b32_e32 v86, 0x7f800001
	s_xor_b32 exec_lo, exec_lo, s23
	s_cbranch_execz .LBB6_14755
.LBB6_15383:                            ;   in Loop: Header=BB6_14082 Depth=3
	v_cmp_ne_u16_sdwa s73, v114, v2 src0_sel:BYTE_0 src1_sel:DWORD
	v_mov_b32_e32 v86, 0
	s_andn2_b32 s16, s16, exec_lo
	s_and_b32 s73, s73, exec_lo
	s_or_b32 s16, s16, s73
	s_or_b32 exec_lo, exec_lo, s23
	s_and_saveexec_b32 s23, s16
	s_cbranch_execnz .LBB6_14756
	s_branch .LBB6_14757
.LBB6_15384:                            ;   in Loop: Header=BB6_14082 Depth=3
	s_or_saveexec_b32 s23, s23
	v_mov_b32_e32 v98, 0x7f800001
	s_xor_b32 exec_lo, exec_lo, s23
	s_cbranch_execz .LBB6_14771
.LBB6_15385:                            ;   in Loop: Header=BB6_14082 Depth=3
	v_cmp_ne_u16_sdwa s73, v101, v2 src0_sel:BYTE_0 src1_sel:DWORD
	v_mov_b32_e32 v98, 0
	s_andn2_b32 s16, s16, exec_lo
	s_and_b32 s73, s73, exec_lo
	s_or_b32 s16, s16, s73
	s_or_b32 exec_lo, exec_lo, s23
	s_and_saveexec_b32 s23, s16
	s_cbranch_execnz .LBB6_14772
	s_branch .LBB6_14773
.LBB6_15386:                            ;   in Loop: Header=BB6_14082 Depth=3
	s_or_saveexec_b32 s23, s23
	v_mov_b32_e32 v86, 0x7f800001
	s_xor_b32 exec_lo, exec_lo, s23
	s_cbranch_execz .LBB6_14777
.LBB6_15387:                            ;   in Loop: Header=BB6_14082 Depth=3
	v_cmp_ne_u16_sdwa s73, v102, v2 src0_sel:BYTE_0 src1_sel:DWORD
	v_mov_b32_e32 v86, 0
	s_andn2_b32 s16, s16, exec_lo
	s_and_b32 s73, s73, exec_lo
	s_or_b32 s16, s16, s73
	s_or_b32 exec_lo, exec_lo, s23
	s_and_saveexec_b32 s23, s16
	s_cbranch_execnz .LBB6_14778
	s_branch .LBB6_14779
.LBB6_15388:                            ;   in Loop: Header=BB6_14082 Depth=3
	s_or_saveexec_b32 s23, s23
	v_mov_b32_e32 v98, 0x7f800001
	s_xor_b32 exec_lo, exec_lo, s23
	s_cbranch_execz .LBB6_14785
.LBB6_15389:                            ;   in Loop: Header=BB6_14082 Depth=3
	v_cmp_ne_u16_sdwa s73, v101, v2 src0_sel:BYTE_0 src1_sel:DWORD
	v_mov_b32_e32 v98, 0
	s_andn2_b32 s16, s16, exec_lo
	s_and_b32 s73, s73, exec_lo
	s_or_b32 s16, s16, s73
	s_or_b32 exec_lo, exec_lo, s23
	s_and_saveexec_b32 s23, s16
	s_cbranch_execnz .LBB6_14786
	s_branch .LBB6_14787
.LBB6_15390:                            ;   in Loop: Header=BB6_14082 Depth=3
	s_or_saveexec_b32 s23, s23
	v_mov_b32_e32 v86, 0x7f800001
	s_xor_b32 exec_lo, exec_lo, s23
	s_cbranch_execz .LBB6_14791
.LBB6_15391:                            ;   in Loop: Header=BB6_14082 Depth=3
	v_cmp_ne_u16_sdwa s73, v102, v2 src0_sel:BYTE_0 src1_sel:DWORD
	v_mov_b32_e32 v86, 0
	s_andn2_b32 s16, s16, exec_lo
	s_and_b32 s73, s73, exec_lo
	s_or_b32 s16, s16, s73
	s_or_b32 exec_lo, exec_lo, s23
	s_and_saveexec_b32 s23, s16
	s_cbranch_execnz .LBB6_14792
	s_branch .LBB6_14793
.LBB6_15392:                            ;   in Loop: Header=BB6_14082 Depth=3
	s_or_saveexec_b32 s23, s23
	v_mov_b32_e32 v98, 0x7f800001
	s_xor_b32 exec_lo, exec_lo, s23
	s_cbranch_execz .LBB6_14807
.LBB6_15393:                            ;   in Loop: Header=BB6_14082 Depth=3
	v_cmp_ne_u16_sdwa s73, v83, v2 src0_sel:BYTE_0 src1_sel:DWORD
	v_mov_b32_e32 v98, 0
	s_andn2_b32 s16, s16, exec_lo
	s_and_b32 s73, s73, exec_lo
	s_or_b32 s16, s16, s73
	s_or_b32 exec_lo, exec_lo, s23
	s_and_saveexec_b32 s23, s16
	s_cbranch_execnz .LBB6_14808
	s_branch .LBB6_14809
.LBB6_15394:                            ;   in Loop: Header=BB6_14082 Depth=3
	s_or_saveexec_b32 s23, s23
	v_mov_b32_e32 v86, 0x7f800001
	s_xor_b32 exec_lo, exec_lo, s23
	s_cbranch_execz .LBB6_14813
.LBB6_15395:                            ;   in Loop: Header=BB6_14082 Depth=3
	v_cmp_ne_u16_sdwa s73, v84, v2 src0_sel:BYTE_0 src1_sel:DWORD
	v_mov_b32_e32 v86, 0
	s_andn2_b32 s16, s16, exec_lo
	s_and_b32 s73, s73, exec_lo
	s_or_b32 s16, s16, s73
	s_or_b32 exec_lo, exec_lo, s23
	s_and_saveexec_b32 s23, s16
	s_cbranch_execnz .LBB6_14814
	s_branch .LBB6_14815
.LBB6_15396:                            ;   in Loop: Header=BB6_14082 Depth=3
	s_or_saveexec_b32 s23, s23
	v_mov_b32_e32 v98, 0x7f800001
	s_xor_b32 exec_lo, exec_lo, s23
	s_cbranch_execz .LBB6_14821
.LBB6_15397:                            ;   in Loop: Header=BB6_14082 Depth=3
	v_cmp_ne_u16_sdwa s73, v83, v2 src0_sel:BYTE_0 src1_sel:DWORD
	v_mov_b32_e32 v98, 0
	s_andn2_b32 s16, s16, exec_lo
	s_and_b32 s73, s73, exec_lo
	s_or_b32 s16, s16, s73
	s_or_b32 exec_lo, exec_lo, s23
	s_and_saveexec_b32 s23, s16
	s_cbranch_execnz .LBB6_14822
	s_branch .LBB6_14823
.LBB6_15398:                            ;   in Loop: Header=BB6_14082 Depth=3
	s_or_saveexec_b32 s23, s23
	v_mov_b32_e32 v83, 0x7f800001
	s_xor_b32 exec_lo, exec_lo, s23
	s_cbranch_execz .LBB6_14827
.LBB6_15399:                            ;   in Loop: Header=BB6_14082 Depth=3
	v_cmp_ne_u16_sdwa s73, v84, v2 src0_sel:BYTE_0 src1_sel:DWORD
	v_mov_b32_e32 v83, 0
	s_andn2_b32 s16, s16, exec_lo
	s_and_b32 s73, s73, exec_lo
	s_or_b32 s16, s16, s73
	s_or_b32 exec_lo, exec_lo, s23
	s_and_saveexec_b32 s23, s16
	s_cbranch_execnz .LBB6_14828
	s_branch .LBB6_14829
.LBB6_15400:                            ;   in Loop: Header=BB6_14082 Depth=3
	s_or_saveexec_b32 s23, s23
	s_waitcnt vmcnt(11) lgkmcnt(11)
	v_mov_b32_e32 v84, 0x7f800001
	s_xor_b32 exec_lo, exec_lo, s23
	s_cbranch_execz .LBB6_14843
.LBB6_15401:                            ;   in Loop: Header=BB6_14082 Depth=3
	v_cmp_ne_u16_sdwa s73, v54, v2 src0_sel:BYTE_0 src1_sel:DWORD
	v_mov_b32_e32 v84, 0
	s_andn2_b32 s16, s16, exec_lo
	s_and_b32 s73, s73, exec_lo
	s_or_b32 s16, s16, s73
	s_or_b32 exec_lo, exec_lo, s23
	s_and_saveexec_b32 s23, s16
	s_cbranch_execnz .LBB6_14844
	s_branch .LBB6_14845
.LBB6_15402:                            ;   in Loop: Header=BB6_14082 Depth=3
	s_or_saveexec_b32 s23, s23
	v_mov_b32_e32 v86, 0x7f800001
	s_xor_b32 exec_lo, exec_lo, s23
	s_cbranch_execz .LBB6_14849
.LBB6_15403:                            ;   in Loop: Header=BB6_14082 Depth=3
	v_cmp_ne_u16_sdwa s73, v55, v2 src0_sel:BYTE_0 src1_sel:DWORD
	v_mov_b32_e32 v86, 0
	s_andn2_b32 s16, s16, exec_lo
	s_and_b32 s73, s73, exec_lo
	s_or_b32 s16, s16, s73
	s_or_b32 exec_lo, exec_lo, s23
	s_and_saveexec_b32 s23, s16
	s_cbranch_execnz .LBB6_14850
	s_branch .LBB6_14851
.LBB6_15404:                            ;   in Loop: Header=BB6_14082 Depth=3
	s_or_saveexec_b32 s23, s23
	s_waitcnt vmcnt(11) lgkmcnt(11)
	v_mov_b32_e32 v84, 0x7f800001
	s_xor_b32 exec_lo, exec_lo, s23
	s_cbranch_execz .LBB6_14857
.LBB6_15405:                            ;   in Loop: Header=BB6_14082 Depth=3
	v_cmp_ne_u16_sdwa s73, v54, v2 src0_sel:BYTE_0 src1_sel:DWORD
	v_mov_b32_e32 v84, 0
	s_andn2_b32 s16, s16, exec_lo
	s_and_b32 s73, s73, exec_lo
	s_or_b32 s16, s16, s73
	s_or_b32 exec_lo, exec_lo, s23
	s_and_saveexec_b32 s23, s16
	s_cbranch_execnz .LBB6_14858
	s_branch .LBB6_14859
.LBB6_15406:                            ;   in Loop: Header=BB6_14082 Depth=3
	s_or_saveexec_b32 s23, s23
	v_mov_b32_e32 v54, 0x7f800001
	s_xor_b32 exec_lo, exec_lo, s23
	s_cbranch_execz .LBB6_14863
.LBB6_15407:                            ;   in Loop: Header=BB6_14082 Depth=3
	v_cmp_ne_u16_sdwa s73, v55, v2 src0_sel:BYTE_0 src1_sel:DWORD
	v_mov_b32_e32 v54, 0
	s_andn2_b32 s16, s16, exec_lo
	s_and_b32 s73, s73, exec_lo
	s_or_b32 s16, s16, s73
	s_or_b32 exec_lo, exec_lo, s23
	s_and_saveexec_b32 s23, s16
	s_cbranch_execnz .LBB6_14864
	s_branch .LBB6_14865
.LBB6_15408:                            ;   in Loop: Header=BB6_14082 Depth=3
	s_or_saveexec_b32 s23, s23
	s_waitcnt vmcnt(10) lgkmcnt(10)
	v_mov_b32_e32 v55, 0x7f800001
	s_xor_b32 exec_lo, exec_lo, s23
	s_cbranch_execz .LBB6_14879
.LBB6_15409:                            ;   in Loop: Header=BB6_14082 Depth=3
	v_cmp_ne_u16_sdwa s73, v52, v2 src0_sel:BYTE_0 src1_sel:DWORD
	v_mov_b32_e32 v55, 0
	s_andn2_b32 s16, s16, exec_lo
	s_and_b32 s73, s73, exec_lo
	s_or_b32 s16, s16, s73
	s_or_b32 exec_lo, exec_lo, s23
	s_and_saveexec_b32 s23, s16
	s_cbranch_execnz .LBB6_14880
	s_branch .LBB6_14881
.LBB6_15410:                            ;   in Loop: Header=BB6_14082 Depth=3
	s_or_saveexec_b32 s23, s23
	v_mov_b32_e32 v84, 0x7f800001
	s_xor_b32 exec_lo, exec_lo, s23
	s_cbranch_execz .LBB6_14885
.LBB6_15411:                            ;   in Loop: Header=BB6_14082 Depth=3
	v_cmp_ne_u16_sdwa s73, v53, v2 src0_sel:BYTE_0 src1_sel:DWORD
	v_mov_b32_e32 v84, 0
	s_andn2_b32 s16, s16, exec_lo
	s_and_b32 s73, s73, exec_lo
	s_or_b32 s16, s16, s73
	s_or_b32 exec_lo, exec_lo, s23
	s_and_saveexec_b32 s23, s16
	s_cbranch_execnz .LBB6_14886
	s_branch .LBB6_14887
.LBB6_15412:                            ;   in Loop: Header=BB6_14082 Depth=3
	s_or_saveexec_b32 s23, s23
	s_waitcnt vmcnt(10) lgkmcnt(10)
	v_mov_b32_e32 v55, 0x7f800001
	s_xor_b32 exec_lo, exec_lo, s23
	s_cbranch_execz .LBB6_14893
.LBB6_15413:                            ;   in Loop: Header=BB6_14082 Depth=3
	v_cmp_ne_u16_sdwa s73, v52, v2 src0_sel:BYTE_0 src1_sel:DWORD
	v_mov_b32_e32 v55, 0
	s_andn2_b32 s16, s16, exec_lo
	s_and_b32 s73, s73, exec_lo
	s_or_b32 s16, s16, s73
	s_or_b32 exec_lo, exec_lo, s23
	s_and_saveexec_b32 s23, s16
	s_cbranch_execnz .LBB6_14894
	s_branch .LBB6_14895
.LBB6_15414:                            ;   in Loop: Header=BB6_14082 Depth=3
	s_or_saveexec_b32 s23, s23
	v_mov_b32_e32 v52, 0x7f800001
	s_xor_b32 exec_lo, exec_lo, s23
	s_cbranch_execz .LBB6_14899
.LBB6_15415:                            ;   in Loop: Header=BB6_14082 Depth=3
	v_cmp_ne_u16_sdwa s73, v53, v2 src0_sel:BYTE_0 src1_sel:DWORD
	v_mov_b32_e32 v52, 0
	s_andn2_b32 s16, s16, exec_lo
	s_and_b32 s73, s73, exec_lo
	s_or_b32 s16, s16, s73
	s_or_b32 exec_lo, exec_lo, s23
	s_and_saveexec_b32 s23, s16
	s_cbranch_execnz .LBB6_14900
	s_branch .LBB6_14901
.LBB6_15416:                            ;   in Loop: Header=BB6_14082 Depth=3
	s_or_saveexec_b32 s23, s23
	s_waitcnt vmcnt(9) lgkmcnt(9)
	v_mov_b32_e32 v53, 0x7f800001
	s_xor_b32 exec_lo, exec_lo, s23
	s_cbranch_execz .LBB6_14915
.LBB6_15417:                            ;   in Loop: Header=BB6_14082 Depth=3
	v_cmp_ne_u16_sdwa s73, v50, v2 src0_sel:BYTE_0 src1_sel:DWORD
	v_mov_b32_e32 v53, 0
	s_andn2_b32 s16, s16, exec_lo
	s_and_b32 s73, s73, exec_lo
	s_or_b32 s16, s16, s73
	s_or_b32 exec_lo, exec_lo, s23
	s_and_saveexec_b32 s23, s16
	s_cbranch_execnz .LBB6_14916
	s_branch .LBB6_14917
.LBB6_15418:                            ;   in Loop: Header=BB6_14082 Depth=3
	s_or_saveexec_b32 s23, s23
	v_mov_b32_e32 v55, 0x7f800001
	s_xor_b32 exec_lo, exec_lo, s23
	s_cbranch_execz .LBB6_14921
.LBB6_15419:                            ;   in Loop: Header=BB6_14082 Depth=3
	v_cmp_ne_u16_sdwa s73, v31, v2 src0_sel:BYTE_0 src1_sel:DWORD
	v_mov_b32_e32 v55, 0
	s_andn2_b32 s16, s16, exec_lo
	s_and_b32 s73, s73, exec_lo
	s_or_b32 s16, s16, s73
	s_or_b32 exec_lo, exec_lo, s23
	s_and_saveexec_b32 s23, s16
	s_cbranch_execnz .LBB6_14922
	s_branch .LBB6_14923
.LBB6_15420:                            ;   in Loop: Header=BB6_14082 Depth=3
	s_or_saveexec_b32 s23, s23
	s_waitcnt vmcnt(9) lgkmcnt(9)
	v_mov_b32_e32 v53, 0x7f800001
	s_xor_b32 exec_lo, exec_lo, s23
	s_cbranch_execz .LBB6_14929
.LBB6_15421:                            ;   in Loop: Header=BB6_14082 Depth=3
	v_cmp_ne_u16_sdwa s73, v50, v2 src0_sel:BYTE_0 src1_sel:DWORD
	v_mov_b32_e32 v53, 0
	s_andn2_b32 s16, s16, exec_lo
	s_and_b32 s73, s73, exec_lo
	s_or_b32 s16, s16, s73
	s_or_b32 exec_lo, exec_lo, s23
	s_and_saveexec_b32 s23, s16
	s_cbranch_execnz .LBB6_14930
	s_branch .LBB6_14931
.LBB6_15422:                            ;   in Loop: Header=BB6_14082 Depth=3
	s_or_saveexec_b32 s23, s23
	v_mov_b32_e32 v50, 0x7f800001
	s_xor_b32 exec_lo, exec_lo, s23
	s_cbranch_execz .LBB6_14935
.LBB6_15423:                            ;   in Loop: Header=BB6_14082 Depth=3
	v_cmp_ne_u16_sdwa s73, v31, v2 src0_sel:BYTE_0 src1_sel:DWORD
	v_mov_b32_e32 v50, 0
	s_andn2_b32 s16, s16, exec_lo
	s_and_b32 s73, s73, exec_lo
	s_or_b32 s16, s16, s73
	s_or_b32 exec_lo, exec_lo, s23
	s_and_saveexec_b32 s23, s16
	s_cbranch_execnz .LBB6_14936
	s_branch .LBB6_14937
.LBB6_15424:                            ;   in Loop: Header=BB6_14082 Depth=3
	s_or_saveexec_b32 s23, s23
	v_mov_b32_e32 v50, 0x7f800001
	s_xor_b32 exec_lo, exec_lo, s23
	s_cbranch_execz .LBB6_14951
.LBB6_15425:                            ;   in Loop: Header=BB6_14082 Depth=3
	v_cmp_ne_u16_sdwa s73, v39, v2 src0_sel:BYTE_0 src1_sel:DWORD
	v_mov_b32_e32 v50, 0
	s_andn2_b32 s16, s16, exec_lo
	s_and_b32 s73, s73, exec_lo
	s_or_b32 s16, s16, s73
	s_or_b32 exec_lo, exec_lo, s23
	s_and_saveexec_b32 s23, s16
	s_cbranch_execnz .LBB6_14952
	s_branch .LBB6_14953
.LBB6_15426:                            ;   in Loop: Header=BB6_14082 Depth=3
	s_or_saveexec_b32 s23, s23
	v_mov_b32_e32 v53, 0x7f800001
	s_xor_b32 exec_lo, exec_lo, s23
	s_cbranch_execz .LBB6_14957
.LBB6_15427:                            ;   in Loop: Header=BB6_14082 Depth=3
	v_cmp_ne_u16_sdwa s73, v48, v2 src0_sel:BYTE_0 src1_sel:DWORD
	v_mov_b32_e32 v53, 0
	s_andn2_b32 s16, s16, exec_lo
	s_and_b32 s73, s73, exec_lo
	s_or_b32 s16, s16, s73
	s_or_b32 exec_lo, exec_lo, s23
	s_and_saveexec_b32 s23, s16
	s_cbranch_execnz .LBB6_14958
	s_branch .LBB6_14959
.LBB6_15428:                            ;   in Loop: Header=BB6_14082 Depth=3
	s_or_saveexec_b32 s23, s23
	v_mov_b32_e32 v50, 0x7f800001
	s_xor_b32 exec_lo, exec_lo, s23
	s_cbranch_execz .LBB6_14965
.LBB6_15429:                            ;   in Loop: Header=BB6_14082 Depth=3
	v_cmp_ne_u16_sdwa s73, v39, v2 src0_sel:BYTE_0 src1_sel:DWORD
	v_mov_b32_e32 v50, 0
	s_andn2_b32 s16, s16, exec_lo
	s_and_b32 s73, s73, exec_lo
	s_or_b32 s16, s16, s73
	s_or_b32 exec_lo, exec_lo, s23
	s_and_saveexec_b32 s23, s16
	s_cbranch_execnz .LBB6_14966
	s_branch .LBB6_14967
.LBB6_15430:                            ;   in Loop: Header=BB6_14082 Depth=3
	s_or_saveexec_b32 s23, s23
	v_mov_b32_e32 v39, 0x7f800001
	s_xor_b32 exec_lo, exec_lo, s23
	s_cbranch_execz .LBB6_14971
.LBB6_15431:                            ;   in Loop: Header=BB6_14082 Depth=3
	v_cmp_ne_u16_sdwa s73, v48, v2 src0_sel:BYTE_0 src1_sel:DWORD
	v_mov_b32_e32 v39, 0
	s_andn2_b32 s16, s16, exec_lo
	s_and_b32 s73, s73, exec_lo
	s_or_b32 s16, s16, s73
	s_or_b32 exec_lo, exec_lo, s23
	s_and_saveexec_b32 s23, s16
	s_cbranch_execnz .LBB6_14972
	s_branch .LBB6_14973
.LBB6_15432:                            ;   in Loop: Header=BB6_14082 Depth=3
	s_or_saveexec_b32 s23, s23
	s_waitcnt vmcnt(7) lgkmcnt(7)
	v_mov_b32_e32 v48, 0x7f800001
	s_xor_b32 exec_lo, exec_lo, s23
	s_cbranch_execz .LBB6_14987
.LBB6_15433:                            ;   in Loop: Header=BB6_14082 Depth=3
	v_cmp_ne_u16_sdwa s73, v36, v2 src0_sel:BYTE_0 src1_sel:DWORD
	v_mov_b32_e32 v48, 0
	s_andn2_b32 s16, s16, exec_lo
	s_and_b32 s73, s73, exec_lo
	s_or_b32 s16, s16, s73
	s_or_b32 exec_lo, exec_lo, s23
	s_and_saveexec_b32 s23, s16
	s_cbranch_execnz .LBB6_14988
	s_branch .LBB6_14989
.LBB6_15434:                            ;   in Loop: Header=BB6_14082 Depth=3
	s_or_saveexec_b32 s23, s23
	v_mov_b32_e32 v50, 0x7f800001
	s_xor_b32 exec_lo, exec_lo, s23
	s_cbranch_execz .LBB6_14993
.LBB6_15435:                            ;   in Loop: Header=BB6_14082 Depth=3
	v_cmp_ne_u16_sdwa s73, v37, v2 src0_sel:BYTE_0 src1_sel:DWORD
	v_mov_b32_e32 v50, 0
	s_andn2_b32 s16, s16, exec_lo
	s_and_b32 s73, s73, exec_lo
	s_or_b32 s16, s16, s73
	s_or_b32 exec_lo, exec_lo, s23
	s_and_saveexec_b32 s23, s16
	s_cbranch_execnz .LBB6_14994
	s_branch .LBB6_14995
.LBB6_15436:                            ;   in Loop: Header=BB6_14082 Depth=3
	s_or_saveexec_b32 s23, s23
	s_waitcnt vmcnt(7) lgkmcnt(7)
	v_mov_b32_e32 v48, 0x7f800001
	s_xor_b32 exec_lo, exec_lo, s23
	s_cbranch_execz .LBB6_15001
.LBB6_15437:                            ;   in Loop: Header=BB6_14082 Depth=3
	v_cmp_ne_u16_sdwa s73, v36, v2 src0_sel:BYTE_0 src1_sel:DWORD
	v_mov_b32_e32 v48, 0
	s_andn2_b32 s16, s16, exec_lo
	s_and_b32 s73, s73, exec_lo
	s_or_b32 s16, s16, s73
	s_or_b32 exec_lo, exec_lo, s23
	s_and_saveexec_b32 s23, s16
	s_cbranch_execnz .LBB6_15002
	s_branch .LBB6_15003
.LBB6_15438:                            ;   in Loop: Header=BB6_14082 Depth=3
	s_or_saveexec_b32 s23, s23
	v_mov_b32_e32 v36, 0x7f800001
	s_xor_b32 exec_lo, exec_lo, s23
	s_cbranch_execz .LBB6_15007
.LBB6_15439:                            ;   in Loop: Header=BB6_14082 Depth=3
	v_cmp_ne_u16_sdwa s73, v37, v2 src0_sel:BYTE_0 src1_sel:DWORD
	v_mov_b32_e32 v36, 0
	s_andn2_b32 s16, s16, exec_lo
	s_and_b32 s73, s73, exec_lo
	s_or_b32 s16, s16, s73
	s_or_b32 exec_lo, exec_lo, s23
	s_and_saveexec_b32 s23, s16
	s_cbranch_execnz .LBB6_15008
	s_branch .LBB6_15009
.LBB6_15440:                            ;   in Loop: Header=BB6_14082 Depth=3
	s_or_saveexec_b32 s23, s23
	s_waitcnt vmcnt(6) lgkmcnt(6)
	v_mov_b32_e32 v37, 0x7f800001
	s_xor_b32 exec_lo, exec_lo, s23
	s_cbranch_execz .LBB6_15023
.LBB6_15441:                            ;   in Loop: Header=BB6_14082 Depth=3
	v_cmp_ne_u16_sdwa s73, v33, v2 src0_sel:BYTE_0 src1_sel:DWORD
	v_mov_b32_e32 v37, 0
	s_andn2_b32 s16, s16, exec_lo
	s_and_b32 s73, s73, exec_lo
	s_or_b32 s16, s16, s73
	s_or_b32 exec_lo, exec_lo, s23
	s_and_saveexec_b32 s23, s16
	s_cbranch_execnz .LBB6_15024
	s_branch .LBB6_15025
.LBB6_15442:                            ;   in Loop: Header=BB6_14082 Depth=3
	s_or_saveexec_b32 s23, s23
	v_mov_b32_e32 v48, 0x7f800001
	s_xor_b32 exec_lo, exec_lo, s23
	s_cbranch_execz .LBB6_15029
.LBB6_15443:                            ;   in Loop: Header=BB6_14082 Depth=3
	v_cmp_ne_u16_sdwa s73, v34, v2 src0_sel:BYTE_0 src1_sel:DWORD
	v_mov_b32_e32 v48, 0
	s_andn2_b32 s16, s16, exec_lo
	s_and_b32 s73, s73, exec_lo
	s_or_b32 s16, s16, s73
	s_or_b32 exec_lo, exec_lo, s23
	s_and_saveexec_b32 s23, s16
	s_cbranch_execnz .LBB6_15030
	s_branch .LBB6_15031
.LBB6_15444:                            ;   in Loop: Header=BB6_14082 Depth=3
	s_or_saveexec_b32 s23, s23
	s_waitcnt vmcnt(6) lgkmcnt(6)
	v_mov_b32_e32 v37, 0x7f800001
	s_xor_b32 exec_lo, exec_lo, s23
	s_cbranch_execz .LBB6_15037
.LBB6_15445:                            ;   in Loop: Header=BB6_14082 Depth=3
	v_cmp_ne_u16_sdwa s73, v33, v2 src0_sel:BYTE_0 src1_sel:DWORD
	v_mov_b32_e32 v37, 0
	s_andn2_b32 s16, s16, exec_lo
	s_and_b32 s73, s73, exec_lo
	s_or_b32 s16, s16, s73
	s_or_b32 exec_lo, exec_lo, s23
	s_and_saveexec_b32 s23, s16
	s_cbranch_execnz .LBB6_15038
	s_branch .LBB6_15039
.LBB6_15446:                            ;   in Loop: Header=BB6_14082 Depth=3
	s_or_saveexec_b32 s23, s23
	v_mov_b32_e32 v33, 0x7f800001
	s_xor_b32 exec_lo, exec_lo, s23
	s_cbranch_execz .LBB6_15043
.LBB6_15447:                            ;   in Loop: Header=BB6_14082 Depth=3
	v_cmp_ne_u16_sdwa s73, v34, v2 src0_sel:BYTE_0 src1_sel:DWORD
	v_mov_b32_e32 v33, 0
	s_andn2_b32 s16, s16, exec_lo
	s_and_b32 s73, s73, exec_lo
	s_or_b32 s16, s16, s73
	s_or_b32 exec_lo, exec_lo, s23
	s_and_saveexec_b32 s23, s16
	s_cbranch_execnz .LBB6_15044
	s_branch .LBB6_15045
.LBB6_15448:                            ;   in Loop: Header=BB6_14082 Depth=3
	s_or_saveexec_b32 s23, s23
	s_waitcnt vmcnt(5) lgkmcnt(5)
	v_mov_b32_e32 v34, 0x7f800001
	s_xor_b32 exec_lo, exec_lo, s23
	s_cbranch_execz .LBB6_15059
.LBB6_15449:                            ;   in Loop: Header=BB6_14082 Depth=3
	v_cmp_ne_u16_sdwa s73, v29, v2 src0_sel:BYTE_0 src1_sel:DWORD
	v_mov_b32_e32 v34, 0
	s_andn2_b32 s16, s16, exec_lo
	s_and_b32 s73, s73, exec_lo
	s_or_b32 s16, s16, s73
	s_or_b32 exec_lo, exec_lo, s23
	s_and_saveexec_b32 s23, s16
	s_cbranch_execnz .LBB6_15060
	s_branch .LBB6_15061
.LBB6_15450:                            ;   in Loop: Header=BB6_14082 Depth=3
	s_or_saveexec_b32 s23, s23
	v_mov_b32_e32 v37, 0x7f800001
	s_xor_b32 exec_lo, exec_lo, s23
	s_cbranch_execz .LBB6_15065
.LBB6_15451:                            ;   in Loop: Header=BB6_14082 Depth=3
	v_cmp_ne_u16_sdwa s73, v30, v2 src0_sel:BYTE_0 src1_sel:DWORD
	v_mov_b32_e32 v37, 0
	s_andn2_b32 s16, s16, exec_lo
	s_and_b32 s73, s73, exec_lo
	s_or_b32 s16, s16, s73
	s_or_b32 exec_lo, exec_lo, s23
	s_and_saveexec_b32 s23, s16
	s_cbranch_execnz .LBB6_15066
	s_branch .LBB6_15067
.LBB6_15452:                            ;   in Loop: Header=BB6_14082 Depth=3
	s_or_saveexec_b32 s23, s23
	s_waitcnt vmcnt(5) lgkmcnt(5)
	v_mov_b32_e32 v34, 0x7f800001
	s_xor_b32 exec_lo, exec_lo, s23
	s_cbranch_execz .LBB6_15073
.LBB6_15453:                            ;   in Loop: Header=BB6_14082 Depth=3
	v_cmp_ne_u16_sdwa s73, v29, v2 src0_sel:BYTE_0 src1_sel:DWORD
	v_mov_b32_e32 v34, 0
	s_andn2_b32 s16, s16, exec_lo
	s_and_b32 s73, s73, exec_lo
	s_or_b32 s16, s16, s73
	s_or_b32 exec_lo, exec_lo, s23
	s_and_saveexec_b32 s23, s16
	s_cbranch_execnz .LBB6_15074
	s_branch .LBB6_15075
.LBB6_15454:                            ;   in Loop: Header=BB6_14082 Depth=3
	s_or_saveexec_b32 s23, s23
	v_mov_b32_e32 v29, 0x7f800001
	s_xor_b32 exec_lo, exec_lo, s23
	s_cbranch_execz .LBB6_15079
.LBB6_15455:                            ;   in Loop: Header=BB6_14082 Depth=3
	v_cmp_ne_u16_sdwa s73, v30, v2 src0_sel:BYTE_0 src1_sel:DWORD
	v_mov_b32_e32 v29, 0
	s_andn2_b32 s16, s16, exec_lo
	s_and_b32 s73, s73, exec_lo
	s_or_b32 s16, s16, s73
	s_or_b32 exec_lo, exec_lo, s23
	s_and_saveexec_b32 s23, s16
	s_cbranch_execnz .LBB6_15080
	s_branch .LBB6_15081
.LBB6_15456:                            ;   in Loop: Header=BB6_14082 Depth=3
	s_or_saveexec_b32 s23, s23
	s_waitcnt vmcnt(4) lgkmcnt(4)
	v_mov_b32_e32 v30, 0x7f800001
	s_xor_b32 exec_lo, exec_lo, s23
	s_cbranch_execz .LBB6_15095
.LBB6_15457:                            ;   in Loop: Header=BB6_14082 Depth=3
	v_cmp_ne_u16_sdwa s73, v26, v2 src0_sel:BYTE_0 src1_sel:DWORD
	v_mov_b32_e32 v30, 0
	s_andn2_b32 s16, s16, exec_lo
	s_and_b32 s73, s73, exec_lo
	s_or_b32 s16, s16, s73
	s_or_b32 exec_lo, exec_lo, s23
	s_and_saveexec_b32 s23, s16
	s_cbranch_execnz .LBB6_15096
	s_branch .LBB6_15097
.LBB6_15458:                            ;   in Loop: Header=BB6_14082 Depth=3
	s_or_saveexec_b32 s23, s23
	v_mov_b32_e32 v34, 0x7f800001
	s_xor_b32 exec_lo, exec_lo, s23
	s_cbranch_execz .LBB6_15101
.LBB6_15459:                            ;   in Loop: Header=BB6_14082 Depth=3
	v_cmp_ne_u16_sdwa s73, v27, v2 src0_sel:BYTE_0 src1_sel:DWORD
	v_mov_b32_e32 v34, 0
	s_andn2_b32 s16, s16, exec_lo
	s_and_b32 s73, s73, exec_lo
	s_or_b32 s16, s16, s73
	s_or_b32 exec_lo, exec_lo, s23
	s_and_saveexec_b32 s23, s16
	s_cbranch_execnz .LBB6_15102
	s_branch .LBB6_15103
.LBB6_15460:                            ;   in Loop: Header=BB6_14082 Depth=3
	s_or_saveexec_b32 s23, s23
	s_waitcnt vmcnt(4) lgkmcnt(4)
	v_mov_b32_e32 v30, 0x7f800001
	s_xor_b32 exec_lo, exec_lo, s23
	s_cbranch_execz .LBB6_15109
.LBB6_15461:                            ;   in Loop: Header=BB6_14082 Depth=3
	v_cmp_ne_u16_sdwa s73, v26, v2 src0_sel:BYTE_0 src1_sel:DWORD
	v_mov_b32_e32 v30, 0
	s_andn2_b32 s16, s16, exec_lo
	s_and_b32 s73, s73, exec_lo
	s_or_b32 s16, s16, s73
	s_or_b32 exec_lo, exec_lo, s23
	s_and_saveexec_b32 s23, s16
	s_cbranch_execnz .LBB6_15110
	s_branch .LBB6_15111
.LBB6_15462:                            ;   in Loop: Header=BB6_14082 Depth=3
	s_or_saveexec_b32 s23, s23
	v_mov_b32_e32 v26, 0x7f800001
	s_xor_b32 exec_lo, exec_lo, s23
	s_cbranch_execz .LBB6_15115
.LBB6_15463:                            ;   in Loop: Header=BB6_14082 Depth=3
	v_cmp_ne_u16_sdwa s73, v27, v2 src0_sel:BYTE_0 src1_sel:DWORD
	v_mov_b32_e32 v26, 0
	s_andn2_b32 s16, s16, exec_lo
	s_and_b32 s73, s73, exec_lo
	s_or_b32 s16, s16, s73
	s_or_b32 exec_lo, exec_lo, s23
	s_and_saveexec_b32 s23, s16
	s_cbranch_execnz .LBB6_15116
	s_branch .LBB6_15117
.LBB6_15464:                            ;   in Loop: Header=BB6_14082 Depth=3
	s_or_saveexec_b32 s23, s23
	s_waitcnt vmcnt(3) lgkmcnt(3)
	v_mov_b32_e32 v27, 0x7f800001
	s_xor_b32 exec_lo, exec_lo, s23
	s_cbranch_execz .LBB6_15131
.LBB6_15465:                            ;   in Loop: Header=BB6_14082 Depth=3
	v_cmp_ne_u16_sdwa s73, v23, v2 src0_sel:BYTE_0 src1_sel:DWORD
	v_mov_b32_e32 v27, 0
	s_andn2_b32 s16, s16, exec_lo
	s_and_b32 s73, s73, exec_lo
	s_or_b32 s16, s16, s73
	s_or_b32 exec_lo, exec_lo, s23
	s_and_saveexec_b32 s23, s16
	s_cbranch_execnz .LBB6_15132
	s_branch .LBB6_15133
.LBB6_15466:                            ;   in Loop: Header=BB6_14082 Depth=3
	s_or_saveexec_b32 s23, s23
	v_mov_b32_e32 v30, 0x7f800001
	s_xor_b32 exec_lo, exec_lo, s23
	s_cbranch_execz .LBB6_15137
.LBB6_15467:                            ;   in Loop: Header=BB6_14082 Depth=3
	v_cmp_ne_u16_sdwa s73, v24, v2 src0_sel:BYTE_0 src1_sel:DWORD
	v_mov_b32_e32 v30, 0
	s_andn2_b32 s16, s16, exec_lo
	s_and_b32 s73, s73, exec_lo
	s_or_b32 s16, s16, s73
	s_or_b32 exec_lo, exec_lo, s23
	s_and_saveexec_b32 s23, s16
	s_cbranch_execnz .LBB6_15138
	s_branch .LBB6_15139
.LBB6_15468:                            ;   in Loop: Header=BB6_14082 Depth=3
	s_or_saveexec_b32 s23, s23
	s_waitcnt vmcnt(3) lgkmcnt(3)
	v_mov_b32_e32 v27, 0x7f800001
	s_xor_b32 exec_lo, exec_lo, s23
	s_cbranch_execz .LBB6_15145
.LBB6_15469:                            ;   in Loop: Header=BB6_14082 Depth=3
	v_cmp_ne_u16_sdwa s73, v23, v2 src0_sel:BYTE_0 src1_sel:DWORD
	v_mov_b32_e32 v27, 0
	s_andn2_b32 s16, s16, exec_lo
	s_and_b32 s73, s73, exec_lo
	s_or_b32 s16, s16, s73
	s_or_b32 exec_lo, exec_lo, s23
	s_and_saveexec_b32 s23, s16
	s_cbranch_execnz .LBB6_15146
	s_branch .LBB6_15147
.LBB6_15470:                            ;   in Loop: Header=BB6_14082 Depth=3
	s_or_saveexec_b32 s23, s23
	v_mov_b32_e32 v23, 0x7f800001
	s_xor_b32 exec_lo, exec_lo, s23
	s_cbranch_execz .LBB6_15151
.LBB6_15471:                            ;   in Loop: Header=BB6_14082 Depth=3
	v_cmp_ne_u16_sdwa s73, v24, v2 src0_sel:BYTE_0 src1_sel:DWORD
	v_mov_b32_e32 v23, 0
	s_andn2_b32 s16, s16, exec_lo
	s_and_b32 s73, s73, exec_lo
	s_or_b32 s16, s16, s73
	s_or_b32 exec_lo, exec_lo, s23
	s_and_saveexec_b32 s23, s16
	s_cbranch_execnz .LBB6_15152
	s_branch .LBB6_15153
.LBB6_15472:                            ;   in Loop: Header=BB6_14082 Depth=3
	s_or_saveexec_b32 s23, s23
	s_waitcnt vmcnt(2) lgkmcnt(2)
	v_mov_b32_e32 v24, 0x7f800001
	s_xor_b32 exec_lo, exec_lo, s23
	s_cbranch_execz .LBB6_15167
.LBB6_15473:                            ;   in Loop: Header=BB6_14082 Depth=3
	v_cmp_ne_u16_sdwa s73, v21, v2 src0_sel:BYTE_0 src1_sel:DWORD
	v_mov_b32_e32 v24, 0
	s_andn2_b32 s16, s16, exec_lo
	s_and_b32 s73, s73, exec_lo
	s_or_b32 s16, s16, s73
	s_or_b32 exec_lo, exec_lo, s23
	s_and_saveexec_b32 s23, s16
	s_cbranch_execnz .LBB6_15168
	s_branch .LBB6_15169
.LBB6_15474:                            ;   in Loop: Header=BB6_14082 Depth=3
	s_or_saveexec_b32 s23, s23
	v_mov_b32_e32 v27, 0x7f800001
	s_xor_b32 exec_lo, exec_lo, s23
	s_cbranch_execz .LBB6_15173
.LBB6_15475:                            ;   in Loop: Header=BB6_14082 Depth=3
	v_cmp_ne_u16_sdwa s73, v22, v2 src0_sel:BYTE_0 src1_sel:DWORD
	v_mov_b32_e32 v27, 0
	s_andn2_b32 s16, s16, exec_lo
	s_and_b32 s73, s73, exec_lo
	s_or_b32 s16, s16, s73
	s_or_b32 exec_lo, exec_lo, s23
	s_and_saveexec_b32 s23, s16
	s_cbranch_execnz .LBB6_15174
	s_branch .LBB6_15175
.LBB6_15476:                            ;   in Loop: Header=BB6_14082 Depth=3
	s_or_saveexec_b32 s23, s23
	s_waitcnt vmcnt(2) lgkmcnt(2)
	v_mov_b32_e32 v24, 0x7f800001
	s_xor_b32 exec_lo, exec_lo, s23
	s_cbranch_execz .LBB6_15181
.LBB6_15477:                            ;   in Loop: Header=BB6_14082 Depth=3
	v_cmp_ne_u16_sdwa s73, v21, v2 src0_sel:BYTE_0 src1_sel:DWORD
	v_mov_b32_e32 v24, 0
	s_andn2_b32 s16, s16, exec_lo
	s_and_b32 s73, s73, exec_lo
	s_or_b32 s16, s16, s73
	s_or_b32 exec_lo, exec_lo, s23
	s_and_saveexec_b32 s23, s16
	s_cbranch_execnz .LBB6_15182
	s_branch .LBB6_15183
.LBB6_15478:                            ;   in Loop: Header=BB6_14082 Depth=3
	s_or_saveexec_b32 s23, s23
	v_mov_b32_e32 v21, 0x7f800001
	s_xor_b32 exec_lo, exec_lo, s23
	s_cbranch_execz .LBB6_15187
.LBB6_15479:                            ;   in Loop: Header=BB6_14082 Depth=3
	v_cmp_ne_u16_sdwa s73, v22, v2 src0_sel:BYTE_0 src1_sel:DWORD
	v_mov_b32_e32 v21, 0
	s_andn2_b32 s16, s16, exec_lo
	s_and_b32 s73, s73, exec_lo
	s_or_b32 s16, s16, s73
	s_or_b32 exec_lo, exec_lo, s23
	s_and_saveexec_b32 s23, s16
	s_cbranch_execnz .LBB6_15188
	s_branch .LBB6_15189
.LBB6_15480:                            ;   in Loop: Header=BB6_14082 Depth=3
	s_or_saveexec_b32 s23, s23
	s_waitcnt vmcnt(1) lgkmcnt(1)
	v_mov_b32_e32 v22, 0x7f800001
	s_xor_b32 exec_lo, exec_lo, s23
	s_cbranch_execz .LBB6_15203
.LBB6_15481:                            ;   in Loop: Header=BB6_14082 Depth=3
	v_cmp_ne_u16_sdwa s73, v18, v2 src0_sel:BYTE_0 src1_sel:DWORD
	v_mov_b32_e32 v22, 0
	s_andn2_b32 s16, s16, exec_lo
	s_and_b32 s73, s73, exec_lo
	s_or_b32 s16, s16, s73
	s_or_b32 exec_lo, exec_lo, s23
	s_and_saveexec_b32 s23, s16
	s_cbranch_execnz .LBB6_15204
	s_branch .LBB6_15205
.LBB6_15482:                            ;   in Loop: Header=BB6_14082 Depth=3
	s_or_saveexec_b32 s23, s23
	v_mov_b32_e32 v24, 0x7f800001
	s_xor_b32 exec_lo, exec_lo, s23
	s_cbranch_execz .LBB6_15209
.LBB6_15483:                            ;   in Loop: Header=BB6_14082 Depth=3
	v_cmp_ne_u16_sdwa s73, v19, v2 src0_sel:BYTE_0 src1_sel:DWORD
	v_mov_b32_e32 v24, 0
	s_andn2_b32 s16, s16, exec_lo
	s_and_b32 s73, s73, exec_lo
	s_or_b32 s16, s16, s73
	s_or_b32 exec_lo, exec_lo, s23
	s_and_saveexec_b32 s23, s16
	s_cbranch_execnz .LBB6_15210
	s_branch .LBB6_15211
.LBB6_15484:                            ;   in Loop: Header=BB6_14082 Depth=3
	s_or_saveexec_b32 s23, s23
	s_waitcnt vmcnt(1) lgkmcnt(1)
	v_mov_b32_e32 v22, 0x7f800001
	s_xor_b32 exec_lo, exec_lo, s23
	s_cbranch_execz .LBB6_15217
.LBB6_15485:                            ;   in Loop: Header=BB6_14082 Depth=3
	v_cmp_ne_u16_sdwa s73, v18, v2 src0_sel:BYTE_0 src1_sel:DWORD
	v_mov_b32_e32 v22, 0
	s_andn2_b32 s16, s16, exec_lo
	s_and_b32 s73, s73, exec_lo
	s_or_b32 s16, s16, s73
	s_or_b32 exec_lo, exec_lo, s23
	s_and_saveexec_b32 s23, s16
	s_cbranch_execnz .LBB6_15218
	s_branch .LBB6_15219
.LBB6_15486:                            ;   in Loop: Header=BB6_14082 Depth=3
	s_or_saveexec_b32 s23, s23
	v_mov_b32_e32 v18, 0x7f800001
	s_xor_b32 exec_lo, exec_lo, s23
	s_cbranch_execz .LBB6_15223
.LBB6_15487:                            ;   in Loop: Header=BB6_14082 Depth=3
	v_cmp_ne_u16_sdwa s73, v19, v2 src0_sel:BYTE_0 src1_sel:DWORD
	v_mov_b32_e32 v18, 0
	s_andn2_b32 s16, s16, exec_lo
	s_and_b32 s73, s73, exec_lo
	s_or_b32 s16, s16, s73
	s_or_b32 exec_lo, exec_lo, s23
	s_and_saveexec_b32 s23, s16
	s_cbranch_execnz .LBB6_15224
	s_branch .LBB6_15225
.LBB6_15488:                            ;   in Loop: Header=BB6_5463 Depth=2
	s_or_b32 exec_lo, exec_lo, s22
.LBB6_15489:                            ;   in Loop: Header=BB6_5463 Depth=2
	s_or_b32 exec_lo, exec_lo, s18
	v_lshlrev_b32_e32 v1, 10, v17
	v_cmp_ne_u32_e32 vcc_lo, v5, v1
	s_and_b32 exec_lo, exec_lo, vcc_lo
	s_cbranch_execz .LBB6_15537
; %bb.15490:                            ;   in Loop: Header=BB6_5463 Depth=2
	v_lshlrev_b32_e32 v8, 5, v15
	v_lshlrev_b32_e32 v9, 5, v16
	v_sub_nc_u32_e32 v8, v14, v8
	v_sub_nc_u32_e32 v8, v8, v9
	v_add_nc_u32_e32 v8, v1, v8
	v_sub_nc_u32_e32 v1, v5, v8
	v_cmp_lt_i32_e32 vcc_lo, 0, v1
	s_and_b32 exec_lo, exec_lo, vcc_lo
	s_cbranch_execz .LBB6_15537
; %bb.15491:                            ;   in Loop: Header=BB6_5463 Depth=2
	s_trap 2
	ds_read_b128 v[9:12], v0
	ds_read_b64 v[13:14], v0
	v_add_nc_u32_e32 v4, v8, v4
	s_bitcmp1_b32 s72, 0
	s_mov_b32 s18, 0
	s_cselect_b32 s19, -1, 0
	v_ashrrev_i32_e32 v5, 31, v4
	s_waitcnt lgkmcnt(1)
	v_add_co_u32 v8, vcc_lo, v9, v4
	v_add_co_ci_u32_e64 v9, null, v10, v5, vcc_lo
	v_add_co_u32 v10, vcc_lo, v11, v4
	v_add_co_ci_u32_e64 v11, null, v12, v5, vcc_lo
	s_waitcnt lgkmcnt(0)
	v_add_co_u32 v12, vcc_lo, v13, v4
	v_add_co_ci_u32_e64 v13, null, v14, v5, vcc_lo
	s_branch .LBB6_15495
.LBB6_15492:                            ;   in Loop: Header=BB6_15495 Depth=3
	s_or_b32 exec_lo, exec_lo, s16
	v_lshrrev_b32_e32 v5, 20, v5
	v_cmp_gt_i32_e32 vcc_lo, 16, v4
	v_min_i32_e32 v14, 15, v4
	v_and_b32_sdwa v15, v15, v62 dst_sel:DWORD dst_unused:UNUSED_PAD src0_sel:BYTE_3 src1_sel:DWORD
	v_cndmask_b32_e32 v5, 7, v5, vcc_lo
	v_lshlrev_b32_e32 v14, 3, v14
	v_and_b32_e32 v16, 7, v5
	v_or_b32_e32 v4, v4, v5
	v_or3_b32 v5, v14, v15, v16
	v_cmp_ne_u32_e32 vcc_lo, 0, v4
	v_cndmask_b32_e32 v4, 0, v5, vcc_lo
.LBB6_15493:                            ;   in Loop: Header=BB6_15495 Depth=3
	s_or_b32 exec_lo, exec_lo, s23
.LBB6_15494:                            ;   in Loop: Header=BB6_15495 Depth=3
	s_or_b32 exec_lo, exec_lo, s22
	v_sub_nc_u32_e32 v1, v1, v58
	v_add_co_u32 v8, vcc_lo, v8, v58
	v_add_co_ci_u32_e64 v9, null, 0, v9, vcc_lo
	v_add_co_u32 v10, vcc_lo, v10, v58
	flat_store_byte v[12:13], v4 glc slc
	v_add_co_ci_u32_e64 v11, null, 0, v11, vcc_lo
	v_cmp_gt_i32_e32 vcc_lo, 1, v1
	v_add_co_u32 v12, s16, v12, v58
	v_add_co_ci_u32_e64 v13, null, 0, v13, s16
	s_or_b32 s18, vcc_lo, s18
	s_andn2_b32 exec_lo, exec_lo, s18
	s_cbranch_execz .LBB6_15537
.LBB6_15495:                            ;   Parent Loop BB6_47 Depth=1
                                        ;     Parent Loop BB6_5463 Depth=2
                                        ; =>    This Inner Loop Header: Depth=3
	flat_load_ubyte v5, v[10:11] slc
	s_waitcnt vmcnt(1) lgkmcnt(2)
	flat_load_ubyte v14, v[8:9] slc
	s_mov_b32 s16, -1
	s_waitcnt vmcnt(1) lgkmcnt(1)
	v_and_b32_e32 v4, 7, v5
	v_bfe_u32 v17, v5, 3, 4
	v_lshlrev_b32_e32 v18, 24, v5
	v_ffbh_u32_e32 v15, v4
	v_cmp_eq_u32_e32 vcc_lo, 0, v17
	v_min_u32_e32 v15, 32, v15
	v_subrev_nc_u32_e32 v16, 28, v15
	v_sub_nc_u32_e32 v15, 29, v15
	v_lshlrev_b32_e32 v16, v16, v5
	v_cndmask_b32_e32 v15, v17, v15, vcc_lo
	v_and_b32_e32 v16, 7, v16
	v_lshl_add_u32 v15, v15, 23, 0x3b800000
	v_cndmask_b32_e32 v4, v4, v16, vcc_lo
	v_and_b32_e32 v16, 0x80000000, v18
	s_and_b32 vcc_lo, exec_lo, s19
	v_lshlrev_b32_e32 v4, 20, v4
	v_or3_b32 v4, v16, v15, v4
                                        ; implicit-def: $vgpr15
	s_cbranch_vccz .LBB6_15509
; %bb.15496:                            ;   in Loop: Header=BB6_15495 Depth=3
	s_waitcnt vmcnt(0) lgkmcnt(0)
	v_cmp_gt_i16_sdwa s22, v14, v61 src0_sel:BYTE_0 src1_sel:DWORD
	s_mov_b32 s16, 0
	s_and_saveexec_b32 s23, s22
	s_xor_b32 s22, exec_lo, s23
	s_cbranch_execz .LBB6_15529
; %bb.15497:                            ;   in Loop: Header=BB6_15495 Depth=3
	v_cmp_eq_u16_sdwa s72, v14, v62 src0_sel:BYTE_0 src1_sel:DWORD
	s_mov_b32 s16, -1
	s_and_saveexec_b32 s23, s72
; %bb.15498:                            ;   in Loop: Header=BB6_15495 Depth=3
	s_xor_b32 s16, exec_lo, -1
; %bb.15499:                            ;   in Loop: Header=BB6_15495 Depth=3
	s_or_b32 exec_lo, exec_lo, s23
	s_and_b32 s16, s16, exec_lo
	s_or_saveexec_b32 s22, s22
	v_mov_b32_e32 v15, 0x7f800001
	s_xor_b32 exec_lo, exec_lo, s22
	s_cbranch_execnz .LBB6_15530
.LBB6_15500:                            ;   in Loop: Header=BB6_15495 Depth=3
	s_or_b32 exec_lo, exec_lo, s22
	s_and_saveexec_b32 s22, s16
	s_cbranch_execz .LBB6_15502
.LBB6_15501:                            ;   in Loop: Header=BB6_15495 Depth=3
	v_and_b32_e32 v15, 7, v14
	v_lshrrev_b16 v17, 3, v14
	v_lshlrev_b32_e32 v19, 24, v14
	v_ffbh_u32_e32 v16, v15
	v_and_b32_e32 v17, 15, v17
	v_min_u32_e32 v16, 32, v16
	v_cmp_eq_u32_e32 vcc_lo, 0, v17
	v_subrev_nc_u32_e32 v18, 28, v16
	v_sub_nc_u32_e32 v16, 29, v16
	v_lshlrev_b32_e32 v18, v18, v14
	v_cndmask_b32_e32 v16, v17, v16, vcc_lo
	v_and_b32_e32 v17, 0x80000000, v19
	v_and_b32_e32 v18, 7, v18
	v_lshl_add_u32 v16, v16, 23, 0x3b800000
	v_cndmask_b32_e32 v15, v15, v18, vcc_lo
	v_lshlrev_b32_e32 v15, 20, v15
	v_or3_b32 v15, v17, v16, v15
.LBB6_15502:                            ;   in Loop: Header=BB6_15495 Depth=3
	s_or_b32 exec_lo, exec_lo, s22
	v_cmp_gt_i16_sdwa s22, v5, v61 src0_sel:BYTE_0 src1_sel:DWORD
	s_mov_b32 s16, 0
	s_and_saveexec_b32 s23, s22
	s_xor_b32 s22, exec_lo, s23
	s_cbranch_execz .LBB6_15531
; %bb.15503:                            ;   in Loop: Header=BB6_15495 Depth=3
	v_cmp_eq_u16_sdwa s72, v5, v62 src0_sel:BYTE_0 src1_sel:DWORD
	s_mov_b32 s16, -1
	s_and_saveexec_b32 s23, s72
; %bb.15504:                            ;   in Loop: Header=BB6_15495 Depth=3
	s_xor_b32 s16, exec_lo, -1
; %bb.15505:                            ;   in Loop: Header=BB6_15495 Depth=3
	s_or_b32 exec_lo, exec_lo, s23
	s_and_b32 s16, s16, exec_lo
	s_or_saveexec_b32 s22, s22
	v_mov_b32_e32 v16, 0x7f800001
	s_xor_b32 exec_lo, exec_lo, s22
	s_cbranch_execnz .LBB6_15532
.LBB6_15506:                            ;   in Loop: Header=BB6_15495 Depth=3
	s_or_b32 exec_lo, exec_lo, s22
	s_and_saveexec_b32 s22, s16
.LBB6_15507:                            ;   in Loop: Header=BB6_15495 Depth=3
	v_mov_b32_e32 v16, v4
.LBB6_15508:                            ;   in Loop: Header=BB6_15495 Depth=3
	s_or_b32 exec_lo, exec_lo, s22
	v_max_f32_e32 v16, v16, v16
	v_max_f32_e32 v15, v15, v15
	s_mov_b32 s16, 0
	v_max_f32_e32 v15, v15, v16
.LBB6_15509:                            ;   in Loop: Header=BB6_15495 Depth=3
	s_and_b32 vcc_lo, exec_lo, s16
	s_cbranch_vccz .LBB6_15523
; %bb.15510:                            ;   in Loop: Header=BB6_15495 Depth=3
	s_waitcnt vmcnt(0) lgkmcnt(0)
	v_cmp_gt_i16_sdwa s22, v14, v61 src0_sel:BYTE_0 src1_sel:DWORD
	s_mov_b32 s16, 0
	s_and_saveexec_b32 s23, s22
	s_xor_b32 s22, exec_lo, s23
	s_cbranch_execz .LBB6_15533
; %bb.15511:                            ;   in Loop: Header=BB6_15495 Depth=3
	v_cmp_eq_u16_sdwa s72, v14, v62 src0_sel:BYTE_0 src1_sel:DWORD
	s_mov_b32 s16, -1
	s_and_saveexec_b32 s23, s72
; %bb.15512:                            ;   in Loop: Header=BB6_15495 Depth=3
	s_xor_b32 s16, exec_lo, -1
; %bb.15513:                            ;   in Loop: Header=BB6_15495 Depth=3
	s_or_b32 exec_lo, exec_lo, s23
	s_and_b32 s16, s16, exec_lo
	s_or_saveexec_b32 s22, s22
	v_mov_b32_e32 v15, 0x7f800001
	s_xor_b32 exec_lo, exec_lo, s22
	s_cbranch_execnz .LBB6_15534
.LBB6_15514:                            ;   in Loop: Header=BB6_15495 Depth=3
	s_or_b32 exec_lo, exec_lo, s22
	s_and_saveexec_b32 s22, s16
	s_cbranch_execz .LBB6_15516
.LBB6_15515:                            ;   in Loop: Header=BB6_15495 Depth=3
	v_and_b32_e32 v15, 7, v14
	v_lshrrev_b16 v17, 3, v14
	v_ffbh_u32_e32 v16, v15
	v_and_b32_e32 v17, 15, v17
	v_min_u32_e32 v16, 32, v16
	v_cmp_eq_u32_e32 vcc_lo, 0, v17
	v_subrev_nc_u32_e32 v18, 28, v16
	v_sub_nc_u32_e32 v16, 29, v16
	v_lshlrev_b32_e32 v18, v18, v14
	v_lshlrev_b32_e32 v14, 24, v14
	v_cndmask_b32_e32 v16, v17, v16, vcc_lo
	v_and_b32_e32 v18, 7, v18
	v_and_b32_e32 v14, 0x80000000, v14
	v_lshl_add_u32 v16, v16, 23, 0x3b800000
	v_cndmask_b32_e32 v15, v15, v18, vcc_lo
	v_lshlrev_b32_e32 v15, 20, v15
	v_or3_b32 v15, v14, v16, v15
.LBB6_15516:                            ;   in Loop: Header=BB6_15495 Depth=3
	s_or_b32 exec_lo, exec_lo, s22
	v_cmp_gt_i16_sdwa s22, v5, v61 src0_sel:BYTE_0 src1_sel:DWORD
	s_mov_b32 s16, 0
	s_and_saveexec_b32 s23, s22
	s_xor_b32 s22, exec_lo, s23
	s_cbranch_execz .LBB6_15535
; %bb.15517:                            ;   in Loop: Header=BB6_15495 Depth=3
	v_cmp_eq_u16_sdwa s72, v5, v62 src0_sel:BYTE_0 src1_sel:DWORD
	s_mov_b32 s16, -1
	s_and_saveexec_b32 s23, s72
; %bb.15518:                            ;   in Loop: Header=BB6_15495 Depth=3
	s_xor_b32 s16, exec_lo, -1
; %bb.15519:                            ;   in Loop: Header=BB6_15495 Depth=3
	s_or_b32 exec_lo, exec_lo, s23
	s_and_b32 s16, s16, exec_lo
                                        ; implicit-def: $vgpr5
	s_or_saveexec_b32 s22, s22
	v_mov_b32_e32 v14, 0x7f800001
	s_xor_b32 exec_lo, exec_lo, s22
	s_cbranch_execnz .LBB6_15536
.LBB6_15520:                            ;   in Loop: Header=BB6_15495 Depth=3
	s_or_b32 exec_lo, exec_lo, s22
	s_and_saveexec_b32 s22, s16
.LBB6_15521:                            ;   in Loop: Header=BB6_15495 Depth=3
	v_mov_b32_e32 v14, v4
.LBB6_15522:                            ;   in Loop: Header=BB6_15495 Depth=3
	s_or_b32 exec_lo, exec_lo, s22
	v_max_f32_e32 v4, v14, v14
	v_max_f32_e32 v5, v15, v15
	v_min_f32_e32 v15, v5, v4
.LBB6_15523:                            ;   in Loop: Header=BB6_15495 Depth=3
	v_and_b32_e32 v4, 0x7f800000, v15
	v_cmp_ne_u32_e32 vcc_lo, 0x7f800000, v4
	v_mov_b32_e32 v4, 0x80
	s_and_saveexec_b32 s22, vcc_lo
	s_cbranch_execz .LBB6_15494
; %bb.15524:                            ;   in Loop: Header=BB6_15495 Depth=3
	v_mov_b32_e32 v4, 0
	s_mov_b32 s23, exec_lo
	v_cmpx_ne_u32_e32 0, v15
	s_cbranch_execz .LBB6_15493
; %bb.15525:                            ;   in Loop: Header=BB6_15495 Depth=3
	v_bfe_u32 v4, v15, 23, 8
	v_and_b32_e32 v5, 0x7fffff, v15
	s_waitcnt vmcnt(0) lgkmcnt(0)
	v_sub_nc_u32_e32 v14, 0x78, v4
	v_cmp_gt_u32_e32 vcc_lo, 0x79, v4
	v_or_b32_e32 v16, 0x800000, v5
	v_cndmask_b32_e32 v14, 0, v14, vcc_lo
	v_cmp_eq_u32_e32 vcc_lo, 0, v4
	v_add_nc_u32_e32 v4, 0xffffff89, v4
	v_cndmask_b32_e64 v14, v14, 0x77, vcc_lo
	v_cndmask_b32_e32 v5, v16, v5, vcc_lo
	v_cndmask_b32_e64 v4, v4, 0xffffff8a, vcc_lo
	v_lshl_add_u32 v16, 0x100000, v14, -1
	v_lshrrev_b32_e32 v17, v14, v5
	v_lshlrev_b32_e64 v19, v14, 0x80000
	v_add_nc_u32_e32 v14, v14, v4
	v_and_b32_e32 v5, v16, v5
	v_bfe_u32 v18, v17, 20, 1
	v_cmp_eq_u32_e64 s16, v5, v19
	v_add_nc_u32_e32 v16, -1, v18
	v_cndmask_b32_e64 v5, 0, v16, s16
	v_lshrrev_b32_e32 v16, 23, v17
	s_mov_b32 s16, exec_lo
	v_add_nc_u32_e32 v5, v5, v17
	v_xor_b32_e32 v16, 1, v16
	v_and_b32_e32 v4, 0xfffff, v5
	v_add_nc_u32_e32 v5, v4, v17
                                        ; implicit-def: $vgpr4
	v_cmpx_ne_u32_e64 v14, v16
	s_xor_b32 s16, exec_lo, s16
; %bb.15526:                            ;   in Loop: Header=BB6_15495 Depth=3
	v_cmp_lt_u32_e32 vcc_lo, 0xffffff, v5
	v_sub_nc_u32_e32 v4, v14, v16
	v_cndmask_b32_e64 v14, 0, 1, vcc_lo
	v_add_co_ci_u32_e64 v4, null, 0, v4, vcc_lo
	v_lshrrev_b32_e32 v5, v14, v5
; %bb.15527:                            ;   in Loop: Header=BB6_15495 Depth=3
	s_andn2_saveexec_b32 s16, s16
	s_cbranch_execz .LBB6_15492
; %bb.15528:                            ;   in Loop: Header=BB6_15495 Depth=3
	v_bfe_u32 v4, v5, 23, 1
	s_branch .LBB6_15492
.LBB6_15529:                            ;   in Loop: Header=BB6_15495 Depth=3
	s_or_saveexec_b32 s22, s22
	v_mov_b32_e32 v15, 0x7f800001
	s_xor_b32 exec_lo, exec_lo, s22
	s_cbranch_execz .LBB6_15500
.LBB6_15530:                            ;   in Loop: Header=BB6_15495 Depth=3
	v_cmp_ne_u16_sdwa s23, v14, v2 src0_sel:BYTE_0 src1_sel:DWORD
	v_mov_b32_e32 v15, 0
	s_andn2_b32 s16, s16, exec_lo
	s_and_b32 s23, s23, exec_lo
	s_or_b32 s16, s16, s23
	s_or_b32 exec_lo, exec_lo, s22
	s_and_saveexec_b32 s22, s16
	s_cbranch_execnz .LBB6_15501
	s_branch .LBB6_15502
.LBB6_15531:                            ;   in Loop: Header=BB6_15495 Depth=3
	s_or_saveexec_b32 s22, s22
	v_mov_b32_e32 v16, 0x7f800001
	s_xor_b32 exec_lo, exec_lo, s22
	s_cbranch_execz .LBB6_15506
.LBB6_15532:                            ;   in Loop: Header=BB6_15495 Depth=3
	v_cmp_ne_u16_sdwa s23, v5, v2 src0_sel:BYTE_0 src1_sel:DWORD
	v_mov_b32_e32 v16, 0
	s_andn2_b32 s16, s16, exec_lo
	s_and_b32 s23, s23, exec_lo
	s_or_b32 s16, s16, s23
	s_or_b32 exec_lo, exec_lo, s22
	s_and_saveexec_b32 s22, s16
	s_cbranch_execnz .LBB6_15507
	s_branch .LBB6_15508
.LBB6_15533:                            ;   in Loop: Header=BB6_15495 Depth=3
	s_or_saveexec_b32 s22, s22
	v_mov_b32_e32 v15, 0x7f800001
	s_xor_b32 exec_lo, exec_lo, s22
	s_cbranch_execz .LBB6_15514
.LBB6_15534:                            ;   in Loop: Header=BB6_15495 Depth=3
	v_cmp_ne_u16_sdwa s23, v14, v2 src0_sel:BYTE_0 src1_sel:DWORD
	v_mov_b32_e32 v15, 0
	s_andn2_b32 s16, s16, exec_lo
	s_and_b32 s23, s23, exec_lo
	s_or_b32 s16, s16, s23
	s_or_b32 exec_lo, exec_lo, s22
	s_and_saveexec_b32 s22, s16
	s_cbranch_execnz .LBB6_15515
	s_branch .LBB6_15516
.LBB6_15535:                            ;   in Loop: Header=BB6_15495 Depth=3
	s_or_saveexec_b32 s22, s22
	v_mov_b32_e32 v14, 0x7f800001
	s_xor_b32 exec_lo, exec_lo, s22
	s_cbranch_execz .LBB6_15520
.LBB6_15536:                            ;   in Loop: Header=BB6_15495 Depth=3
	v_cmp_ne_u16_sdwa s23, v5, v2 src0_sel:BYTE_0 src1_sel:DWORD
	v_mov_b32_e32 v14, 0
	s_andn2_b32 s16, s16, exec_lo
	s_and_b32 s23, s23, exec_lo
	s_or_b32 s16, s16, s23
	s_or_b32 exec_lo, exec_lo, s22
	s_and_saveexec_b32 s22, s16
	s_cbranch_execnz .LBB6_15521
	s_branch .LBB6_15522
.LBB6_15537:                            ;   in Loop: Header=BB6_5463 Depth=2
	s_or_b32 exec_lo, exec_lo, s17
	buffer_load_dword v5, off, s[0:3], s33 offset:216 ; 4-byte Folded Reload
.LBB6_15538:                            ;   in Loop: Header=BB6_5463 Depth=2
	s_waitcnt vmcnt(0)
	v_cmp_lt_i32_e64 s16, 0, v5
	s_and_saveexec_b32 s17, s6
	s_cbranch_execnz .LBB6_15539
; %bb.16217:                            ;   in Loop: Header=BB6_5463 Depth=2
	s_getpc_b64 s[34:35]
.Lpost_getpc49:
	s_add_u32 s34, s34, (.LBB6_5539-.Lpost_getpc49)&4294967295
	s_addc_u32 s35, s35, (.LBB6_5539-.Lpost_getpc49)>>32
	s_setpc_b64 s[34:35]
.LBB6_15539:                            ;   in Loop: Header=BB6_5463 Depth=2
	s_and_saveexec_b32 s18, s29
	s_xor_b32 s18, exec_lo, s18
	s_cbranch_execz .LBB6_15554
; %bb.15540:                            ;   in Loop: Header=BB6_5463 Depth=2
	s_and_saveexec_b32 s19, s11
	s_cbranch_execz .LBB6_15553
; %bb.15541:                            ;   in Loop: Header=BB6_5463 Depth=2
	s_mov_b32 s23, exec_lo
	s_mov_b32 s22, exec_lo
	v_mbcnt_lo_u32_b32 v1, s23, 0
	s_waitcnt vmcnt(0) lgkmcnt(0)
	s_waitcnt_vscnt null, 0x0
	buffer_gl1_inv
	buffer_gl0_inv
	v_cmpx_eq_u32_e32 0, v1
	s_cbranch_execz .LBB6_15543
; %bb.15542:                            ;   in Loop: Header=BB6_5463 Depth=2
	s_bcnt1_i32_b32 s23, s23
	v_mov_b32_e32 v5, v2
	v_mov_b32_e32 v4, s23
	ds_add_u64 v0, v[4:5]
	s_trap 2
.LBB6_15543:                            ;   in Loop: Header=BB6_5463 Depth=2
	s_or_b32 exec_lo, exec_lo, s22
	s_trap 2
	ds_read_b64 v[4:5], v0
	s_waitcnt lgkmcnt(0)
	buffer_gl0_inv
	v_add_co_u32 v70, vcc_lo, v70, v47
	v_add_co_ci_u32_e64 v71, null, 0, v71, vcc_lo
	s_mov_b32 s22, exec_lo
	v_cmpx_lt_u64_e64 v[4:5], v[70:71]
	s_cbranch_execz .LBB6_15552
; %bb.15544:                            ;   in Loop: Header=BB6_5463 Depth=2
	s_mov_b32 s23, 0
	s_mov_b32 s74, 0
                                        ; implicit-def: $sgpr72
                                        ; implicit-def: $sgpr73
	s_inst_prefetch 0x1
	s_branch .LBB6_15546
	.p2align	6
.LBB6_15545:                            ;   in Loop: Header=BB6_15546 Depth=3
	s_or_b32 exec_lo, exec_lo, s76
	s_and_b32 s75, exec_lo, s77
	s_or_b32 s23, s75, s23
	s_andn2_b32 s72, s72, exec_lo
	s_and_b32 s75, s73, exec_lo
	s_or_b32 s72, s72, s75
	s_andn2_b32 exec_lo, exec_lo, s23
	s_cbranch_execz .LBB6_15550
.LBB6_15546:                            ;   Parent Loop BB6_47 Depth=1
                                        ;     Parent Loop BB6_5463 Depth=2
                                        ; =>    This Inner Loop Header: Depth=3
	s_add_i32 s74, s74, 1
	s_cmpk_lg_i32 s74, 0x2710
	s_cselect_b32 s75, -1, 0
	s_and_b32 vcc_lo, exec_lo, s75
	s_cbranch_vccz .LBB6_15548
; %bb.15547:                            ;   in Loop: Header=BB6_15546 Depth=3
	s_mov_b32 s77, -1
	s_or_b32 s73, s73, exec_lo
	s_and_saveexec_b32 s76, s75
	s_cbranch_execz .LBB6_15545
	s_branch .LBB6_15549
	.p2align	6
.LBB6_15548:                            ;   in Loop: Header=BB6_15546 Depth=3
	s_trap 2
	ds_read_b64 v[4:5], v0
	s_andn2_b32 s75, s75, exec_lo
	s_mov_b32 s74, 0
	s_waitcnt lgkmcnt(0)
	flat_load_dword v1, v[4:5] glc dlc
	s_waitcnt vmcnt(0) lgkmcnt(0)
	buffer_gl1_inv
	buffer_gl0_inv
	v_cmp_eq_u32_e32 vcc_lo, 0, v1
	s_and_b32 s76, vcc_lo, exec_lo
	s_or_b32 s75, s75, s76
	s_mov_b32 s77, -1
	s_or_b32 s73, s73, exec_lo
	s_and_saveexec_b32 s76, s75
	s_cbranch_execz .LBB6_15545
.LBB6_15549:                            ;   in Loop: Header=BB6_15546 Depth=3
	s_sleep 1
	s_trap 2
	ds_read_b64 v[4:5], v0
	s_waitcnt lgkmcnt(0)
	buffer_gl0_inv
	s_andn2_b32 s73, s73, exec_lo
	v_cmp_ge_u64_e32 vcc_lo, v[4:5], v[70:71]
	s_orn2_b32 s77, vcc_lo, exec_lo
	s_branch .LBB6_15545
.LBB6_15550:                            ;   in Loop: Header=BB6_5463 Depth=2
	s_inst_prefetch 0x2
	s_or_b32 exec_lo, exec_lo, s23
	s_and_saveexec_b32 s23, s72
	s_xor_b32 s23, exec_lo, s23
	s_cbranch_execz .LBB6_15552
; %bb.15551:                            ;   in Loop: Header=BB6_5463 Depth=2
	ds_write_b32 v0, v59
	s_trap 2
.LBB6_15552:                            ;   in Loop: Header=BB6_5463 Depth=2
	s_or_b32 exec_lo, exec_lo, s22
	;;#ASMSTART
	s_wakeup
	;;#ASMEND
.LBB6_15553:                            ;   in Loop: Header=BB6_5463 Depth=2
	s_or_b32 exec_lo, exec_lo, s19
.LBB6_15554:                            ;   in Loop: Header=BB6_5463 Depth=2
	s_andn2_saveexec_b32 s18, s18
	s_cbranch_execz .LBB6_15556
; %bb.15555:                            ;   in Loop: Header=BB6_5463 Depth=2
	s_waitcnt vmcnt(0) lgkmcnt(0)
	s_waitcnt_vscnt null, 0x0
	buffer_gl1_inv
	buffer_gl0_inv
	s_barrier
.LBB6_15556:                            ;   in Loop: Header=BB6_5463 Depth=2
	s_or_b32 exec_lo, exec_lo, s18
	s_or_b32 exec_lo, exec_lo, s17
                                        ; implicit-def: $vgpr1
	s_and_saveexec_b32 s17, s15
	s_xor_b32 s17, exec_lo, s17
	s_cbranch_execz .LBB6_15557
; %bb.16219:                            ;   in Loop: Header=BB6_5463 Depth=2
	s_getpc_b64 s[34:35]
.Lpost_getpc50:
	s_add_u32 s34, s34, (.LBB6_5540-.Lpost_getpc50)&4294967295
	s_addc_u32 s35, s35, (.LBB6_5540-.Lpost_getpc50)>>32
	s_setpc_b64 s[34:35]
.LBB6_15557:                            ;   in Loop: Header=BB6_5463 Depth=2
	s_andn2_saveexec_b32 s16, s17
	s_cbranch_execz .LBB6_15576
.LBB6_15558:                            ;   in Loop: Header=BB6_5463 Depth=2
	s_and_saveexec_b32 s17, s29
	s_xor_b32 s17, exec_lo, s17
	s_cbranch_execz .LBB6_15573
; %bb.15559:                            ;   in Loop: Header=BB6_5463 Depth=2
	s_and_saveexec_b32 s18, s11
	s_cbranch_execz .LBB6_15572
; %bb.15560:                            ;   in Loop: Header=BB6_5463 Depth=2
	s_mov_b32 s22, exec_lo
	s_mov_b32 s19, exec_lo
	v_mbcnt_lo_u32_b32 v1, s22, 0
	;;#ASMSTART
	s_waitcnt lgkmcnt(0) vmcnt(0)
	;;#ASMEND
	v_cmpx_eq_u32_e32 0, v1
	s_cbranch_execz .LBB6_15562
; %bb.15561:                            ;   in Loop: Header=BB6_5463 Depth=2
	s_bcnt1_i32_b32 s22, s22
	v_mov_b32_e32 v5, v2
	v_mov_b32_e32 v4, s22
	s_waitcnt vmcnt(0) lgkmcnt(0)
	s_waitcnt_vscnt null, 0x0
	ds_add_u64 v0, v[4:5]
	s_trap 2
.LBB6_15562:                            ;   in Loop: Header=BB6_5463 Depth=2
	s_or_b32 exec_lo, exec_lo, s19
	s_trap 2
	ds_read_b64 v[4:5], v0
	s_waitcnt vmcnt(0) lgkmcnt(0)
	buffer_gl0_inv
	v_add_co_u32 v70, vcc_lo, v70, v47
	v_add_co_ci_u32_e64 v71, null, 0, v71, vcc_lo
	s_mov_b32 s19, exec_lo
	v_cmpx_lt_u64_e64 v[4:5], v[70:71]
	s_cbranch_execz .LBB6_15571
; %bb.15563:                            ;   in Loop: Header=BB6_5463 Depth=2
	s_mov_b32 s22, 0
	s_mov_b32 s73, 0
                                        ; implicit-def: $sgpr23
                                        ; implicit-def: $sgpr72
	s_inst_prefetch 0x1
	s_branch .LBB6_15565
	.p2align	6
.LBB6_15564:                            ;   in Loop: Header=BB6_15565 Depth=3
	s_or_b32 exec_lo, exec_lo, s75
	s_and_b32 s74, exec_lo, s76
	s_or_b32 s22, s74, s22
	s_andn2_b32 s23, s23, exec_lo
	s_and_b32 s74, s72, exec_lo
	s_or_b32 s23, s23, s74
	s_andn2_b32 exec_lo, exec_lo, s22
	s_cbranch_execz .LBB6_15569
.LBB6_15565:                            ;   Parent Loop BB6_47 Depth=1
                                        ;     Parent Loop BB6_5463 Depth=2
                                        ; =>    This Inner Loop Header: Depth=3
	s_add_i32 s73, s73, 1
	s_cmpk_lg_i32 s73, 0x2710
	s_cselect_b32 s74, -1, 0
	s_and_b32 vcc_lo, exec_lo, s74
	s_cbranch_vccz .LBB6_15567
; %bb.15566:                            ;   in Loop: Header=BB6_15565 Depth=3
	s_mov_b32 s76, -1
	s_or_b32 s72, s72, exec_lo
	s_and_saveexec_b32 s75, s74
	s_cbranch_execz .LBB6_15564
	s_branch .LBB6_15568
	.p2align	6
.LBB6_15567:                            ;   in Loop: Header=BB6_15565 Depth=3
	s_trap 2
	ds_read_b64 v[4:5], v0
	s_andn2_b32 s74, s74, exec_lo
	s_mov_b32 s73, 0
	s_waitcnt lgkmcnt(0)
	s_waitcnt_vscnt null, 0x0
	flat_load_dword v1, v[4:5] glc dlc
	s_waitcnt vmcnt(0) lgkmcnt(0)
	buffer_gl1_inv
	buffer_gl0_inv
	v_cmp_eq_u32_e32 vcc_lo, 0, v1
	s_and_b32 s75, vcc_lo, exec_lo
	s_or_b32 s74, s74, s75
	s_mov_b32 s76, -1
	s_or_b32 s72, s72, exec_lo
	s_and_saveexec_b32 s75, s74
	s_cbranch_execz .LBB6_15564
.LBB6_15568:                            ;   in Loop: Header=BB6_15565 Depth=3
	s_sleep 1
	s_trap 2
	ds_read_b64 v[4:5], v0
	s_waitcnt lgkmcnt(0)
	buffer_gl0_inv
	s_andn2_b32 s72, s72, exec_lo
	v_cmp_ge_u64_e32 vcc_lo, v[4:5], v[70:71]
	s_orn2_b32 s76, vcc_lo, exec_lo
	s_branch .LBB6_15564
.LBB6_15569:                            ;   in Loop: Header=BB6_5463 Depth=2
	s_inst_prefetch 0x2
	s_or_b32 exec_lo, exec_lo, s22
	s_and_saveexec_b32 s22, s23
	s_xor_b32 s22, exec_lo, s22
	s_cbranch_execz .LBB6_15571
; %bb.15570:                            ;   in Loop: Header=BB6_5463 Depth=2
	ds_write_b32 v0, v59
	s_trap 2
.LBB6_15571:                            ;   in Loop: Header=BB6_5463 Depth=2
	s_or_b32 exec_lo, exec_lo, s19
	;;#ASMSTART
	s_wakeup
	;;#ASMEND
.LBB6_15572:                            ;   in Loop: Header=BB6_5463 Depth=2
	s_or_b32 exec_lo, exec_lo, s18
.LBB6_15573:                            ;   in Loop: Header=BB6_5463 Depth=2
	s_andn2_saveexec_b32 s17, s17
	s_cbranch_execz .LBB6_15575
; %bb.15574:                            ;   in Loop: Header=BB6_5463 Depth=2
	;;#ASMSTART
	s_waitcnt lgkmcnt(0) vmcnt(0)
	;;#ASMEND
	s_barrier
.LBB6_15575:                            ;   in Loop: Header=BB6_5463 Depth=2
	s_or_b32 exec_lo, exec_lo, s17
	v_and_b32_e32 v1, 16, v44
.LBB6_15576:                            ;   in Loop: Header=BB6_5463 Depth=2
	s_or_b32 exec_lo, exec_lo, s16
	v_cmp_ne_u32_e32 vcc_lo, 0, v1
	s_xor_b32 s16, s7, -1
	s_and_b32 s17, vcc_lo, s16
	s_and_saveexec_b32 s16, s17
	s_cbranch_execz .LBB6_15578
; %bb.15577:                            ;   in Loop: Header=BB6_5463 Depth=2
	s_waitcnt vmcnt(0) lgkmcnt(0)
	s_waitcnt_vscnt null, 0x0
	flat_store_dword v[68:69], v59
.LBB6_15578:                            ;   in Loop: Header=BB6_5463 Depth=2
	s_or_b32 exec_lo, exec_lo, s16
	v_and_b32_e32 v1, 48, v44
	s_mov_b32 s16, exec_lo
	v_cmpx_ne_u32_e32 0, v1
	s_cbranch_execnz .LBB6_15579
; %bb.16221:                            ;   in Loop: Header=BB6_5463 Depth=2
	s_getpc_b64 s[34:35]
.Lpost_getpc51:
	s_add_u32 s34, s34, (.LBB6_5462-.Lpost_getpc51)&4294967295
	s_addc_u32 s35, s35, (.LBB6_5462-.Lpost_getpc51)>>32
	s_setpc_b64 s[34:35]
.LBB6_15579:                            ;   in Loop: Header=BB6_5463 Depth=2
	v_add_co_u32 v96, vcc_lo, v96, 2
	v_add_co_ci_u32_e64 v97, null, 0, v97, vcc_lo
	s_waitcnt vmcnt(0) lgkmcnt(0)
	s_waitcnt_vscnt null, 0x0
	flat_store_dwordx2 v[64:65], v[96:97]
; %bb.16169:                            ;   in Loop: Header=BB6_5463 Depth=2
	s_getpc_b64 s[34:35]
.Lpost_getpc25:
	s_add_u32 s34, s34, (.LBB6_5462-.Lpost_getpc25)&4294967295
	s_addc_u32 s35, s35, (.LBB6_5462-.Lpost_getpc25)>>32
	s_setpc_b64 s[34:35]
.LBB6_15580:                            ;   in Loop: Header=BB6_47 Depth=1
	s_or_b32 exec_lo, exec_lo, s61
.LBB6_15581:                            ;   in Loop: Header=BB6_47 Depth=1
	s_or_b32 exec_lo, exec_lo, s21
	s_mov_b32 s17, exec_lo
	v_cmpx_gt_i32_e32 2, v1
	s_cbranch_execz .LBB6_15657
; %bb.15582:                            ;   in Loop: Header=BB6_47 Depth=1
	v_cmp_eq_u32_e64 s19, 0, v1
	s_mov_b32 s18, 0
	s_branch .LBB6_15584
.LBB6_15583:                            ;   in Loop: Header=BB6_15584 Depth=2
	s_or_b32 exec_lo, exec_lo, s16
	v_add_nc_u32_e32 v103, v100, v103
	s_mov_b32 s19, 0
	s_andn2_b32 exec_lo, exec_lo, s18
	s_cbranch_execz .LBB6_15656
.LBB6_15584:                            ;   Parent Loop BB6_47 Depth=1
                                        ; =>  This Loop Header: Depth=2
                                        ;       Child Loop BB6_15590 Depth 3
                                        ;       Child Loop BB6_15618 Depth 3
	;; [unrolled: 1-line block ×3, first 2 shown]
	v_sub_nc_u32_e32 v1, v3, v103
	v_and_b32_e32 v4, 12, v44
	s_mov_b32 s21, exec_lo
	v_min_i32_e32 v100, v100, v1
	v_cmpx_ne_u32_e32 0, v4
	s_cbranch_execz .LBB6_15610
; %bb.15585:                            ;   in Loop: Header=BB6_15584 Depth=2
	v_and_b32_e32 v1, 8, v44
	s_mov_b32 s22, exec_lo
	s_waitcnt vmcnt(0) lgkmcnt(1)
	v_add_co_u32 v4, vcc_lo, v80, v1
	v_add_co_ci_u32_e64 v5, null, 0, v81, vcc_lo
	v_add_co_u32 v8, vcc_lo, v96, 2
	v_add_co_ci_u32_e64 v9, null, 0, v97, vcc_lo
	v_cmpx_lt_u64_e64 v[4:5], v[8:9]
	s_cbranch_execz .LBB6_15597
; %bb.15586:                            ;   in Loop: Header=BB6_15584 Depth=2
	v_and_b32_e32 v4, 64, v44
	s_mov_b32 s23, 0
	s_mov_b32 s72, 0
                                        ; implicit-def: $sgpr61
                                        ; implicit-def: $sgpr62
                                        ; implicit-def: $sgpr63
	v_cmp_eq_u32_e32 vcc_lo, 0, v4
	s_branch .LBB6_15590
.LBB6_15587:                            ;   in Loop: Header=BB6_15590 Depth=3
	s_waitcnt vmcnt(0) lgkmcnt(0)
	v_add_co_u32 v10, s16, v80, v1
	v_add_co_ci_u32_e64 v11, null, 0, v81, s16
	s_or_b32 s75, s75, exec_lo
	v_cmp_ge_u64_e64 s16, v[10:11], v[8:9]
	s_orn2_b32 s74, s16, exec_lo
.LBB6_15588:                            ;   in Loop: Header=BB6_15590 Depth=3
	s_or_b32 exec_lo, exec_lo, s77
	s_andn2_b32 s16, s63, exec_lo
	s_and_b32 s63, s75, exec_lo
	s_andn2_b32 s62, s62, exec_lo
	s_and_b32 s74, s74, exec_lo
	s_or_b32 s63, s16, s63
	s_or_b32 s62, s62, s74
.LBB6_15589:                            ;   in Loop: Header=BB6_15590 Depth=3
	s_or_b32 exec_lo, exec_lo, s73
	s_and_b32 s16, exec_lo, s62
	s_or_b32 s23, s16, s23
	s_andn2_b32 s16, s61, exec_lo
	s_and_b32 s61, s63, exec_lo
	s_or_b32 s61, s16, s61
	s_andn2_b32 exec_lo, exec_lo, s23
	s_cbranch_execz .LBB6_15594
.LBB6_15590:                            ;   Parent Loop BB6_47 Depth=1
                                        ;     Parent Loop BB6_15584 Depth=2
                                        ; =>    This Inner Loop Header: Depth=3
	s_sleep 1
	s_waitcnt vmcnt(0) lgkmcnt(0)
	flat_load_dwordx2 v[80:81], v[64:65] glc dlc
	s_or_b32 s63, s63, exec_lo
	s_or_b32 s62, s62, exec_lo
                                        ; implicit-def: $vgpr4
	s_and_saveexec_b32 s73, vcc_lo
	s_cbranch_execz .LBB6_15589
; %bb.15591:                            ;   in Loop: Header=BB6_15590 Depth=3
	s_cmpk_lt_i32 s72, 0x270f
	s_mov_b32 s74, -1
	s_cselect_b32 s76, -1, 0
	s_cmpk_gt_i32 s72, 0x270e
	s_cbranch_scc0 .LBB6_15593
; %bb.15592:                            ;   in Loop: Header=BB6_15590 Depth=3
	s_trap 2
	ds_read_b64 v[4:5], v0
	s_andn2_b32 s72, s76, exec_lo
	s_mov_b32 s75, 0
	s_waitcnt vmcnt(0) lgkmcnt(0)
	s_waitcnt_vscnt null, 0x0
	flat_load_dword v4, v[4:5] glc dlc
	s_waitcnt vmcnt(0) lgkmcnt(0)
	buffer_gl1_inv
	buffer_gl0_inv
	v_cmp_eq_u32_e64 s16, 0, v4
	s_and_b32 s16, s16, exec_lo
	s_or_b32 s76, s72, s16
	s_mov_b32 s72, 0
	s_and_saveexec_b32 s77, s76
	s_cbranch_execz .LBB6_15588
	s_branch .LBB6_15587
.LBB6_15593:                            ;   in Loop: Header=BB6_15590 Depth=3
	s_add_i32 s72, s72, 1
	s_mov_b32 s75, -1
                                        ; implicit-def: $vgpr4
	s_and_saveexec_b32 s77, s76
	s_cbranch_execz .LBB6_15588
	s_branch .LBB6_15587
.LBB6_15594:                            ;   in Loop: Header=BB6_15584 Depth=2
	s_or_b32 exec_lo, exec_lo, s23
	s_xor_b32 s16, s61, -1
	s_and_saveexec_b32 s23, s16
	s_xor_b32 s16, exec_lo, s23
	s_cbranch_execz .LBB6_15596
; %bb.15595:                            ;   in Loop: Header=BB6_15584 Depth=2
	v_or_b32_e32 v44, 64, v44
	s_waitcnt vmcnt(0) lgkmcnt(0)
	s_waitcnt_vscnt null, 0x0
	ds_write_b32 v0, v4
	s_trap 2
.LBB6_15596:                            ;   in Loop: Header=BB6_15584 Depth=2
	s_or_b32 exec_lo, exec_lo, s16
.LBB6_15597:                            ;   in Loop: Header=BB6_15584 Depth=2
	s_or_b32 exec_lo, exec_lo, s22
	v_and_b32_e32 v4, 0x108, v44
	s_mov_b32 s16, exec_lo
	;;#ASMSTART
	s_wakeup
	;;#ASMEND
                                        ; implicit-def: $vgpr10_vgpr11
	v_cmpx_ne_u32_e32 0x108, v4
	s_xor_b32 s16, exec_lo, s16
; %bb.15598:                            ;   in Loop: Header=BB6_15584 Depth=2
	v_and_b32_e32 v10, 7, v96
	v_mov_b32_e32 v11, v2
                                        ; implicit-def: $vgpr96_vgpr97
; %bb.15599:                            ;   in Loop: Header=BB6_15584 Depth=2
	s_andn2_saveexec_b32 s16, s16
	s_cbranch_execz .LBB6_15601
; %bb.15600:                            ;   in Loop: Header=BB6_15584 Depth=2
	v_and_b32_e32 v10, 7, v96
	v_ashrrev_i32_e32 v101, 31, v100
	v_mov_b32_e32 v11, v2
	v_mad_u64_u32 v[4:5], null, v10, 24, v[6:7]
	flat_store_dwordx2 v[4:5], v[100:101] offset:8
.LBB6_15601:                            ;   in Loop: Header=BB6_15584 Depth=2
	s_or_b32 exec_lo, exec_lo, s16
	v_and_b32_e32 v4, 0x100, v44
	s_mov_b32 s16, -1
	s_mov_b32 s22, exec_lo
                                        ; implicit-def: $vgpr12_vgpr13
	v_cmpx_ne_u32_e32 0, v4
	s_cbranch_execz .LBB6_15605
; %bb.15602:                            ;   in Loop: Header=BB6_15584 Depth=2
	v_mad_u64_u32 v[14:15], null, v10, 24, v[6:7]
	s_mov_b32 s23, exec_lo
                                        ; implicit-def: $vgpr12_vgpr13
	v_mov_b32_e32 v4, v15
	v_mad_u64_u32 v[4:5], null, v11, 24, v[4:5]
	v_mov_b32_e32 v15, v4
	flat_load_dword v4, v[14:15]
	s_waitcnt vmcnt(0) lgkmcnt(0)
	v_cmp_ne_u32_e32 vcc_lo, 1, v4
	v_cmpx_eq_u32_e32 1, v4
	s_cbranch_execz .LBB6_15604
; %bb.15603:                            ;   in Loop: Header=BB6_15584 Depth=2
	flat_load_dword v12, v[14:15] offset:4 glc dlc
	s_waitcnt vmcnt(0) lgkmcnt(0)
	v_ashrrev_i32_e32 v13, 31, v12
.LBB6_15604:                            ;   in Loop: Header=BB6_15584 Depth=2
	s_or_b32 exec_lo, exec_lo, s23
	s_orn2_b32 s16, vcc_lo, exec_lo
.LBB6_15605:                            ;   in Loop: Header=BB6_15584 Depth=2
	s_or_b32 exec_lo, exec_lo, s22
	s_and_saveexec_b32 s22, s16
	s_cbranch_execz .LBB6_15607
; %bb.15606:                            ;   in Loop: Header=BB6_15584 Depth=2
	v_ashrrev_i32_e32 v5, 31, v45
	v_mul_lo_u32 v4, v11, v45
	v_mad_u64_u32 v[12:13], null, v10, v45, 0
	v_mul_lo_u32 v5, v10, v5
	v_add3_u32 v13, v13, v5, v4
.LBB6_15607:                            ;   in Loop: Header=BB6_15584 Depth=2
	s_or_b32 exec_lo, exec_lo, s22
	v_cmp_eq_u32_e32 vcc_lo, 0, v1
	v_mov_b32_e32 v1, 0x90
	v_and_b32_e32 v10, 0x2000, v44
	s_mov_b32 s16, exec_lo
	v_cndmask_b32_e32 v1, 0xd0, v1, vcc_lo
	v_add_co_u32 v4, vcc_lo, v66, v12
	v_add_co_ci_u32_e64 v5, null, v67, v13, vcc_lo
	v_add_nc_u32_e32 v1, v0, v1
	ds_write_b64 v1, v[4:5] offset:584
	v_cmpx_ne_u32_e32 0, v10
	s_cbranch_execz .LBB6_15609
; %bb.15608:                            ;   in Loop: Header=BB6_15584 Depth=2
	ds_read_b64 v[4:5], v0 offset:872
	s_waitcnt lgkmcnt(0)
	v_add_co_u32 v4, vcc_lo, v4, 1
	v_add_co_ci_u32_e64 v5, null, 0, v5, vcc_lo
	ds_write_b64 v0, v[4:5] offset:872
.LBB6_15609:                            ;   in Loop: Header=BB6_15584 Depth=2
	s_or_b32 exec_lo, exec_lo, s16
	v_mov_b32_e32 v97, v9
	v_mov_b32_e32 v96, v8
.LBB6_15610:                            ;   in Loop: Header=BB6_15584 Depth=2
	s_or_b32 exec_lo, exec_lo, s21
	s_xor_b32 s16, s19, -1
	s_and_b32 s16, exec_lo, s16
	s_or_b32 s18, s16, s18
	s_and_saveexec_b32 s16, s6
	s_cbranch_execz .LBB6_15629
; %bb.15611:                            ;   in Loop: Header=BB6_15584 Depth=2
	s_and_saveexec_b32 s19, s29
	s_xor_b32 s19, exec_lo, s19
	s_cbranch_execz .LBB6_15626
; %bb.15612:                            ;   in Loop: Header=BB6_15584 Depth=2
	s_and_saveexec_b32 s21, s11
	s_cbranch_execz .LBB6_15625
; %bb.15613:                            ;   in Loop: Header=BB6_15584 Depth=2
	s_mov_b32 s23, exec_lo
	s_mov_b32 s22, exec_lo
	v_mbcnt_lo_u32_b32 v1, s23, 0
	s_waitcnt vmcnt(0) lgkmcnt(0)
	s_waitcnt_vscnt null, 0x0
	buffer_gl1_inv
	buffer_gl0_inv
	v_cmpx_eq_u32_e32 0, v1
	s_cbranch_execz .LBB6_15615
; %bb.15614:                            ;   in Loop: Header=BB6_15584 Depth=2
	s_bcnt1_i32_b32 s23, s23
	v_mov_b32_e32 v5, v2
	v_mov_b32_e32 v4, s23
	ds_add_u64 v0, v[4:5]
	s_trap 2
.LBB6_15615:                            ;   in Loop: Header=BB6_15584 Depth=2
	s_or_b32 exec_lo, exec_lo, s22
	s_trap 2
	ds_read_b64 v[4:5], v0
	s_waitcnt lgkmcnt(0)
	buffer_gl0_inv
	v_add_co_u32 v70, vcc_lo, v70, v47
	v_add_co_ci_u32_e64 v71, null, 0, v71, vcc_lo
	s_mov_b32 s22, exec_lo
	v_cmpx_lt_u64_e64 v[4:5], v[70:71]
	s_cbranch_execz .LBB6_15624
; %bb.15616:                            ;   in Loop: Header=BB6_15584 Depth=2
	s_mov_b32 s23, 0
	s_mov_b32 s63, 0
                                        ; implicit-def: $sgpr61
                                        ; implicit-def: $sgpr62
	s_inst_prefetch 0x1
	s_branch .LBB6_15618
	.p2align	6
.LBB6_15617:                            ;   in Loop: Header=BB6_15618 Depth=3
	s_or_b32 exec_lo, exec_lo, s73
	s_and_b32 s72, exec_lo, s74
	s_or_b32 s23, s72, s23
	s_andn2_b32 s61, s61, exec_lo
	s_and_b32 s72, s62, exec_lo
	s_or_b32 s61, s61, s72
	s_andn2_b32 exec_lo, exec_lo, s23
	s_cbranch_execz .LBB6_15622
.LBB6_15618:                            ;   Parent Loop BB6_47 Depth=1
                                        ;     Parent Loop BB6_15584 Depth=2
                                        ; =>    This Inner Loop Header: Depth=3
	s_add_i32 s63, s63, 1
	s_cmpk_lg_i32 s63, 0x2710
	s_cselect_b32 s72, -1, 0
	s_and_b32 vcc_lo, exec_lo, s72
	s_cbranch_vccz .LBB6_15620
; %bb.15619:                            ;   in Loop: Header=BB6_15618 Depth=3
	s_mov_b32 s74, -1
	s_or_b32 s62, s62, exec_lo
	s_and_saveexec_b32 s73, s72
	s_cbranch_execz .LBB6_15617
	s_branch .LBB6_15621
	.p2align	6
.LBB6_15620:                            ;   in Loop: Header=BB6_15618 Depth=3
	s_trap 2
	ds_read_b64 v[4:5], v0
	s_andn2_b32 s72, s72, exec_lo
	s_mov_b32 s63, 0
	s_waitcnt lgkmcnt(0)
	flat_load_dword v1, v[4:5] glc dlc
	s_waitcnt vmcnt(0) lgkmcnt(0)
	buffer_gl1_inv
	buffer_gl0_inv
	v_cmp_eq_u32_e32 vcc_lo, 0, v1
	s_and_b32 s73, vcc_lo, exec_lo
	s_or_b32 s72, s72, s73
	s_mov_b32 s74, -1
	s_or_b32 s62, s62, exec_lo
	s_and_saveexec_b32 s73, s72
	s_cbranch_execz .LBB6_15617
.LBB6_15621:                            ;   in Loop: Header=BB6_15618 Depth=3
	s_sleep 1
	s_trap 2
	ds_read_b64 v[4:5], v0
	s_waitcnt lgkmcnt(0)
	buffer_gl0_inv
	s_andn2_b32 s62, s62, exec_lo
	v_cmp_ge_u64_e32 vcc_lo, v[4:5], v[70:71]
	s_orn2_b32 s74, vcc_lo, exec_lo
	s_branch .LBB6_15617
.LBB6_15622:                            ;   in Loop: Header=BB6_15584 Depth=2
	s_inst_prefetch 0x2
	s_or_b32 exec_lo, exec_lo, s23
	s_and_saveexec_b32 s23, s61
	s_xor_b32 s23, exec_lo, s23
	s_cbranch_execz .LBB6_15624
; %bb.15623:                            ;   in Loop: Header=BB6_15584 Depth=2
	ds_write_b32 v0, v59
	s_trap 2
.LBB6_15624:                            ;   in Loop: Header=BB6_15584 Depth=2
	s_or_b32 exec_lo, exec_lo, s22
	;;#ASMSTART
	s_wakeup
	;;#ASMEND
.LBB6_15625:                            ;   in Loop: Header=BB6_15584 Depth=2
	s_or_b32 exec_lo, exec_lo, s21
.LBB6_15626:                            ;   in Loop: Header=BB6_15584 Depth=2
	s_andn2_saveexec_b32 s19, s19
	s_cbranch_execz .LBB6_15628
; %bb.15627:                            ;   in Loop: Header=BB6_15584 Depth=2
	s_waitcnt vmcnt(0) lgkmcnt(0)
	s_waitcnt_vscnt null, 0x0
	buffer_gl1_inv
	buffer_gl0_inv
	s_barrier
.LBB6_15628:                            ;   in Loop: Header=BB6_15584 Depth=2
	s_or_b32 exec_lo, exec_lo, s19
.LBB6_15629:                            ;   in Loop: Header=BB6_15584 Depth=2
	s_or_b32 exec_lo, exec_lo, s16
                                        ; implicit-def: $vgpr1
	s_and_saveexec_b32 s16, s15
	s_xor_b32 s19, exec_lo, s16
	s_cbranch_execz .LBB6_15633
; %bb.15630:                            ;   in Loop: Header=BB6_15584 Depth=2
	s_trap 2
	ds_read_b32 v1, v0
	v_cmp_lt_i32_e32 vcc_lo, 0, v100
	s_waitcnt lgkmcnt(0)
	v_readfirstlane_b32 s16, v1
	v_and_b32_e32 v1, 16, v44
	s_cmp_eq_u32 s16, 0
	v_cmp_ne_u32_e64 s16, 0, v1
	s_cselect_b32 s21, -1, 0
	v_and_b32_e32 v1, 16, v44
	s_and_b32 s21, vcc_lo, s21
	s_and_b32 s21, s16, s21
	s_and_saveexec_b32 s16, s21
	s_cbranch_execz .LBB6_15632
; %bb.15631:                            ;   in Loop: Header=BB6_15584 Depth=2
	v_mov_b32_e32 v1, 1
	s_waitcnt vmcnt(0)
	s_waitcnt_vscnt null, 0x0
	buffer_gl1_inv
	buffer_gl0_inv
.LBB6_15632:                            ;   in Loop: Header=BB6_15584 Depth=2
	s_or_b32 exec_lo, exec_lo, s16
	s_andn2_saveexec_b32 s16, s19
	s_cbranch_execz .LBB6_15652
	s_branch .LBB6_15634
.LBB6_15633:                            ;   in Loop: Header=BB6_15584 Depth=2
	s_andn2_saveexec_b32 s16, s19
	s_cbranch_execz .LBB6_15652
.LBB6_15634:                            ;   in Loop: Header=BB6_15584 Depth=2
	s_and_saveexec_b32 s19, s29
	s_xor_b32 s19, exec_lo, s19
	s_cbranch_execz .LBB6_15649
; %bb.15635:                            ;   in Loop: Header=BB6_15584 Depth=2
	s_and_saveexec_b32 s21, s11
	s_cbranch_execz .LBB6_15648
; %bb.15636:                            ;   in Loop: Header=BB6_15584 Depth=2
	s_mov_b32 s23, exec_lo
	s_mov_b32 s22, exec_lo
	v_mbcnt_lo_u32_b32 v1, s23, 0
	;;#ASMSTART
	s_waitcnt lgkmcnt(0) vmcnt(0)
	;;#ASMEND
	v_cmpx_eq_u32_e32 0, v1
	s_cbranch_execz .LBB6_15638
; %bb.15637:                            ;   in Loop: Header=BB6_15584 Depth=2
	s_bcnt1_i32_b32 s23, s23
	v_mov_b32_e32 v5, v2
	v_mov_b32_e32 v4, s23
	s_waitcnt vmcnt(0) lgkmcnt(0)
	s_waitcnt_vscnt null, 0x0
	ds_add_u64 v0, v[4:5]
	s_trap 2
.LBB6_15638:                            ;   in Loop: Header=BB6_15584 Depth=2
	s_or_b32 exec_lo, exec_lo, s22
	s_trap 2
	ds_read_b64 v[4:5], v0
	s_waitcnt vmcnt(0) lgkmcnt(0)
	buffer_gl0_inv
	v_add_co_u32 v70, vcc_lo, v70, v47
	v_add_co_ci_u32_e64 v71, null, 0, v71, vcc_lo
	s_mov_b32 s22, exec_lo
	v_cmpx_lt_u64_e64 v[4:5], v[70:71]
	s_cbranch_execz .LBB6_15647
; %bb.15639:                            ;   in Loop: Header=BB6_15584 Depth=2
	s_mov_b32 s23, 0
	s_mov_b32 s63, 0
                                        ; implicit-def: $sgpr61
                                        ; implicit-def: $sgpr62
	s_inst_prefetch 0x1
	s_branch .LBB6_15641
	.p2align	6
.LBB6_15640:                            ;   in Loop: Header=BB6_15641 Depth=3
	s_or_b32 exec_lo, exec_lo, s73
	s_and_b32 s72, exec_lo, s74
	s_or_b32 s23, s72, s23
	s_andn2_b32 s61, s61, exec_lo
	s_and_b32 s72, s62, exec_lo
	s_or_b32 s61, s61, s72
	s_andn2_b32 exec_lo, exec_lo, s23
	s_cbranch_execz .LBB6_15645
.LBB6_15641:                            ;   Parent Loop BB6_47 Depth=1
                                        ;     Parent Loop BB6_15584 Depth=2
                                        ; =>    This Inner Loop Header: Depth=3
	s_add_i32 s63, s63, 1
	s_cmpk_lg_i32 s63, 0x2710
	s_cselect_b32 s72, -1, 0
	s_and_b32 vcc_lo, exec_lo, s72
	s_cbranch_vccz .LBB6_15643
; %bb.15642:                            ;   in Loop: Header=BB6_15641 Depth=3
	s_mov_b32 s74, -1
	s_or_b32 s62, s62, exec_lo
	s_and_saveexec_b32 s73, s72
	s_cbranch_execz .LBB6_15640
	s_branch .LBB6_15644
	.p2align	6
.LBB6_15643:                            ;   in Loop: Header=BB6_15641 Depth=3
	s_trap 2
	ds_read_b64 v[4:5], v0
	s_andn2_b32 s72, s72, exec_lo
	s_mov_b32 s63, 0
	s_waitcnt lgkmcnt(0)
	s_waitcnt_vscnt null, 0x0
	flat_load_dword v1, v[4:5] glc dlc
	s_waitcnt vmcnt(0) lgkmcnt(0)
	buffer_gl1_inv
	buffer_gl0_inv
	v_cmp_eq_u32_e32 vcc_lo, 0, v1
	s_and_b32 s73, vcc_lo, exec_lo
	s_or_b32 s72, s72, s73
	s_mov_b32 s74, -1
	s_or_b32 s62, s62, exec_lo
	s_and_saveexec_b32 s73, s72
	s_cbranch_execz .LBB6_15640
.LBB6_15644:                            ;   in Loop: Header=BB6_15641 Depth=3
	s_sleep 1
	s_trap 2
	ds_read_b64 v[4:5], v0
	s_waitcnt lgkmcnt(0)
	buffer_gl0_inv
	s_andn2_b32 s62, s62, exec_lo
	v_cmp_ge_u64_e32 vcc_lo, v[4:5], v[70:71]
	s_orn2_b32 s74, vcc_lo, exec_lo
	s_branch .LBB6_15640
.LBB6_15645:                            ;   in Loop: Header=BB6_15584 Depth=2
	s_inst_prefetch 0x2
	s_or_b32 exec_lo, exec_lo, s23
	s_and_saveexec_b32 s23, s61
	s_xor_b32 s23, exec_lo, s23
	s_cbranch_execz .LBB6_15647
; %bb.15646:                            ;   in Loop: Header=BB6_15584 Depth=2
	ds_write_b32 v0, v59
	s_trap 2
.LBB6_15647:                            ;   in Loop: Header=BB6_15584 Depth=2
	s_or_b32 exec_lo, exec_lo, s22
	;;#ASMSTART
	s_wakeup
	;;#ASMEND
.LBB6_15648:                            ;   in Loop: Header=BB6_15584 Depth=2
	s_or_b32 exec_lo, exec_lo, s21
.LBB6_15649:                            ;   in Loop: Header=BB6_15584 Depth=2
	s_andn2_saveexec_b32 s19, s19
	s_cbranch_execz .LBB6_15651
; %bb.15650:                            ;   in Loop: Header=BB6_15584 Depth=2
	;;#ASMSTART
	s_waitcnt lgkmcnt(0) vmcnt(0)
	;;#ASMEND
	s_barrier
.LBB6_15651:                            ;   in Loop: Header=BB6_15584 Depth=2
	s_or_b32 exec_lo, exec_lo, s19
	v_and_b32_e32 v1, 16, v44
.LBB6_15652:                            ;   in Loop: Header=BB6_15584 Depth=2
	s_or_b32 exec_lo, exec_lo, s16
	v_cmp_ne_u32_e32 vcc_lo, 0, v1
	s_xor_b32 s16, s7, -1
	s_and_b32 s19, vcc_lo, s16
	s_and_saveexec_b32 s16, s19
	s_cbranch_execz .LBB6_15654
; %bb.15653:                            ;   in Loop: Header=BB6_15584 Depth=2
	s_waitcnt vmcnt(0) lgkmcnt(0)
	s_waitcnt_vscnt null, 0x0
	flat_store_dword v[68:69], v59
.LBB6_15654:                            ;   in Loop: Header=BB6_15584 Depth=2
	s_or_b32 exec_lo, exec_lo, s16
	v_and_b32_e32 v1, 48, v44
	s_mov_b32 s16, exec_lo
	v_cmpx_ne_u32_e32 0, v1
	s_cbranch_execz .LBB6_15583
; %bb.15655:                            ;   in Loop: Header=BB6_15584 Depth=2
	v_add_co_u32 v96, vcc_lo, v96, 2
	v_add_co_ci_u32_e64 v97, null, 0, v97, vcc_lo
	s_waitcnt vmcnt(0) lgkmcnt(0)
	s_waitcnt_vscnt null, 0x0
	flat_store_dwordx2 v[64:65], v[96:97]
	s_branch .LBB6_15583
.LBB6_15656:                            ;   in Loop: Header=BB6_47 Depth=1
	s_or_b32 exec_lo, exec_lo, s18
.LBB6_15657:                            ;   in Loop: Header=BB6_47 Depth=1
	s_or_b32 exec_lo, exec_lo, s17
	v_ashrrev_i32_e32 v102, 31, v45
	v_and_b32_e32 v103, 31, v0
	v_mov_b32_e32 v100, 0x88
	s_andn2_b32 vcc_lo, exec_lo, s46
	s_cbranch_vccnz .LBB6_15914
; %bb.15658:                            ;   in Loop: Header=BB6_47 Depth=1
	s_mov_b32 s21, 1
.LBB6_15659:                            ;   Parent Loop BB6_47 Depth=1
                                        ; =>  This Loop Header: Depth=2
                                        ;       Child Loop BB6_15662 Depth 3
                                        ;         Child Loop BB6_15670 Depth 4
                                        ;         Child Loop BB6_15698 Depth 4
	;; [unrolled: 1-line block ×5, first 2 shown]
                                        ;           Child Loop BB6_15750 Depth 5
                                        ;         Child Loop BB6_15757 Depth 4
                                        ;         Child Loop BB6_15762 Depth 4
                                        ;           Child Loop BB6_15763 Depth 5
                                        ;         Child Loop BB6_15775 Depth 4
                                        ;         Child Loop BB6_15780 Depth 4
	;; [unrolled: 1-line block ×6, first 2 shown]
                                        ;       Child Loop BB6_15839 Depth 3
                                        ;         Child Loop BB6_15845 Depth 4
                                        ;         Child Loop BB6_15873 Depth 4
	;; [unrolled: 1-line block ×3, first 2 shown]
	s_clause 0x1
	buffer_load_dword v10, off, s[0:3], s33 offset:204
	buffer_load_dword v11, off, s[0:3], s33 offset:208
	s_sub_i32 s16, s42, s21
	s_mov_b32 s62, 0
	s_cmp_ge_i32 s16, s25
	s_cselect_b32 s17, s25, 0
	s_sub_i32 s16, s16, s17
	s_ashr_i32 s17, s16, 31
	s_waitcnt vmcnt(1)
	v_mad_u64_u32 v[8:9], null, v10, s16, 0
	s_waitcnt vmcnt(0)
	v_mul_lo_u32 v1, v11, s16
	v_mul_lo_u32 v3, v10, s17
	v_add3_u32 v9, v9, v3, v1
	s_clause 0x1
	buffer_load_dword v3, off, s[0:3], s33 offset:196
	buffer_load_dword v4, off, s[0:3], s33 offset:200
	s_waitcnt vmcnt(1)
	v_sub_co_u32 v3, vcc_lo, v3, v8
	s_waitcnt vmcnt(0)
	v_sub_co_ci_u32_e64 v4, null, v4, v9, vcc_lo
	v_cmp_lt_i64_e32 vcc_lo, v[10:11], v[3:4]
	v_cndmask_b32_e32 v3, v3, v10, vcc_lo
	v_mov_b32_e32 v10, 0
	v_max_i32_e32 v1, 0, v3
	v_cmp_lt_i32_e32 vcc_lo, 0, v3
	v_mov_b32_e32 v3, 0
	v_add_nc_u32_e32 v4, 31, v1
	s_and_b32 s16, s57, vcc_lo
	v_lshrrev_b32_e32 v4, 1, v4
	v_and_b32_e32 v4, 0x3ffffff0, v4
	v_max_i32_e32 v12, s45, v4
	s_and_saveexec_b32 s61, s16
	s_cbranch_execz .LBB6_15836
; %bb.15660:                            ;   in Loop: Header=BB6_15659 Depth=2
	buffer_load_dword v3, off, s[0:3], s33 offset:188 ; 4-byte Folded Reload
	s_mov_b32 s72, 1
	s_mov_b32 s63, -1
	s_waitcnt vmcnt(0)
	v_add_co_u32 v4, vcc_lo, v8, v3
	buffer_load_dword v3, off, s[0:3], s33 offset:192 ; 4-byte Folded Reload
	s_waitcnt vmcnt(0)
	v_add_co_ci_u32_e64 v5, null, v9, v3, vcc_lo
	v_mov_b32_e32 v3, 0
	s_branch .LBB6_15662
.LBB6_15661:                            ;   in Loop: Header=BB6_15662 Depth=3
	s_or_b32 exec_lo, exec_lo, s16
	v_add_nc_u32_e32 v3, v12, v3
	s_xor_b32 s16, s63, -1
	v_mov_b32_e32 v10, s72
	s_mov_b32 s63, 0
	s_mov_b32 s72, 2
	v_cmp_ge_i32_e32 vcc_lo, v3, v1
	s_or_b32 s16, s16, vcc_lo
	s_and_b32 s16, exec_lo, s16
	s_or_b32 s62, s16, s62
	s_andn2_b32 exec_lo, exec_lo, s62
	s_cbranch_execz .LBB6_15835
.LBB6_15662:                            ;   Parent Loop BB6_47 Depth=1
                                        ;     Parent Loop BB6_15659 Depth=2
                                        ; =>    This Loop Header: Depth=3
                                        ;         Child Loop BB6_15670 Depth 4
                                        ;         Child Loop BB6_15698 Depth 4
	;; [unrolled: 1-line block ×5, first 2 shown]
                                        ;           Child Loop BB6_15750 Depth 5
                                        ;         Child Loop BB6_15757 Depth 4
                                        ;         Child Loop BB6_15762 Depth 4
                                        ;           Child Loop BB6_15763 Depth 5
                                        ;         Child Loop BB6_15775 Depth 4
                                        ;         Child Loop BB6_15780 Depth 4
                                        ;         Child Loop BB6_15786 Depth 4
                                        ;         Child Loop BB6_15791 Depth 4
                                        ;         Child Loop BB6_15801 Depth 4
                                        ;         Child Loop BB6_15820 Depth 4
	s_and_saveexec_b32 s17, s4
	s_cbranch_execz .LBB6_15664
; %bb.15663:                            ;   in Loop: Header=BB6_15662 Depth=3
	s_trap 2
	ds_read_b128 v[8:11], v0
	v_ashrrev_i32_e32 v13, 31, v3
	s_waitcnt lgkmcnt(0)
	v_add_co_u32 v14, vcc_lo, v10, v4
	v_add_co_ci_u32_e64 v15, null, v11, v5, vcc_lo
	v_add_co_u32 v8, vcc_lo, v8, v4
	v_add_co_ci_u32_e64 v9, null, v9, v5, vcc_lo
	;; [unrolled: 2-line block ×3, first 2 shown]
	v_cmp_ne_u64_e32 vcc_lo, 0, v[10:11]
	v_add_co_u32 v8, s16, v8, v3
	v_add_co_ci_u32_e64 v9, null, v9, v13, s16
	v_cndmask_b32_e32 v11, 0, v15, vcc_lo
	v_cndmask_b32_e32 v10, 0, v14, vcc_lo
	ds_write_b64 v0, v[8:9]
	ds_write_b64 v0, v[10:11]
.LBB6_15664:                            ;   in Loop: Header=BB6_15662 Depth=3
	s_or_b32 exec_lo, exec_lo, s17
	v_sub_nc_u32_e32 v8, v1, v3
	v_and_b32_e32 v9, 12, v44
	s_mov_b32 s17, exec_lo
	v_min_i32_e32 v12, v12, v8
	v_cmpx_ne_u32_e32 0, v9
	s_cbranch_execz .LBB6_15690
; %bb.15665:                            ;   in Loop: Header=BB6_15662 Depth=3
	v_and_b32_e32 v17, 8, v44
	s_mov_b32 s18, exec_lo
	s_waitcnt vmcnt(0) lgkmcnt(1)
	v_add_co_u32 v10, vcc_lo, v80, v17
	v_add_co_ci_u32_e64 v11, null, 0, v81, vcc_lo
	v_add_co_u32 v8, vcc_lo, v96, 2
	v_add_co_ci_u32_e64 v9, null, 0, v97, vcc_lo
	v_cmpx_lt_u64_e64 v[10:11], v[8:9]
	s_cbranch_execz .LBB6_15677
; %bb.15666:                            ;   in Loop: Header=BB6_15662 Depth=3
	v_and_b32_e32 v10, 64, v44
	s_mov_b32 s19, 0
	s_mov_b32 s74, 0
                                        ; implicit-def: $sgpr22
                                        ; implicit-def: $sgpr23
                                        ; implicit-def: $sgpr73
	v_cmp_eq_u32_e32 vcc_lo, 0, v10
	s_branch .LBB6_15670
.LBB6_15667:                            ;   in Loop: Header=BB6_15670 Depth=4
	s_waitcnt vmcnt(0) lgkmcnt(0)
	v_add_co_u32 v13, s16, v80, v17
	v_add_co_ci_u32_e64 v14, null, 0, v81, s16
	s_or_b32 s77, s77, exec_lo
	v_cmp_ge_u64_e64 s16, v[13:14], v[8:9]
	s_orn2_b32 s76, s16, exec_lo
.LBB6_15668:                            ;   in Loop: Header=BB6_15670 Depth=4
	s_or_b32 exec_lo, exec_lo, s79
	s_andn2_b32 s16, s73, exec_lo
	s_and_b32 s73, s77, exec_lo
	s_andn2_b32 s23, s23, exec_lo
	s_and_b32 s76, s76, exec_lo
	s_or_b32 s73, s16, s73
	s_or_b32 s23, s23, s76
.LBB6_15669:                            ;   in Loop: Header=BB6_15670 Depth=4
	s_or_b32 exec_lo, exec_lo, s75
	s_and_b32 s16, exec_lo, s23
	s_or_b32 s19, s16, s19
	s_andn2_b32 s16, s22, exec_lo
	s_and_b32 s22, s73, exec_lo
	s_or_b32 s22, s16, s22
	s_andn2_b32 exec_lo, exec_lo, s19
	s_cbranch_execz .LBB6_15674
.LBB6_15670:                            ;   Parent Loop BB6_47 Depth=1
                                        ;     Parent Loop BB6_15659 Depth=2
                                        ;       Parent Loop BB6_15662 Depth=3
                                        ; =>      This Inner Loop Header: Depth=4
	s_sleep 1
	s_waitcnt vmcnt(0) lgkmcnt(0)
	flat_load_dwordx2 v[80:81], v[64:65] glc dlc
	s_or_b32 s73, s73, exec_lo
	s_or_b32 s23, s23, exec_lo
                                        ; implicit-def: $vgpr10
	s_and_saveexec_b32 s75, vcc_lo
	s_cbranch_execz .LBB6_15669
; %bb.15671:                            ;   in Loop: Header=BB6_15670 Depth=4
	s_cmpk_lt_i32 s74, 0x270f
	s_mov_b32 s76, -1
	s_cselect_b32 s78, -1, 0
	s_cmpk_gt_i32 s74, 0x270e
	s_cbranch_scc0 .LBB6_15673
; %bb.15672:                            ;   in Loop: Header=BB6_15670 Depth=4
	s_trap 2
	ds_read_b64 v[10:11], v0
	s_andn2_b32 s74, s78, exec_lo
	s_mov_b32 s77, 0
	s_waitcnt vmcnt(0) lgkmcnt(0)
	s_waitcnt_vscnt null, 0x0
	flat_load_dword v10, v[10:11] glc dlc
	s_waitcnt vmcnt(0) lgkmcnt(0)
	buffer_gl1_inv
	buffer_gl0_inv
	v_cmp_eq_u32_e64 s16, 0, v10
	s_and_b32 s16, s16, exec_lo
	s_or_b32 s78, s74, s16
	s_mov_b32 s74, 0
	s_and_saveexec_b32 s79, s78
	s_cbranch_execz .LBB6_15668
	s_branch .LBB6_15667
.LBB6_15673:                            ;   in Loop: Header=BB6_15670 Depth=4
	s_add_i32 s74, s74, 1
	s_mov_b32 s77, -1
                                        ; implicit-def: $vgpr10
	s_and_saveexec_b32 s79, s78
	s_cbranch_execz .LBB6_15668
	s_branch .LBB6_15667
.LBB6_15674:                            ;   in Loop: Header=BB6_15662 Depth=3
	s_or_b32 exec_lo, exec_lo, s19
	s_xor_b32 s16, s22, -1
	s_and_saveexec_b32 s19, s16
	s_xor_b32 s16, exec_lo, s19
	s_cbranch_execz .LBB6_15676
; %bb.15675:                            ;   in Loop: Header=BB6_15662 Depth=3
	v_or_b32_e32 v44, 64, v44
	s_waitcnt vmcnt(0) lgkmcnt(0)
	s_waitcnt_vscnt null, 0x0
	ds_write_b32 v0, v10
	s_trap 2
.LBB6_15676:                            ;   in Loop: Header=BB6_15662 Depth=3
	s_or_b32 exec_lo, exec_lo, s16
.LBB6_15677:                            ;   in Loop: Header=BB6_15662 Depth=3
	s_or_b32 exec_lo, exec_lo, s18
	v_and_b32_e32 v10, 0x108, v44
	;;#ASMSTART
	s_wakeup
	;;#ASMEND
	v_cmp_ne_u32_e32 vcc_lo, 0x108, v10
                                        ; implicit-def: $vgpr10_vgpr11
	s_and_saveexec_b32 s16, vcc_lo
	s_xor_b32 s16, exec_lo, s16
; %bb.15678:                            ;   in Loop: Header=BB6_15662 Depth=3
	v_and_b32_e32 v10, 7, v96
	v_mov_b32_e32 v11, v2
                                        ; implicit-def: $vgpr96_vgpr97
; %bb.15679:                            ;   in Loop: Header=BB6_15662 Depth=3
	s_andn2_saveexec_b32 s16, s16
	s_cbranch_execz .LBB6_15681
; %bb.15680:                            ;   in Loop: Header=BB6_15662 Depth=3
	v_and_b32_e32 v10, 7, v96
	v_ashrrev_i32_e32 v13, 31, v12
	v_mov_b32_e32 v11, v2
	v_mad_u64_u32 v[14:15], null, v10, 24, v[6:7]
	flat_store_dwordx2 v[14:15], v[12:13] offset:8
.LBB6_15681:                            ;   in Loop: Header=BB6_15662 Depth=3
	s_or_b32 exec_lo, exec_lo, s16
	v_and_b32_e32 v13, 0x100, v44
	s_mov_b32 s16, -1
	v_cmp_ne_u32_e32 vcc_lo, 0, v13
                                        ; implicit-def: $vgpr13_vgpr14
	s_and_saveexec_b32 s18, vcc_lo
	s_cbranch_execz .LBB6_15685
; %bb.15682:                            ;   in Loop: Header=BB6_15662 Depth=3
	v_mad_u64_u32 v[15:16], null, v10, 24, v[6:7]
	v_mov_b32_e32 v13, v16
	v_mad_u64_u32 v[13:14], null, v11, 24, v[13:14]
	v_mov_b32_e32 v16, v13
	flat_load_dword v13, v[15:16]
	s_waitcnt vmcnt(0) lgkmcnt(0)
	v_cmp_eq_u32_e64 s16, 1, v13
	v_cmp_ne_u32_e32 vcc_lo, 1, v13
                                        ; implicit-def: $vgpr13_vgpr14
	s_and_saveexec_b32 s19, s16
	s_cbranch_execz .LBB6_15684
; %bb.15683:                            ;   in Loop: Header=BB6_15662 Depth=3
	flat_load_dword v13, v[15:16] offset:4 glc dlc
	s_waitcnt vmcnt(0) lgkmcnt(0)
	v_ashrrev_i32_e32 v14, 31, v13
.LBB6_15684:                            ;   in Loop: Header=BB6_15662 Depth=3
	s_or_b32 exec_lo, exec_lo, s19
	s_orn2_b32 s16, vcc_lo, exec_lo
.LBB6_15685:                            ;   in Loop: Header=BB6_15662 Depth=3
	s_or_b32 exec_lo, exec_lo, s18
	s_and_saveexec_b32 s18, s16
; %bb.15686:                            ;   in Loop: Header=BB6_15662 Depth=3
	v_mul_lo_u32 v11, v11, v45
	v_mul_lo_u32 v15, v10, v102
	v_mad_u64_u32 v[13:14], null, v10, v45, 0
	v_add3_u32 v14, v14, v15, v11
; %bb.15687:                            ;   in Loop: Header=BB6_15662 Depth=3
	s_or_b32 exec_lo, exec_lo, s18
	v_cmp_eq_u32_e32 vcc_lo, 0, v17
	v_and_b32_e32 v16, 0x2000, v44
	s_mov_b32 s16, exec_lo
	v_cndmask_b32_e32 v15, 0xd0, v100, vcc_lo
	v_add_co_u32 v10, vcc_lo, v66, v13
	v_add_co_ci_u32_e64 v11, null, v67, v14, vcc_lo
	v_add_nc_u32_e32 v13, v0, v15
	ds_write_b64 v13, v[10:11] offset:584
	v_cmpx_ne_u32_e32 0, v16
	s_cbranch_execz .LBB6_15689
; %bb.15688:                            ;   in Loop: Header=BB6_15662 Depth=3
	ds_read_b64 v[10:11], v0 offset:872
	s_waitcnt lgkmcnt(0)
	v_add_co_u32 v10, vcc_lo, v10, 1
	v_add_co_ci_u32_e64 v11, null, 0, v11, vcc_lo
	ds_write_b64 v0, v[10:11] offset:872
.LBB6_15689:                            ;   in Loop: Header=BB6_15662 Depth=3
	s_or_b32 exec_lo, exec_lo, s16
	v_mov_b32_e32 v97, v9
	v_mov_b32_e32 v96, v8
.LBB6_15690:                            ;   in Loop: Header=BB6_15662 Depth=3
	s_or_b32 exec_lo, exec_lo, s17
	s_and_saveexec_b32 s16, s6
	s_cbranch_execz .LBB6_15709
; %bb.15691:                            ;   in Loop: Header=BB6_15662 Depth=3
	s_and_saveexec_b32 s17, s29
	s_xor_b32 s17, exec_lo, s17
	s_cbranch_execz .LBB6_15706
; %bb.15692:                            ;   in Loop: Header=BB6_15662 Depth=3
	s_and_saveexec_b32 s18, s11
	s_cbranch_execz .LBB6_15705
; %bb.15693:                            ;   in Loop: Header=BB6_15662 Depth=3
	s_mov_b32 s22, exec_lo
	s_mov_b32 s19, exec_lo
	v_mbcnt_lo_u32_b32 v8, s22, 0
	s_waitcnt vmcnt(0) lgkmcnt(0)
	s_waitcnt_vscnt null, 0x0
	buffer_gl1_inv
	buffer_gl0_inv
	v_cmpx_eq_u32_e32 0, v8
	s_cbranch_execz .LBB6_15695
; %bb.15694:                            ;   in Loop: Header=BB6_15662 Depth=3
	s_bcnt1_i32_b32 s22, s22
	v_mov_b32_e32 v9, v2
	v_mov_b32_e32 v8, s22
	ds_add_u64 v0, v[8:9]
	s_trap 2
.LBB6_15695:                            ;   in Loop: Header=BB6_15662 Depth=3
	s_or_b32 exec_lo, exec_lo, s19
	s_trap 2
	ds_read_b64 v[8:9], v0
	s_waitcnt lgkmcnt(0)
	buffer_gl0_inv
	v_add_co_u32 v70, vcc_lo, v70, v47
	v_add_co_ci_u32_e64 v71, null, 0, v71, vcc_lo
	s_mov_b32 s19, exec_lo
	v_cmpx_lt_u64_e64 v[8:9], v[70:71]
	s_cbranch_execz .LBB6_15704
; %bb.15696:                            ;   in Loop: Header=BB6_15662 Depth=3
	s_mov_b32 s22, 0
	s_mov_b32 s74, 0
                                        ; implicit-def: $sgpr23
                                        ; implicit-def: $sgpr73
	s_inst_prefetch 0x1
	s_branch .LBB6_15698
	.p2align	6
.LBB6_15697:                            ;   in Loop: Header=BB6_15698 Depth=4
	s_or_b32 exec_lo, exec_lo, s76
	s_and_b32 s75, exec_lo, s77
	s_or_b32 s22, s75, s22
	s_andn2_b32 s23, s23, exec_lo
	s_and_b32 s75, s73, exec_lo
	s_or_b32 s23, s23, s75
	s_andn2_b32 exec_lo, exec_lo, s22
	s_cbranch_execz .LBB6_15702
.LBB6_15698:                            ;   Parent Loop BB6_47 Depth=1
                                        ;     Parent Loop BB6_15659 Depth=2
                                        ;       Parent Loop BB6_15662 Depth=3
                                        ; =>      This Inner Loop Header: Depth=4
	s_add_i32 s74, s74, 1
	s_cmpk_lg_i32 s74, 0x2710
	s_cselect_b32 s75, -1, 0
	s_and_b32 vcc_lo, exec_lo, s75
	s_cbranch_vccz .LBB6_15700
; %bb.15699:                            ;   in Loop: Header=BB6_15698 Depth=4
	s_mov_b32 s77, -1
	s_or_b32 s73, s73, exec_lo
	s_and_saveexec_b32 s76, s75
	s_cbranch_execz .LBB6_15697
	s_branch .LBB6_15701
	.p2align	6
.LBB6_15700:                            ;   in Loop: Header=BB6_15698 Depth=4
	s_trap 2
	ds_read_b64 v[8:9], v0
	s_andn2_b32 s75, s75, exec_lo
	s_mov_b32 s74, 0
	s_waitcnt lgkmcnt(0)
	flat_load_dword v8, v[8:9] glc dlc
	s_waitcnt vmcnt(0) lgkmcnt(0)
	buffer_gl1_inv
	buffer_gl0_inv
	v_cmp_eq_u32_e32 vcc_lo, 0, v8
	s_and_b32 s76, vcc_lo, exec_lo
	s_or_b32 s75, s75, s76
	s_mov_b32 s77, -1
	s_or_b32 s73, s73, exec_lo
	s_and_saveexec_b32 s76, s75
	s_cbranch_execz .LBB6_15697
.LBB6_15701:                            ;   in Loop: Header=BB6_15698 Depth=4
	s_sleep 1
	s_trap 2
	ds_read_b64 v[8:9], v0
	s_waitcnt lgkmcnt(0)
	buffer_gl0_inv
	s_andn2_b32 s73, s73, exec_lo
	v_cmp_ge_u64_e32 vcc_lo, v[8:9], v[70:71]
	s_orn2_b32 s77, vcc_lo, exec_lo
	s_branch .LBB6_15697
.LBB6_15702:                            ;   in Loop: Header=BB6_15662 Depth=3
	s_inst_prefetch 0x2
	s_or_b32 exec_lo, exec_lo, s22
	s_and_saveexec_b32 s22, s23
	s_xor_b32 s22, exec_lo, s22
	s_cbranch_execz .LBB6_15704
; %bb.15703:                            ;   in Loop: Header=BB6_15662 Depth=3
	ds_write_b32 v0, v59
	s_trap 2
.LBB6_15704:                            ;   in Loop: Header=BB6_15662 Depth=3
	s_or_b32 exec_lo, exec_lo, s19
	;;#ASMSTART
	s_wakeup
	;;#ASMEND
.LBB6_15705:                            ;   in Loop: Header=BB6_15662 Depth=3
	s_or_b32 exec_lo, exec_lo, s18
.LBB6_15706:                            ;   in Loop: Header=BB6_15662 Depth=3
	s_andn2_saveexec_b32 s17, s17
	s_cbranch_execz .LBB6_15708
; %bb.15707:                            ;   in Loop: Header=BB6_15662 Depth=3
	s_waitcnt vmcnt(0) lgkmcnt(0)
	s_waitcnt_vscnt null, 0x0
	buffer_gl1_inv
	buffer_gl0_inv
	s_barrier
.LBB6_15708:                            ;   in Loop: Header=BB6_15662 Depth=3
	s_or_b32 exec_lo, exec_lo, s17
.LBB6_15709:                            ;   in Loop: Header=BB6_15662 Depth=3
	s_or_b32 exec_lo, exec_lo, s16
	s_trap 2
	ds_read_b32 v8, v0
	v_and_b32_e32 v9, 0x4000, v44
	s_xor_b32 s16, s5, -1
	v_cmp_ne_u32_e32 vcc_lo, 0, v9
	s_and_b32 s17, s16, vcc_lo
	s_and_saveexec_b32 s16, s17
	s_cbranch_execz .LBB6_15728
; %bb.15710:                            ;   in Loop: Header=BB6_15662 Depth=3
	s_and_saveexec_b32 s17, s29
	s_xor_b32 s17, exec_lo, s17
	s_cbranch_execz .LBB6_15725
; %bb.15711:                            ;   in Loop: Header=BB6_15662 Depth=3
	s_and_saveexec_b32 s18, s11
	s_cbranch_execz .LBB6_15724
; %bb.15712:                            ;   in Loop: Header=BB6_15662 Depth=3
	s_mov_b32 s22, exec_lo
	s_mov_b32 s19, exec_lo
	v_mbcnt_lo_u32_b32 v9, s22, 0
	s_waitcnt vmcnt(0) lgkmcnt(0)
	s_waitcnt_vscnt null, 0x0
	buffer_gl1_inv
	buffer_gl0_inv
	v_cmpx_eq_u32_e32 0, v9
	s_cbranch_execz .LBB6_15714
; %bb.15713:                            ;   in Loop: Header=BB6_15662 Depth=3
	s_bcnt1_i32_b32 s22, s22
	v_mov_b32_e32 v10, v2
	v_mov_b32_e32 v9, s22
	ds_add_u64 v0, v[9:10]
	s_trap 2
.LBB6_15714:                            ;   in Loop: Header=BB6_15662 Depth=3
	s_or_b32 exec_lo, exec_lo, s19
	s_trap 2
	ds_read_b64 v[9:10], v0
	s_waitcnt lgkmcnt(0)
	buffer_gl0_inv
	v_add_co_u32 v70, vcc_lo, v70, v47
	v_add_co_ci_u32_e64 v71, null, 0, v71, vcc_lo
	s_mov_b32 s19, exec_lo
	v_cmpx_lt_u64_e64 v[9:10], v[70:71]
	s_cbranch_execz .LBB6_15723
; %bb.15715:                            ;   in Loop: Header=BB6_15662 Depth=3
	s_mov_b32 s22, 0
	s_mov_b32 s74, 0
                                        ; implicit-def: $sgpr23
                                        ; implicit-def: $sgpr73
	s_inst_prefetch 0x1
	s_branch .LBB6_15717
	.p2align	6
.LBB6_15716:                            ;   in Loop: Header=BB6_15717 Depth=4
	s_or_b32 exec_lo, exec_lo, s76
	s_and_b32 s75, exec_lo, s77
	s_or_b32 s22, s75, s22
	s_andn2_b32 s23, s23, exec_lo
	s_and_b32 s75, s73, exec_lo
	s_or_b32 s23, s23, s75
	s_andn2_b32 exec_lo, exec_lo, s22
	s_cbranch_execz .LBB6_15721
.LBB6_15717:                            ;   Parent Loop BB6_47 Depth=1
                                        ;     Parent Loop BB6_15659 Depth=2
                                        ;       Parent Loop BB6_15662 Depth=3
                                        ; =>      This Inner Loop Header: Depth=4
	s_add_i32 s74, s74, 1
	s_cmpk_lg_i32 s74, 0x2710
	s_cselect_b32 s75, -1, 0
	s_and_b32 vcc_lo, exec_lo, s75
	s_cbranch_vccz .LBB6_15719
; %bb.15718:                            ;   in Loop: Header=BB6_15717 Depth=4
	s_mov_b32 s77, -1
	s_or_b32 s73, s73, exec_lo
	s_and_saveexec_b32 s76, s75
	s_cbranch_execz .LBB6_15716
	s_branch .LBB6_15720
	.p2align	6
.LBB6_15719:                            ;   in Loop: Header=BB6_15717 Depth=4
	s_trap 2
	ds_read_b64 v[9:10], v0
	s_andn2_b32 s75, s75, exec_lo
	s_mov_b32 s74, 0
	s_waitcnt lgkmcnt(0)
	flat_load_dword v9, v[9:10] glc dlc
	s_waitcnt vmcnt(0) lgkmcnt(0)
	buffer_gl1_inv
	buffer_gl0_inv
	v_cmp_eq_u32_e32 vcc_lo, 0, v9
	s_and_b32 s76, vcc_lo, exec_lo
	s_or_b32 s75, s75, s76
	s_mov_b32 s77, -1
	s_or_b32 s73, s73, exec_lo
	s_and_saveexec_b32 s76, s75
	s_cbranch_execz .LBB6_15716
.LBB6_15720:                            ;   in Loop: Header=BB6_15717 Depth=4
	s_sleep 1
	s_trap 2
	ds_read_b64 v[9:10], v0
	s_waitcnt lgkmcnt(0)
	buffer_gl0_inv
	s_andn2_b32 s73, s73, exec_lo
	v_cmp_ge_u64_e32 vcc_lo, v[9:10], v[70:71]
	s_orn2_b32 s77, vcc_lo, exec_lo
	s_branch .LBB6_15716
.LBB6_15721:                            ;   in Loop: Header=BB6_15662 Depth=3
	s_inst_prefetch 0x2
	s_or_b32 exec_lo, exec_lo, s22
	s_and_saveexec_b32 s22, s23
	s_xor_b32 s22, exec_lo, s22
	s_cbranch_execz .LBB6_15723
; %bb.15722:                            ;   in Loop: Header=BB6_15662 Depth=3
	ds_write_b32 v0, v59
	s_trap 2
.LBB6_15723:                            ;   in Loop: Header=BB6_15662 Depth=3
	s_or_b32 exec_lo, exec_lo, s19
	;;#ASMSTART
	s_wakeup
	;;#ASMEND
.LBB6_15724:                            ;   in Loop: Header=BB6_15662 Depth=3
	s_or_b32 exec_lo, exec_lo, s18
.LBB6_15725:                            ;   in Loop: Header=BB6_15662 Depth=3
	s_andn2_saveexec_b32 s17, s17
	s_cbranch_execz .LBB6_15727
; %bb.15726:                            ;   in Loop: Header=BB6_15662 Depth=3
	s_waitcnt vmcnt(0) lgkmcnt(0)
	s_waitcnt_vscnt null, 0x0
	buffer_gl1_inv
	buffer_gl0_inv
	s_barrier
.LBB6_15727:                            ;   in Loop: Header=BB6_15662 Depth=3
	s_or_b32 exec_lo, exec_lo, s17
.LBB6_15728:                            ;   in Loop: Header=BB6_15662 Depth=3
	s_or_b32 exec_lo, exec_lo, s16
	s_trap 2
	s_waitcnt lgkmcnt(2)
	ds_read_b64 v[13:14], v0
	s_waitcnt lgkmcnt(0)
	v_cmp_eq_u64_e32 vcc_lo, 0, v[13:14]
	s_cbranch_vccnz .LBB6_15737
; %bb.15729:                            ;   in Loop: Header=BB6_15662 Depth=3
	s_trap 2
	ds_read_b64 v[15:16], v0
	s_waitcnt lgkmcnt(0)
	v_cmp_eq_u64_e32 vcc_lo, 0, v[15:16]
	s_cbranch_vccnz .LBB6_15737
; %bb.15730:                            ;   in Loop: Header=BB6_15662 Depth=3
	s_trap 2
	ds_read_b64 v[17:18], v0
	v_cmp_eq_u32_e64 s16, 0, v8
	v_cndmask_b32_e64 v21, 0, v12, s16
	s_mov_b32 s16, -1
	s_waitcnt lgkmcnt(0)
	v_cmp_ne_u64_e32 vcc_lo, 0, v[17:18]
	s_cbranch_vccz .LBB6_15766
; %bb.15731:                            ;   in Loop: Header=BB6_15662 Depth=3
	s_and_saveexec_b32 s17, s13
	s_cbranch_execz .LBB6_15733
; %bb.15732:                            ;   in Loop: Header=BB6_15662 Depth=3
	ds_read_b32 v8, v0 offset:720
	s_waitcnt lgkmcnt(0)
	v_and_b32_e32 v8, 15, v8
	v_cmp_eq_u32_e32 vcc_lo, 0, v8
	s_orn2_b32 s16, vcc_lo, exec_lo
.LBB6_15733:                            ;   in Loop: Header=BB6_15662 Depth=3
	s_or_b32 exec_lo, exec_lo, s17
	s_and_saveexec_b32 s17, s14
	s_cbranch_execz .LBB6_15735
; %bb.15734:                            ;   in Loop: Header=BB6_15662 Depth=3
	ds_read_b32 v8, v0 offset:784
	s_waitcnt lgkmcnt(0)
	v_and_b32_e32 v8, 15, v8
	v_cmp_eq_u32_e32 vcc_lo, 0, v8
	s_and_b32 s18, s16, vcc_lo
	s_andn2_b32 s16, s16, exec_lo
	s_and_b32 s18, s18, exec_lo
	s_or_b32 s16, s16, s18
.LBB6_15735:                            ;   in Loop: Header=BB6_15662 Depth=3
	s_or_b32 exec_lo, exec_lo, s17
	s_xor_b32 s16, s16, -1
	v_mov_b32_e32 v19, 0
	v_cndmask_b32_e64 v8, 0, 1, s16
	v_mov_b32_e32 v20, v21
	v_mov_b32_e32 v22, v0
	s_mov_b32 s16, -1
	v_cmp_ne_u32_e32 vcc_lo, 0, v8
	s_cbranch_vccz .LBB6_15742
; %bb.15736:                            ;   in Loop: Header=BB6_15662 Depth=3
	s_and_saveexec_b32 s22, s16
	s_cbranch_execnz .LBB6_15755
	s_branch .LBB6_15765
.LBB6_15737:                            ;   in Loop: Header=BB6_15662 Depth=3
	s_mov_b32 s16, 0
	s_and_saveexec_b32 s17, s6
	s_cbranch_execnz .LBB6_15794
.LBB6_15738:                            ;   in Loop: Header=BB6_15662 Depth=3
	s_or_b32 exec_lo, exec_lo, s17
                                        ; implicit-def: $vgpr8
	s_and_saveexec_b32 s17, s15
	s_xor_b32 s17, exec_lo, s17
	s_cbranch_execz .LBB6_15812
.LBB6_15739:                            ;   in Loop: Header=BB6_15662 Depth=3
	v_and_b32_e32 v8, 16, v44
	v_cmp_ne_u32_e32 vcc_lo, 0, v8
	v_and_b32_e32 v8, 16, v44
	s_and_b32 s18, vcc_lo, s16
	s_and_saveexec_b32 s16, s18
	s_cbranch_execz .LBB6_15741
; %bb.15740:                            ;   in Loop: Header=BB6_15662 Depth=3
	v_mov_b32_e32 v8, 1
	s_waitcnt vmcnt(0) lgkmcnt(0)
	s_waitcnt_vscnt null, 0x0
	buffer_gl1_inv
	buffer_gl0_inv
.LBB6_15741:                            ;   in Loop: Header=BB6_15662 Depth=3
	s_or_b32 exec_lo, exec_lo, s16
	s_andn2_saveexec_b32 s16, s17
	s_cbranch_execz .LBB6_15831
	s_branch .LBB6_15813
.LBB6_15742:                            ;   in Loop: Header=BB6_15662 Depth=3
	v_ashrrev_i32_e32 v8, 31, v21
	s_mov_b32 s17, exec_lo
	v_lshrrev_b32_e32 v8, 21, v8
	v_add_nc_u32_e32 v8, v21, v8
	v_ashrrev_i32_e32 v22, 11, v8
	v_lshrrev_b32_e32 v8, 5, v0
	v_sub_nc_u32_e32 v24, v22, v8
	v_cmpx_lt_i32_e32 0, v24
	s_cbranch_execz .LBB6_15746
; %bb.15743:                            ;   in Loop: Header=BB6_15662 Depth=3
	buffer_load_dword v19, off, s[0:3], s33 offset:212 ; 4-byte Folded Reload
	s_mov_b32 s18, 0
	s_waitcnt vmcnt(0)
	v_add_co_u32 v8, vcc_lo, v13, v19
	v_add_co_ci_u32_e64 v9, null, 0, v14, vcc_lo
	v_add_co_u32 v10, vcc_lo, v15, v19
	v_add_co_ci_u32_e64 v11, null, 0, v16, vcc_lo
	;; [unrolled: 2-line block ×3, first 2 shown]
	s_inst_prefetch 0x1
	.p2align	6
.LBB6_15744:                            ;   Parent Loop BB6_47 Depth=1
                                        ;     Parent Loop BB6_15659 Depth=2
                                        ;       Parent Loop BB6_15662 Depth=3
                                        ; =>      This Inner Loop Header: Depth=4
	s_clause 0x3
	global_load_dwordx4 v[25:28], v[8:9], off slc
	global_load_dwordx4 v[29:32], v[8:9], off offset:512 slc
	global_load_dwordx4 v[33:36], v[8:9], off offset:1024 slc
	;; [unrolled: 1-line block ×3, first 2 shown]
	v_sub_nc_u32_e32 v24, v24, v47
	v_add_co_u32 v8, vcc_lo, v8, v78
	v_add_co_ci_u32_e64 v9, null, 0, v9, vcc_lo
	v_cmp_gt_i32_e32 vcc_lo, 1, v24
	s_waitcnt vmcnt(3)
	global_store_dwordx4 v[10:11], v[25:28], off glc slc
	s_waitcnt vmcnt(2)
	global_store_dwordx4 v[10:11], v[29:32], off offset:512 glc slc
	s_waitcnt vmcnt(1)
	global_store_dwordx4 v[10:11], v[33:36], off offset:1024 glc slc
	;; [unrolled: 2-line block ×3, first 2 shown]
	global_store_dwordx4 v[19:20], v[25:28], off glc slc
	global_store_dwordx4 v[19:20], v[29:32], off offset:512 glc slc
	global_store_dwordx4 v[19:20], v[33:36], off offset:1024 glc slc
	;; [unrolled: 1-line block ×3, first 2 shown]
	v_add_co_u32 v10, s16, v10, v78
	v_add_co_ci_u32_e64 v11, null, 0, v11, s16
	v_add_co_u32 v19, s16, v19, v78
	v_add_co_ci_u32_e64 v20, null, 0, v20, s16
	s_or_b32 s18, vcc_lo, s18
	s_andn2_b32 exec_lo, exec_lo, s18
	s_cbranch_execnz .LBB6_15744
; %bb.15745:                            ;   in Loop: Header=BB6_15662 Depth=3
	s_inst_prefetch 0x2
	s_or_b32 exec_lo, exec_lo, s18
.LBB6_15746:                            ;   in Loop: Header=BB6_15662 Depth=3
	s_or_b32 exec_lo, exec_lo, s17
	v_lshlrev_b32_e32 v23, 11, v22
	v_mov_b32_e32 v19, 0
	s_mov_b32 s16, 0
	s_mov_b32 s19, exec_lo
                                        ; implicit-def: $vgpr20
                                        ; implicit-def: $vgpr22
	v_cmpx_ne_u32_e64 v21, v23
	s_cbranch_execz .LBB6_15754
; %bb.15747:                            ;   in Loop: Header=BB6_15662 Depth=3
	v_lshlrev_b32_e32 v8, 5, v24
	v_sub_nc_u32_e32 v10, v21, v23
	s_mov_b32 s73, exec_lo
	v_sub_nc_u32_e32 v8, v103, v8
	v_ashrrev_i32_e32 v11, 31, v10
	v_ashrrev_i32_e32 v9, 31, v8
	v_lshrrev_b32_e32 v11, 23, v11
	v_lshrrev_b32_e32 v9, 27, v9
	v_add_nc_u32_e32 v11, v10, v11
	v_add_nc_u32_e32 v9, v8, v9
	v_and_b32_e32 v24, 0xfffffe00, v11
	v_ashrrev_i32_e32 v11, 9, v11
	v_and_b32_e32 v19, 0xffffffe0, v9
	v_sub_nc_u32_e32 v25, v10, v24
	v_ashrrev_i32_e32 v9, 5, v9
	v_sub_nc_u32_e32 v22, v8, v19
	v_cmp_lt_i32_e64 s16, 15, v25
	v_lshlrev_b32_e32 v8, 4, v22
	v_add_co_ci_u32_e64 v11, null, 0, v11, s16
	v_lshl_add_u32 v8, v9, 9, v8
	v_sub_nc_u32_e32 v26, v11, v9
	v_sub_nc_u32_e32 v27, v10, v8
	v_cmpx_lt_i32_e32 15, v27
	s_cbranch_execz .LBB6_15753
; %bb.15748:                            ;   in Loop: Header=BB6_15662 Depth=3
	v_add_nc_u32_e32 v8, v8, v23
	s_mov_b32 s74, 0
	v_ashrrev_i32_e32 v9, 31, v8
	v_add_co_u32 v19, vcc_lo, v8, v13
	v_add_co_ci_u32_e64 v20, null, v9, v14, vcc_lo
	v_add_co_u32 v28, vcc_lo, v8, v15
	v_add_co_ci_u32_e64 v29, null, v9, v16, vcc_lo
	;; [unrolled: 2-line block ×3, first 2 shown]
	s_inst_prefetch 0x1
	.p2align	6
.LBB6_15749:                            ;   Parent Loop BB6_47 Depth=1
                                        ;     Parent Loop BB6_15659 Depth=2
                                        ;       Parent Loop BB6_15662 Depth=3
                                        ; =>      This Loop Header: Depth=4
                                        ;           Child Loop BB6_15750 Depth 5
	global_load_dwordx4 v[8:11], v[19:20], off slc
	s_mov_b64 s[22:23], 0
	s_mov_b32 s75, -1
	.p2align	6
.LBB6_15750:                            ;   Parent Loop BB6_47 Depth=1
                                        ;     Parent Loop BB6_15659 Depth=2
                                        ;       Parent Loop BB6_15662 Depth=3
                                        ;         Parent Loop BB6_15749 Depth=4
                                        ; =>        This Inner Loop Header: Depth=5
	s_cmp_eq_u32 s22, 1
	s_cselect_b32 vcc_lo, -1, 0
	s_cmp_eq_u32 s22, 0
	v_cndmask_b32_e32 v32, v28, v30, vcc_lo
	v_cndmask_b32_e32 v33, v29, v31, vcc_lo
	s_mov_b64 s[22:23], 1
	v_add_co_u32 v34, s17, 0x200, v32
	v_add_co_ci_u32_e64 v35, null, 0, v33, s17
	s_cselect_b32 s17, -1, 0
	v_cndmask_b32_e32 v30, v30, v34, vcc_lo
	v_cndmask_b32_e64 v28, v28, v34, s17
	v_cndmask_b32_e32 v31, v31, v35, vcc_lo
	v_cndmask_b32_e64 v29, v29, v35, s17
	s_and_b32 s18, exec_lo, s75
	s_mov_b32 s75, 0
	s_mov_b32 vcc_lo, s18
	s_waitcnt vmcnt(0)
	global_store_dwordx4 v[32:33], v[8:11], off glc slc
	s_cbranch_vccnz .LBB6_15750
; %bb.15751:                            ;   in Loop: Header=BB6_15749 Depth=4
	v_sub_nc_u32_e32 v27, v27, v76
	v_add_co_u32 v28, vcc_lo, v28, v89
	v_add_co_ci_u32_e64 v29, null, v29, v92, vcc_lo
	v_add_co_u32 v30, vcc_lo, v30, v89
	v_add_co_ci_u32_e64 v31, null, v31, v92, vcc_lo
	v_cmp_gt_i32_e32 vcc_lo, 16, v27
	v_add_co_u32 v19, s17, v95, v19
	v_add_co_ci_u32_e64 v20, null, v104, v20, s17
	v_sub_nc_u32_e32 v26, v26, v47
	s_or_b32 s74, vcc_lo, s74
	s_andn2_b32 exec_lo, exec_lo, s74
	s_cbranch_execnz .LBB6_15749
; %bb.15752:                            ;   in Loop: Header=BB6_15662 Depth=3
	s_inst_prefetch 0x2
	s_or_b32 exec_lo, exec_lo, s74
.LBB6_15753:                            ;   in Loop: Header=BB6_15662 Depth=3
	s_or_b32 exec_lo, exec_lo, s73
	v_and_b32_e32 v8, 15, v21
	v_cmp_lt_i32_e32 vcc_lo, 0, v26
	v_sub_nc_u32_e32 v9, v25, v8
	v_cndmask_b32_e32 v10, 0, v47, vcc_lo
	v_cndmask_b32_e64 v20, v25, v8, s16
	v_cndmask_b32_e64 v8, 0, v9, s16
	v_sub_nc_u32_e32 v9, v10, v26
	v_cmp_ne_u32_e32 vcc_lo, 0, v20
	v_add3_u32 v19, v24, v23, v8
	v_lshl_add_u32 v22, v9, 5, v22
	s_and_b32 s16, vcc_lo, exec_lo
.LBB6_15754:                            ;   in Loop: Header=BB6_15662 Depth=3
	s_or_b32 exec_lo, exec_lo, s19
	s_and_saveexec_b32 s22, s16
	s_cbranch_execz .LBB6_15765
.LBB6_15755:                            ;   in Loop: Header=BB6_15662 Depth=3
	v_ashrrev_i32_e32 v8, 31, v22
	v_ashrrev_i32_e32 v9, 31, v20
	s_mov_b32 s16, exec_lo
	v_lshrrev_b32_e32 v8, 27, v8
	v_lshrrev_b32_e32 v9, 22, v9
	v_add_nc_u32_e32 v8, v22, v8
	v_add_nc_u32_e32 v9, v20, v9
	v_ashrrev_i32_e32 v23, 5, v8
	v_ashrrev_i32_e32 v25, 10, v9
	v_sub_nc_u32_e32 v24, v25, v23
	v_cmpx_lt_i32_e32 0, v24
	s_cbranch_execz .LBB6_15759
; %bb.15756:                            ;   in Loop: Header=BB6_15662 Depth=3
	v_and_b32_e32 v8, 0xffffffe0, v8
	v_lshlrev_b32_e32 v9, 10, v23
	v_add_co_u32 v28, vcc_lo, 0x3e0, v13
	v_add_co_ci_u32_e64 v29, null, 0, v14, vcc_lo
	v_sub_nc_u32_e32 v8, v22, v8
	s_mov_b32 s17, 0
	v_add3_u32 v26, v19, v8, v9
	v_ashrrev_i32_e32 v27, 31, v26
	v_add_co_u32 v8, vcc_lo, v26, v15
	v_add_co_ci_u32_e64 v9, null, v27, v16, vcc_lo
	v_add_co_u32 v10, vcc_lo, v26, v17
	v_add_co_ci_u32_e64 v11, null, v27, v18, vcc_lo
	;; [unrolled: 2-line block ×3, first 2 shown]
.LBB6_15757:                            ;   Parent Loop BB6_47 Depth=1
                                        ;     Parent Loop BB6_15659 Depth=2
                                        ;       Parent Loop BB6_15662 Depth=3
                                        ; =>      This Inner Loop Header: Depth=4
	v_add_co_u32 v26, vcc_lo, 0xfffffc20, v17
	v_add_co_ci_u32_e64 v27, null, -1, v18, vcc_lo
	v_sub_nc_u32_e32 v24, v24, v47
	flat_load_ubyte v26, v[26:27] slc
	v_add_co_u32 v27, vcc_lo, 0xfffffc40, v17
	v_add_co_ci_u32_e64 v28, null, -1, v18, vcc_lo
	flat_load_ubyte v27, v[27:28] slc
	v_add_co_u32 v28, vcc_lo, 0xfffffc60, v17
	v_add_co_ci_u32_e64 v29, null, -1, v18, vcc_lo
	;; [unrolled: 3-line block ×12, first 2 shown]
	v_add_co_u32 v48, vcc_lo, 0xfffffdc0, v17
	v_add_co_ci_u32_e64 v49, null, -1, v18, vcc_lo
	flat_load_ubyte v38, v[38:39] slc
	flat_load_ubyte v39, v[48:49] slc
	v_add_co_u32 v48, vcc_lo, 0xfffffde0, v17
	v_add_co_ci_u32_e64 v49, null, -1, v18, vcc_lo
	flat_load_ubyte v48, v[48:49] slc
	v_add_co_u32 v49, vcc_lo, 0xfffffe00, v17
	v_add_co_ci_u32_e64 v50, null, -1, v18, vcc_lo
	flat_load_ubyte v51, v[49:50] slc
	v_add_co_u32 v49, vcc_lo, 0xfffffe20, v17
	v_add_co_ci_u32_e64 v50, null, -1, v18, vcc_lo
	flat_load_ubyte v52, v[49:50] slc
	v_add_co_u32 v49, vcc_lo, 0xfffffe40, v17
	v_add_co_ci_u32_e64 v50, null, -1, v18, vcc_lo
	flat_load_ubyte v53, v[49:50] slc
	v_add_co_u32 v49, vcc_lo, 0xfffffe60, v17
	v_add_co_ci_u32_e64 v50, null, -1, v18, vcc_lo
	flat_load_ubyte v54, v[49:50] slc
	v_add_co_u32 v49, vcc_lo, 0xfffffe80, v17
	v_add_co_ci_u32_e64 v50, null, -1, v18, vcc_lo
	flat_load_ubyte v55, v[49:50] slc
	v_add_co_u32 v49, vcc_lo, 0xfffffea0, v17
	v_add_co_ci_u32_e64 v50, null, -1, v18, vcc_lo
	flat_load_ubyte v82, v[49:50] slc
	v_add_co_u32 v49, vcc_lo, 0xfffffec0, v17
	v_add_co_ci_u32_e64 v50, null, -1, v18, vcc_lo
	flat_load_ubyte v83, v[49:50] slc
	v_add_co_u32 v49, vcc_lo, 0xfffffee0, v17
	v_add_co_ci_u32_e64 v50, null, -1, v18, vcc_lo
	flat_load_ubyte v84, v[49:50] slc
	v_add_co_u32 v49, vcc_lo, 0xffffff00, v17
	v_add_co_ci_u32_e64 v50, null, -1, v18, vcc_lo
	flat_load_ubyte v85, v[49:50] slc
	v_add_co_u32 v49, vcc_lo, 0xffffff20, v17
	v_add_co_ci_u32_e64 v50, null, -1, v18, vcc_lo
	flat_load_ubyte v86, v[49:50] slc
	v_add_co_u32 v49, vcc_lo, 0xffffff40, v17
	v_add_co_ci_u32_e64 v50, null, -1, v18, vcc_lo
	flat_load_ubyte v87, v[49:50] slc
	v_add_co_u32 v49, vcc_lo, 0xffffff60, v17
	v_add_co_ci_u32_e64 v50, null, -1, v18, vcc_lo
	flat_load_ubyte v98, v[49:50] slc
	v_add_co_u32 v49, vcc_lo, 0xffffff80, v17
	v_add_co_ci_u32_e64 v50, null, -1, v18, vcc_lo
	flat_load_ubyte v99, v[49:50] slc
	v_add_co_u32 v49, vcc_lo, 0xffffffa0, v17
	v_add_co_ci_u32_e64 v50, null, -1, v18, vcc_lo
	flat_load_ubyte v100, v[49:50] slc
	v_add_co_u32 v49, vcc_lo, 0xffffffc0, v17
	v_add_co_ci_u32_e64 v50, null, -1, v18, vcc_lo
	flat_load_ubyte v101, v[49:50] slc
	v_add_co_u32 v49, vcc_lo, 0xffffffe0, v17
	v_add_co_ci_u32_e64 v50, null, -1, v18, vcc_lo
	flat_load_ubyte v49, v[49:50] slc
	flat_load_ubyte v50, v[17:18] slc
	s_waitcnt vmcnt(31) lgkmcnt(31)
	flat_store_byte v[8:9], v26 glc slc
	s_waitcnt vmcnt(30) lgkmcnt(31)
	flat_store_byte v[8:9], v27 offset:32 glc slc
	s_waitcnt vmcnt(29) lgkmcnt(31)
	flat_store_byte v[8:9], v28 offset:64 glc slc
	;; [unrolled: 2-line block ×31, first 2 shown]
	flat_store_byte v[10:11], v26 glc slc
	flat_store_byte v[10:11], v27 offset:32 glc slc
	flat_store_byte v[10:11], v28 offset:64 glc slc
	;; [unrolled: 1-line block ×31, first 2 shown]
	v_add_co_u32 v8, vcc_lo, v8, v77
	v_add_co_ci_u32_e64 v9, null, 0, v9, vcc_lo
	v_add_co_u32 v10, vcc_lo, v10, v77
	v_add_co_ci_u32_e64 v11, null, 0, v11, vcc_lo
	;; [unrolled: 2-line block ×3, first 2 shown]
	v_cmp_gt_i32_e32 vcc_lo, 1, v24
	s_or_b32 s17, vcc_lo, s17
	s_andn2_b32 exec_lo, exec_lo, s17
	s_cbranch_execnz .LBB6_15757
; %bb.15758:                            ;   in Loop: Header=BB6_15662 Depth=3
	s_or_b32 exec_lo, exec_lo, s17
	v_mov_b32_e32 v100, 0x88
.LBB6_15759:                            ;   in Loop: Header=BB6_15662 Depth=3
	s_or_b32 exec_lo, exec_lo, s16
	v_lshlrev_b32_e32 v8, 10, v25
	v_cmp_ne_u32_e32 vcc_lo, v20, v8
	s_and_b32 exec_lo, exec_lo, vcc_lo
	s_cbranch_execz .LBB6_15765
; %bb.15760:                            ;   in Loop: Header=BB6_15662 Depth=3
	v_lshlrev_b32_e32 v9, 5, v23
	v_lshlrev_b32_e32 v10, 5, v24
	v_sub_nc_u32_e32 v9, v22, v9
	v_sub_nc_u32_e32 v9, v9, v10
	v_add_nc_u32_e32 v8, v8, v9
	v_sub_nc_u32_e32 v10, v20, v8
	v_cmp_lt_i32_e32 vcc_lo, 0, v10
	s_and_b32 exec_lo, exec_lo, vcc_lo
	s_cbranch_execz .LBB6_15765
; %bb.15761:                            ;   in Loop: Header=BB6_15662 Depth=3
	s_trap 2
	ds_read_b64 v[17:18], v0
	ds_read_b128 v[22:25], v0
	v_add_nc_u32_e32 v19, v8, v19
	s_mov_b32 s23, 0
	v_ashrrev_i32_e32 v20, 31, v19
	s_waitcnt lgkmcnt(1)
	v_add_co_u32 v8, vcc_lo, v17, v19
	v_add_co_ci_u32_e64 v9, null, v18, v20, vcc_lo
	s_waitcnt lgkmcnt(0)
	v_add_co_u32 v11, vcc_lo, v22, v19
	v_add_co_ci_u32_e64 v17, null, v23, v20, vcc_lo
	v_add_co_u32 v18, vcc_lo, v24, v19
	v_add_co_ci_u32_e64 v19, null, v25, v20, vcc_lo
	s_inst_prefetch 0x1
	.p2align	6
.LBB6_15762:                            ;   Parent Loop BB6_47 Depth=1
                                        ;     Parent Loop BB6_15659 Depth=2
                                        ;       Parent Loop BB6_15662 Depth=3
                                        ; =>      This Loop Header: Depth=4
                                        ;           Child Loop BB6_15763 Depth 5
	flat_load_ubyte v20, v[8:9] slc
	s_mov_b64 s[18:19], 0
	s_mov_b32 s73, -1
	.p2align	6
.LBB6_15763:                            ;   Parent Loop BB6_47 Depth=1
                                        ;     Parent Loop BB6_15659 Depth=2
                                        ;       Parent Loop BB6_15662 Depth=3
                                        ;         Parent Loop BB6_15762 Depth=4
                                        ; =>        This Inner Loop Header: Depth=5
	s_cmp_eq_u32 s18, 1
	s_cselect_b32 vcc_lo, -1, 0
	s_cmp_eq_u32 s18, 0
	v_cndmask_b32_e32 v22, v11, v18, vcc_lo
	v_cndmask_b32_e32 v23, v17, v19, vcc_lo
	s_mov_b64 s[18:19], 1
	v_add_co_u32 v24, s16, v22, 32
	v_add_co_ci_u32_e64 v25, null, 0, v23, s16
	s_cselect_b32 s16, -1, 0
	v_cndmask_b32_e32 v18, v18, v24, vcc_lo
	v_cndmask_b32_e64 v11, v11, v24, s16
	v_cndmask_b32_e32 v19, v19, v25, vcc_lo
	v_cndmask_b32_e64 v17, v17, v25, s16
	s_and_b32 s17, exec_lo, s73
	s_mov_b32 s73, 0
	s_mov_b32 vcc_lo, s17
	s_waitcnt vmcnt(0) lgkmcnt(0)
	flat_store_byte v[22:23], v20 glc slc
	s_cbranch_vccnz .LBB6_15763
; %bb.15764:                            ;   in Loop: Header=BB6_15762 Depth=4
	v_sub_nc_u32_e32 v10, v10, v58
	v_add_co_u32 v11, vcc_lo, v11, v79
	v_add_co_ci_u32_e64 v17, null, v17, v90, vcc_lo
	v_add_co_u32 v18, vcc_lo, v18, v79
	v_add_co_ci_u32_e64 v19, null, v19, v90, vcc_lo
	v_cmp_gt_i32_e32 vcc_lo, 1, v10
	v_add_co_u32 v8, s16, v93, v8
	v_add_co_ci_u32_e64 v9, null, v94, v9, s16
	s_or_b32 s23, vcc_lo, s23
	s_andn2_b32 exec_lo, exec_lo, s23
	s_cbranch_execnz .LBB6_15762
.LBB6_15765:                            ;   in Loop: Header=BB6_15662 Depth=3
	s_inst_prefetch 0x2
	s_or_b32 exec_lo, exec_lo, s22
	s_mov_b32 s16, 0
.LBB6_15766:                            ;   in Loop: Header=BB6_15662 Depth=3
	s_and_b32 vcc_lo, exec_lo, s16
	s_cbranch_vccz .LBB6_15793
; %bb.15767:                            ;   in Loop: Header=BB6_15662 Depth=3
	s_mov_b32 s16, -1
	s_and_saveexec_b32 s17, s13
	s_cbranch_execz .LBB6_15769
; %bb.15768:                            ;   in Loop: Header=BB6_15662 Depth=3
	ds_read_b32 v8, v0 offset:720
	s_waitcnt lgkmcnt(0)
	v_and_b32_e32 v8, 15, v8
	v_cmp_eq_u32_e32 vcc_lo, 0, v8
	s_orn2_b32 s16, vcc_lo, exec_lo
.LBB6_15769:                            ;   in Loop: Header=BB6_15662 Depth=3
	s_or_b32 exec_lo, exec_lo, s17
	s_and_saveexec_b32 s17, s12
	s_cbranch_execz .LBB6_15771
; %bb.15770:                            ;   in Loop: Header=BB6_15662 Depth=3
	ds_read_b32 v8, v0 offset:784
	s_waitcnt lgkmcnt(0)
	v_and_b32_e32 v8, 15, v8
	v_cmp_eq_u32_e32 vcc_lo, 0, v8
	s_and_b32 s18, s16, vcc_lo
	s_andn2_b32 s16, s16, exec_lo
	s_and_b32 s18, s18, exec_lo
	s_or_b32 s16, s16, s18
.LBB6_15771:                            ;   in Loop: Header=BB6_15662 Depth=3
	s_or_b32 exec_lo, exec_lo, s17
	s_xor_b32 s16, s16, -1
	v_mov_b32_e32 v10, 0
	v_cndmask_b32_e64 v8, 0, 1, s16
	v_mov_b32_e32 v9, v0
	s_mov_b32 s16, -1
	v_cmp_ne_u32_e32 vcc_lo, 0, v8
	v_mov_b32_e32 v8, v21
	s_cbranch_vccz .LBB6_15773
; %bb.15772:                            ;   in Loop: Header=BB6_15662 Depth=3
	s_and_saveexec_b32 s17, s16
	s_cbranch_execnz .LBB6_15784
	s_branch .LBB6_15792
.LBB6_15773:                            ;   in Loop: Header=BB6_15662 Depth=3
	v_ashrrev_i32_e32 v8, 31, v21
	s_mov_b32 s17, exec_lo
	v_lshrrev_b32_e32 v8, 20, v8
	v_add_nc_u32_e32 v8, v21, v8
	v_ashrrev_i32_e32 v18, 12, v8
	v_lshrrev_b32_e32 v8, 5, v0
	v_sub_nc_u32_e32 v17, v18, v8
	v_cmpx_lt_i32_e32 0, v17
	s_cbranch_execz .LBB6_15777
; %bb.15774:                            ;   in Loop: Header=BB6_15662 Depth=3
	v_mov_b32_e32 v8, v15
	v_mov_b32_e32 v10, v13
	;; [unrolled: 1-line block ×4, first 2 shown]
	s_mov_b32 s18, 0
.LBB6_15775:                            ;   Parent Loop BB6_47 Depth=1
                                        ;     Parent Loop BB6_15659 Depth=2
                                        ;       Parent Loop BB6_15662 Depth=3
                                        ; =>      This Inner Loop Header: Depth=4
	v_add_co_u32 v19, vcc_lo, v91, v10
	v_add_co_ci_u32_e64 v20, null, 0, v11, vcc_lo
	v_sub_nc_u32_e32 v17, v17, v47
	v_add_co_u32 v38, vcc_lo, 0x800, v19
	v_add_co_ci_u32_e64 v39, null, 0, v20, vcc_lo
	s_clause 0x3
	global_load_dwordx4 v[22:25], v[19:20], off slc
	global_load_dwordx4 v[26:29], v[19:20], off offset:512 slc
	global_load_dwordx4 v[30:33], v[19:20], off offset:1024 slc
	;; [unrolled: 1-line block ×3, first 2 shown]
	s_clause 0x3
	global_load_dwordx4 v[48:51], v[38:39], off slc
	global_load_dwordx4 v[52:55], v[38:39], off offset:512 slc
	global_load_dwordx4 v[82:85], v[38:39], off offset:1024 slc
	;; [unrolled: 1-line block ×3, first 2 shown]
	v_add_co_u32 v19, vcc_lo, v91, v8
	v_add_co_ci_u32_e64 v20, null, 0, v9, vcc_lo
	v_add_co_u32 v10, vcc_lo, v10, v75
	v_add_co_ci_u32_e64 v11, null, 0, v11, vcc_lo
	;; [unrolled: 2-line block ×3, first 2 shown]
	v_cmp_gt_i32_e32 vcc_lo, 1, v17
	v_add_co_u32 v38, s16, 0x800, v19
	v_add_co_ci_u32_e64 v39, null, 0, v20, s16
	s_or_b32 s18, vcc_lo, s18
	s_waitcnt vmcnt(7)
	global_store_dwordx4 v[19:20], v[22:25], off glc slc
	s_waitcnt vmcnt(6)
	global_store_dwordx4 v[19:20], v[26:29], off offset:512 glc slc
	s_waitcnt vmcnt(5)
	global_store_dwordx4 v[19:20], v[30:33], off offset:1024 glc slc
	;; [unrolled: 2-line block ×3, first 2 shown]
	s_waitcnt vmcnt(3)
	global_store_dwordx4 v[38:39], v[48:51], off glc slc
	s_waitcnt vmcnt(2)
	global_store_dwordx4 v[38:39], v[52:55], off offset:512 glc slc
	s_waitcnt vmcnt(1)
	global_store_dwordx4 v[38:39], v[82:85], off offset:1024 glc slc
	;; [unrolled: 2-line block ×3, first 2 shown]
	s_andn2_b32 exec_lo, exec_lo, s18
	s_cbranch_execnz .LBB6_15775
; %bb.15776:                            ;   in Loop: Header=BB6_15662 Depth=3
	s_or_b32 exec_lo, exec_lo, s18
	v_mov_b32_e32 v100, 0x88
.LBB6_15777:                            ;   in Loop: Header=BB6_15662 Depth=3
	s_or_b32 exec_lo, exec_lo, s17
	v_lshlrev_b32_e32 v11, 12, v18
	v_mov_b32_e32 v10, 0
	s_mov_b32 s16, 0
	s_mov_b32 s18, exec_lo
                                        ; implicit-def: $vgpr8
                                        ; implicit-def: $vgpr9
	v_cmpx_ne_u32_e64 v21, v11
	s_cbranch_execz .LBB6_15783
; %bb.15778:                            ;   in Loop: Header=BB6_15662 Depth=3
	v_lshlrev_b32_e32 v8, 5, v17
	v_sub_nc_u32_e32 v17, v21, v11
	s_mov_b32 s19, exec_lo
	v_sub_nc_u32_e32 v8, v103, v8
	v_ashrrev_i32_e32 v10, 31, v17
	v_ashrrev_i32_e32 v9, 31, v8
	v_lshrrev_b32_e32 v9, 27, v9
	v_add_nc_u32_e32 v18, v8, v9
	v_lshrrev_b32_e32 v9, 23, v10
	v_and_b32_e32 v10, 0xffffffe0, v18
	v_add_nc_u32_e32 v19, v17, v9
	v_ashrrev_i32_e32 v20, 5, v18
	v_sub_nc_u32_e32 v9, v8, v10
	v_and_b32_e32 v10, 0xfffffe00, v19
	v_ashrrev_i32_e32 v22, 9, v19
	v_lshlrev_b32_e32 v18, 4, v9
	v_sub_nc_u32_e32 v8, v17, v10
	v_lshl_add_u32 v19, v20, 9, v18
	v_cmp_lt_i32_e32 vcc_lo, 15, v8
	v_sub_nc_u32_e32 v18, v17, v19
	v_add_co_ci_u32_e64 v22, null, 0, v22, vcc_lo
	v_sub_nc_u32_e32 v17, v22, v20
	v_cmpx_lt_i32_e32 15, v18
	s_cbranch_execz .LBB6_15782
; %bb.15779:                            ;   in Loop: Header=BB6_15662 Depth=3
	v_add_nc_u32_e32 v19, v19, v11
	s_mov_b32 s22, 0
	v_ashrrev_i32_e32 v20, 31, v19
	.p2align	6
.LBB6_15780:                            ;   Parent Loop BB6_47 Depth=1
                                        ;     Parent Loop BB6_15659 Depth=2
                                        ;       Parent Loop BB6_15662 Depth=3
                                        ; =>      This Inner Loop Header: Depth=4
	v_add_co_u32 v22, s16, v13, v19
	v_add_co_ci_u32_e64 v23, null, v14, v20, s16
	v_sub_nc_u32_e32 v18, v18, v76
	v_add_co_u32 v26, s16, v15, v19
	global_load_dwordx4 v[22:25], v[22:23], off slc
	v_add_co_ci_u32_e64 v27, null, v16, v20, s16
	v_cmp_gt_i32_e64 s16, 16, v18
	v_add_co_u32 v19, s17, v19, v76
	v_sub_nc_u32_e32 v17, v17, v47
	v_add_co_ci_u32_e64 v20, null, 0, v20, s17
	s_or_b32 s22, s16, s22
	s_waitcnt vmcnt(0)
	global_store_dwordx4 v[26:27], v[22:25], off glc slc
	s_andn2_b32 exec_lo, exec_lo, s22
	s_cbranch_execnz .LBB6_15780
; %bb.15781:                            ;   in Loop: Header=BB6_15662 Depth=3
	s_or_b32 exec_lo, exec_lo, s22
.LBB6_15782:                            ;   in Loop: Header=BB6_15662 Depth=3
	s_or_b32 exec_lo, exec_lo, s19
	v_and_b32_e32 v18, 15, v21
	v_cmp_lt_i32_e64 s16, 0, v17
	v_sub_nc_u32_e32 v19, v8, v18
	v_cndmask_b32_e64 v20, 0, v47, s16
	v_cndmask_b32_e32 v8, v8, v18, vcc_lo
	v_cndmask_b32_e32 v18, 0, v19, vcc_lo
	v_sub_nc_u32_e32 v17, v20, v17
	v_cmp_ne_u32_e32 vcc_lo, 0, v8
	v_add3_u32 v10, v10, v11, v18
	v_lshl_add_u32 v9, v17, 5, v9
	s_and_b32 s16, vcc_lo, exec_lo
.LBB6_15783:                            ;   in Loop: Header=BB6_15662 Depth=3
	s_or_b32 exec_lo, exec_lo, s18
	s_and_saveexec_b32 s17, s16
	s_cbranch_execz .LBB6_15792
.LBB6_15784:                            ;   in Loop: Header=BB6_15662 Depth=3
	v_ashrrev_i32_e32 v11, 31, v9
	v_ashrrev_i32_e32 v17, 31, v8
	s_mov_b32 s16, exec_lo
	v_lshrrev_b32_e32 v11, 27, v11
	v_lshrrev_b32_e32 v17, 22, v17
	v_add_nc_u32_e32 v19, v9, v11
	v_add_nc_u32_e32 v17, v8, v17
	v_ashrrev_i32_e32 v11, 5, v19
	v_ashrrev_i32_e32 v18, 10, v17
	v_sub_nc_u32_e32 v17, v18, v11
	v_cmpx_lt_i32_e32 0, v17
	s_cbranch_execz .LBB6_15788
; %bb.15785:                            ;   in Loop: Header=BB6_15662 Depth=3
	v_and_b32_e32 v19, 0xffffffe0, v19
	v_lshlrev_b32_e32 v20, 10, v11
	s_mov_b32 s18, 0
	v_sub_nc_u32_e32 v19, v9, v19
	v_add3_u32 v19, v10, v19, v20
	v_ashrrev_i32_e32 v20, 31, v19
.LBB6_15786:                            ;   Parent Loop BB6_47 Depth=1
                                        ;     Parent Loop BB6_15659 Depth=2
                                        ;       Parent Loop BB6_15662 Depth=3
                                        ; =>      This Inner Loop Header: Depth=4
	v_add_co_u32 v22, vcc_lo, v19, v13
	v_add_co_ci_u32_e64 v23, null, v20, v14, vcc_lo
	v_sub_nc_u32_e32 v17, v17, v47
	s_clause 0x1f
	flat_load_ubyte v24, v[22:23] slc
	flat_load_ubyte v25, v[22:23] offset:32 slc
	flat_load_ubyte v26, v[22:23] offset:64 slc
	;; [unrolled: 1-line block ×31, first 2 shown]
	v_add_co_u32 v22, vcc_lo, v19, v15
	v_add_co_ci_u32_e64 v23, null, v20, v16, vcc_lo
	v_add_co_u32 v13, vcc_lo, v13, v77
	v_add_co_ci_u32_e64 v14, null, 0, v14, vcc_lo
	;; [unrolled: 2-line block ×3, first 2 shown]
	v_cmp_gt_i32_e32 vcc_lo, 1, v17
	s_waitcnt vmcnt(31) lgkmcnt(31)
	flat_store_byte v[22:23], v24 glc slc
	s_waitcnt vmcnt(30) lgkmcnt(31)
	flat_store_byte v[22:23], v25 offset:32 glc slc
	s_waitcnt vmcnt(29) lgkmcnt(31)
	flat_store_byte v[22:23], v26 offset:64 glc slc
	;; [unrolled: 2-line block ×31, first 2 shown]
	s_or_b32 s18, vcc_lo, s18
	s_andn2_b32 exec_lo, exec_lo, s18
	s_cbranch_execnz .LBB6_15786
; %bb.15787:                            ;   in Loop: Header=BB6_15662 Depth=3
	s_or_b32 exec_lo, exec_lo, s18
.LBB6_15788:                            ;   in Loop: Header=BB6_15662 Depth=3
	s_or_b32 exec_lo, exec_lo, s16
	v_lshlrev_b32_e32 v13, 10, v18
	v_cmp_ne_u32_e32 vcc_lo, v8, v13
	s_and_b32 exec_lo, exec_lo, vcc_lo
	s_cbranch_execz .LBB6_15792
; %bb.15789:                            ;   in Loop: Header=BB6_15662 Depth=3
	v_lshlrev_b32_e32 v11, 5, v11
	v_sub_nc_u32_e32 v9, v9, v11
	v_lshlrev_b32_e32 v11, 5, v17
	v_sub_nc_u32_e32 v9, v9, v11
	v_add_nc_u32_e32 v13, v13, v9
	v_sub_nc_u32_e32 v11, v8, v13
	v_cmp_lt_i32_e32 vcc_lo, 0, v11
	s_and_b32 exec_lo, exec_lo, vcc_lo
	s_cbranch_execz .LBB6_15792
; %bb.15790:                            ;   in Loop: Header=BB6_15662 Depth=3
	s_trap 2
	ds_read_b64 v[8:9], v0
	v_add_nc_u32_e32 v10, v13, v10
	s_mov_b32 s18, 0
	v_ashrrev_i32_e32 v13, 31, v10
	.p2align	6
.LBB6_15791:                            ;   Parent Loop BB6_47 Depth=1
                                        ;     Parent Loop BB6_15659 Depth=2
                                        ;       Parent Loop BB6_15662 Depth=3
                                        ; =>      This Inner Loop Header: Depth=4
	s_waitcnt lgkmcnt(0)
	v_add_co_u32 v14, vcc_lo, v8, v10
	v_add_co_ci_u32_e64 v15, null, v9, v13, vcc_lo
	v_sub_nc_u32_e32 v11, v11, v58
	v_add_co_u32 v10, s16, v10, v58
	flat_load_ubyte v16, v[14:15] slc
	v_add_co_ci_u32_e64 v13, null, 0, v13, s16
	v_cmp_gt_i32_e32 vcc_lo, 1, v11
	s_or_b32 s18, vcc_lo, s18
	s_waitcnt vmcnt(0) lgkmcnt(0)
	flat_store_byte v[14:15], v16 glc slc
	s_andn2_b32 exec_lo, exec_lo, s18
	s_cbranch_execnz .LBB6_15791
.LBB6_15792:                            ;   in Loop: Header=BB6_15662 Depth=3
	s_or_b32 exec_lo, exec_lo, s17
.LBB6_15793:                            ;   in Loop: Header=BB6_15662 Depth=3
	v_cmp_lt_i32_e64 s16, 0, v21
	s_and_saveexec_b32 s17, s6
	s_cbranch_execz .LBB6_15738
.LBB6_15794:                            ;   in Loop: Header=BB6_15662 Depth=3
	s_and_saveexec_b32 s18, s29
	s_xor_b32 s18, exec_lo, s18
	s_cbranch_execz .LBB6_15809
; %bb.15795:                            ;   in Loop: Header=BB6_15662 Depth=3
	s_and_saveexec_b32 s19, s11
	s_cbranch_execz .LBB6_15808
; %bb.15796:                            ;   in Loop: Header=BB6_15662 Depth=3
	s_mov_b32 s23, exec_lo
	s_mov_b32 s22, exec_lo
	v_mbcnt_lo_u32_b32 v8, s23, 0
	s_waitcnt vmcnt(0) lgkmcnt(0)
	s_waitcnt_vscnt null, 0x0
	buffer_gl1_inv
	buffer_gl0_inv
	v_cmpx_eq_u32_e32 0, v8
	s_cbranch_execz .LBB6_15798
; %bb.15797:                            ;   in Loop: Header=BB6_15662 Depth=3
	s_bcnt1_i32_b32 s23, s23
	v_mov_b32_e32 v9, v2
	v_mov_b32_e32 v8, s23
	ds_add_u64 v0, v[8:9]
	s_trap 2
.LBB6_15798:                            ;   in Loop: Header=BB6_15662 Depth=3
	s_or_b32 exec_lo, exec_lo, s22
	s_trap 2
	ds_read_b64 v[8:9], v0
	s_waitcnt lgkmcnt(0)
	buffer_gl0_inv
	v_add_co_u32 v70, vcc_lo, v70, v47
	v_add_co_ci_u32_e64 v71, null, 0, v71, vcc_lo
	s_mov_b32 s22, exec_lo
	v_cmpx_lt_u64_e64 v[8:9], v[70:71]
	s_cbranch_execz .LBB6_15807
; %bb.15799:                            ;   in Loop: Header=BB6_15662 Depth=3
	s_mov_b32 s23, 0
	s_mov_b32 s75, 0
                                        ; implicit-def: $sgpr73
                                        ; implicit-def: $sgpr74
	s_inst_prefetch 0x1
	s_branch .LBB6_15801
	.p2align	6
.LBB6_15800:                            ;   in Loop: Header=BB6_15801 Depth=4
	s_or_b32 exec_lo, exec_lo, s77
	s_and_b32 s76, exec_lo, s78
	s_or_b32 s23, s76, s23
	s_andn2_b32 s73, s73, exec_lo
	s_and_b32 s76, s74, exec_lo
	s_or_b32 s73, s73, s76
	s_andn2_b32 exec_lo, exec_lo, s23
	s_cbranch_execz .LBB6_15805
.LBB6_15801:                            ;   Parent Loop BB6_47 Depth=1
                                        ;     Parent Loop BB6_15659 Depth=2
                                        ;       Parent Loop BB6_15662 Depth=3
                                        ; =>      This Inner Loop Header: Depth=4
	s_add_i32 s75, s75, 1
	s_cmpk_lg_i32 s75, 0x2710
	s_cselect_b32 s76, -1, 0
	s_and_b32 vcc_lo, exec_lo, s76
	s_cbranch_vccz .LBB6_15803
; %bb.15802:                            ;   in Loop: Header=BB6_15801 Depth=4
	s_mov_b32 s78, -1
	s_or_b32 s74, s74, exec_lo
	s_and_saveexec_b32 s77, s76
	s_cbranch_execz .LBB6_15800
	s_branch .LBB6_15804
	.p2align	6
.LBB6_15803:                            ;   in Loop: Header=BB6_15801 Depth=4
	s_trap 2
	ds_read_b64 v[8:9], v0
	s_andn2_b32 s76, s76, exec_lo
	s_mov_b32 s75, 0
	s_waitcnt lgkmcnt(0)
	flat_load_dword v8, v[8:9] glc dlc
	s_waitcnt vmcnt(0) lgkmcnt(0)
	buffer_gl1_inv
	buffer_gl0_inv
	v_cmp_eq_u32_e32 vcc_lo, 0, v8
	s_and_b32 s77, vcc_lo, exec_lo
	s_or_b32 s76, s76, s77
	s_mov_b32 s78, -1
	s_or_b32 s74, s74, exec_lo
	s_and_saveexec_b32 s77, s76
	s_cbranch_execz .LBB6_15800
.LBB6_15804:                            ;   in Loop: Header=BB6_15801 Depth=4
	s_sleep 1
	s_trap 2
	ds_read_b64 v[8:9], v0
	s_waitcnt lgkmcnt(0)
	buffer_gl0_inv
	s_andn2_b32 s74, s74, exec_lo
	v_cmp_ge_u64_e32 vcc_lo, v[8:9], v[70:71]
	s_orn2_b32 s78, vcc_lo, exec_lo
	s_branch .LBB6_15800
.LBB6_15805:                            ;   in Loop: Header=BB6_15662 Depth=3
	s_inst_prefetch 0x2
	s_or_b32 exec_lo, exec_lo, s23
	s_and_saveexec_b32 s23, s73
	s_xor_b32 s23, exec_lo, s23
	s_cbranch_execz .LBB6_15807
; %bb.15806:                            ;   in Loop: Header=BB6_15662 Depth=3
	ds_write_b32 v0, v59
	s_trap 2
.LBB6_15807:                            ;   in Loop: Header=BB6_15662 Depth=3
	s_or_b32 exec_lo, exec_lo, s22
	;;#ASMSTART
	s_wakeup
	;;#ASMEND
.LBB6_15808:                            ;   in Loop: Header=BB6_15662 Depth=3
	s_or_b32 exec_lo, exec_lo, s19
.LBB6_15809:                            ;   in Loop: Header=BB6_15662 Depth=3
	s_andn2_saveexec_b32 s18, s18
	s_cbranch_execz .LBB6_15811
; %bb.15810:                            ;   in Loop: Header=BB6_15662 Depth=3
	s_waitcnt vmcnt(0) lgkmcnt(0)
	s_waitcnt_vscnt null, 0x0
	buffer_gl1_inv
	buffer_gl0_inv
	s_barrier
.LBB6_15811:                            ;   in Loop: Header=BB6_15662 Depth=3
	s_or_b32 exec_lo, exec_lo, s18
	s_or_b32 exec_lo, exec_lo, s17
                                        ; implicit-def: $vgpr8
	s_and_saveexec_b32 s17, s15
	s_xor_b32 s17, exec_lo, s17
	s_cbranch_execnz .LBB6_15739
.LBB6_15812:                            ;   in Loop: Header=BB6_15662 Depth=3
	s_andn2_saveexec_b32 s16, s17
	s_cbranch_execz .LBB6_15831
.LBB6_15813:                            ;   in Loop: Header=BB6_15662 Depth=3
	s_and_saveexec_b32 s17, s29
	s_xor_b32 s17, exec_lo, s17
	s_cbranch_execz .LBB6_15828
; %bb.15814:                            ;   in Loop: Header=BB6_15662 Depth=3
	s_and_saveexec_b32 s18, s11
	s_cbranch_execz .LBB6_15827
; %bb.15815:                            ;   in Loop: Header=BB6_15662 Depth=3
	s_mov_b32 s22, exec_lo
	s_mov_b32 s19, exec_lo
	v_mbcnt_lo_u32_b32 v8, s22, 0
	;;#ASMSTART
	s_waitcnt lgkmcnt(0) vmcnt(0)
	;;#ASMEND
	v_cmpx_eq_u32_e32 0, v8
	s_cbranch_execz .LBB6_15817
; %bb.15816:                            ;   in Loop: Header=BB6_15662 Depth=3
	s_bcnt1_i32_b32 s22, s22
	v_mov_b32_e32 v9, v2
	v_mov_b32_e32 v8, s22
	s_waitcnt vmcnt(0) lgkmcnt(0)
	s_waitcnt_vscnt null, 0x0
	ds_add_u64 v0, v[8:9]
	s_trap 2
.LBB6_15817:                            ;   in Loop: Header=BB6_15662 Depth=3
	s_or_b32 exec_lo, exec_lo, s19
	s_trap 2
	ds_read_b64 v[8:9], v0
	s_waitcnt vmcnt(0) lgkmcnt(0)
	buffer_gl0_inv
	v_add_co_u32 v70, vcc_lo, v70, v47
	v_add_co_ci_u32_e64 v71, null, 0, v71, vcc_lo
	s_mov_b32 s19, exec_lo
	v_cmpx_lt_u64_e64 v[8:9], v[70:71]
	s_cbranch_execz .LBB6_15826
; %bb.15818:                            ;   in Loop: Header=BB6_15662 Depth=3
	s_mov_b32 s22, 0
	s_mov_b32 s74, 0
                                        ; implicit-def: $sgpr23
                                        ; implicit-def: $sgpr73
	s_inst_prefetch 0x1
	s_branch .LBB6_15820
	.p2align	6
.LBB6_15819:                            ;   in Loop: Header=BB6_15820 Depth=4
	s_or_b32 exec_lo, exec_lo, s76
	s_and_b32 s75, exec_lo, s77
	s_or_b32 s22, s75, s22
	s_andn2_b32 s23, s23, exec_lo
	s_and_b32 s75, s73, exec_lo
	s_or_b32 s23, s23, s75
	s_andn2_b32 exec_lo, exec_lo, s22
	s_cbranch_execz .LBB6_15824
.LBB6_15820:                            ;   Parent Loop BB6_47 Depth=1
                                        ;     Parent Loop BB6_15659 Depth=2
                                        ;       Parent Loop BB6_15662 Depth=3
                                        ; =>      This Inner Loop Header: Depth=4
	s_add_i32 s74, s74, 1
	s_cmpk_lg_i32 s74, 0x2710
	s_cselect_b32 s75, -1, 0
	s_and_b32 vcc_lo, exec_lo, s75
	s_cbranch_vccz .LBB6_15822
; %bb.15821:                            ;   in Loop: Header=BB6_15820 Depth=4
	s_mov_b32 s77, -1
	s_or_b32 s73, s73, exec_lo
	s_and_saveexec_b32 s76, s75
	s_cbranch_execz .LBB6_15819
	s_branch .LBB6_15823
	.p2align	6
.LBB6_15822:                            ;   in Loop: Header=BB6_15820 Depth=4
	s_trap 2
	ds_read_b64 v[8:9], v0
	s_andn2_b32 s75, s75, exec_lo
	s_mov_b32 s74, 0
	s_waitcnt lgkmcnt(0)
	s_waitcnt_vscnt null, 0x0
	flat_load_dword v8, v[8:9] glc dlc
	s_waitcnt vmcnt(0) lgkmcnt(0)
	buffer_gl1_inv
	buffer_gl0_inv
	v_cmp_eq_u32_e32 vcc_lo, 0, v8
	s_and_b32 s76, vcc_lo, exec_lo
	s_or_b32 s75, s75, s76
	s_mov_b32 s77, -1
	s_or_b32 s73, s73, exec_lo
	s_and_saveexec_b32 s76, s75
	s_cbranch_execz .LBB6_15819
.LBB6_15823:                            ;   in Loop: Header=BB6_15820 Depth=4
	s_sleep 1
	s_trap 2
	ds_read_b64 v[8:9], v0
	s_waitcnt lgkmcnt(0)
	buffer_gl0_inv
	s_andn2_b32 s73, s73, exec_lo
	v_cmp_ge_u64_e32 vcc_lo, v[8:9], v[70:71]
	s_orn2_b32 s77, vcc_lo, exec_lo
	s_branch .LBB6_15819
.LBB6_15824:                            ;   in Loop: Header=BB6_15662 Depth=3
	s_inst_prefetch 0x2
	s_or_b32 exec_lo, exec_lo, s22
	s_and_saveexec_b32 s22, s23
	s_xor_b32 s22, exec_lo, s22
	s_cbranch_execz .LBB6_15826
; %bb.15825:                            ;   in Loop: Header=BB6_15662 Depth=3
	ds_write_b32 v0, v59
	s_trap 2
.LBB6_15826:                            ;   in Loop: Header=BB6_15662 Depth=3
	s_or_b32 exec_lo, exec_lo, s19
	;;#ASMSTART
	s_wakeup
	;;#ASMEND
.LBB6_15827:                            ;   in Loop: Header=BB6_15662 Depth=3
	s_or_b32 exec_lo, exec_lo, s18
.LBB6_15828:                            ;   in Loop: Header=BB6_15662 Depth=3
	s_andn2_saveexec_b32 s17, s17
	s_cbranch_execz .LBB6_15830
; %bb.15829:                            ;   in Loop: Header=BB6_15662 Depth=3
	;;#ASMSTART
	s_waitcnt lgkmcnt(0) vmcnt(0)
	;;#ASMEND
	s_barrier
.LBB6_15830:                            ;   in Loop: Header=BB6_15662 Depth=3
	s_or_b32 exec_lo, exec_lo, s17
	v_and_b32_e32 v8, 16, v44
.LBB6_15831:                            ;   in Loop: Header=BB6_15662 Depth=3
	s_or_b32 exec_lo, exec_lo, s16
	v_cmp_ne_u32_e32 vcc_lo, 0, v8
	s_xor_b32 s16, s7, -1
	s_and_b32 s17, vcc_lo, s16
	s_and_saveexec_b32 s16, s17
	s_cbranch_execz .LBB6_15833
; %bb.15832:                            ;   in Loop: Header=BB6_15662 Depth=3
	s_waitcnt vmcnt(0) lgkmcnt(0)
	s_waitcnt_vscnt null, 0x0
	flat_store_dword v[68:69], v59
.LBB6_15833:                            ;   in Loop: Header=BB6_15662 Depth=3
	s_or_b32 exec_lo, exec_lo, s16
	v_and_b32_e32 v8, 48, v44
	s_mov_b32 s16, exec_lo
	v_cmpx_ne_u32_e32 0, v8
	s_cbranch_execz .LBB6_15661
; %bb.15834:                            ;   in Loop: Header=BB6_15662 Depth=3
	v_add_co_u32 v96, vcc_lo, v96, 2
	v_add_co_ci_u32_e64 v97, null, 0, v97, vcc_lo
	s_waitcnt vmcnt(0) lgkmcnt(0)
	s_waitcnt_vscnt null, 0x0
	flat_store_dwordx2 v[64:65], v[96:97]
	s_branch .LBB6_15661
.LBB6_15835:                            ;   in Loop: Header=BB6_15659 Depth=2
	s_or_b32 exec_lo, exec_lo, s62
.LBB6_15836:                            ;   in Loop: Header=BB6_15659 Depth=2
	s_or_b32 exec_lo, exec_lo, s61
	s_mov_b32 s17, exec_lo
	v_cmpx_gt_i32_e32 2, v10
	s_cbranch_execz .LBB6_15912
; %bb.15837:                            ;   in Loop: Header=BB6_15659 Depth=2
	v_cmp_eq_u32_e64 s19, 0, v10
	s_mov_b32 s18, 0
	s_branch .LBB6_15839
.LBB6_15838:                            ;   in Loop: Header=BB6_15839 Depth=3
	s_or_b32 exec_lo, exec_lo, s16
	v_add_nc_u32_e32 v3, v12, v3
	s_mov_b32 s19, 0
	s_andn2_b32 exec_lo, exec_lo, s18
	s_cbranch_execz .LBB6_15911
.LBB6_15839:                            ;   Parent Loop BB6_47 Depth=1
                                        ;     Parent Loop BB6_15659 Depth=2
                                        ; =>    This Loop Header: Depth=3
                                        ;         Child Loop BB6_15845 Depth 4
                                        ;         Child Loop BB6_15873 Depth 4
	;; [unrolled: 1-line block ×3, first 2 shown]
	v_sub_nc_u32_e32 v4, v1, v3
	v_and_b32_e32 v5, 12, v44
	s_mov_b32 s22, exec_lo
	v_min_i32_e32 v12, v12, v4
	v_cmpx_ne_u32_e32 0, v5
	s_cbranch_execz .LBB6_15865
; %bb.15840:                            ;   in Loop: Header=BB6_15839 Depth=3
	v_and_b32_e32 v4, 8, v44
	s_mov_b32 s23, exec_lo
	s_waitcnt vmcnt(0) lgkmcnt(1)
	v_add_co_u32 v10, vcc_lo, v80, v4
	v_add_co_ci_u32_e64 v11, null, 0, v81, vcc_lo
	v_add_co_u32 v8, vcc_lo, v96, 2
	v_add_co_ci_u32_e64 v9, null, 0, v97, vcc_lo
	v_cmpx_lt_u64_e64 v[10:11], v[8:9]
	s_cbranch_execz .LBB6_15852
; %bb.15841:                            ;   in Loop: Header=BB6_15839 Depth=3
	v_and_b32_e32 v5, 64, v44
	s_mov_b32 s61, 0
	s_mov_b32 s73, 0
                                        ; implicit-def: $sgpr62
                                        ; implicit-def: $sgpr63
                                        ; implicit-def: $sgpr72
	v_cmp_eq_u32_e32 vcc_lo, 0, v5
	s_branch .LBB6_15845
.LBB6_15842:                            ;   in Loop: Header=BB6_15845 Depth=4
	s_waitcnt vmcnt(0) lgkmcnt(0)
	v_add_co_u32 v10, s16, v80, v4
	v_add_co_ci_u32_e64 v11, null, 0, v81, s16
	s_or_b32 s76, s76, exec_lo
	v_cmp_ge_u64_e64 s16, v[10:11], v[8:9]
	s_orn2_b32 s75, s16, exec_lo
.LBB6_15843:                            ;   in Loop: Header=BB6_15845 Depth=4
	s_or_b32 exec_lo, exec_lo, s78
	s_andn2_b32 s16, s72, exec_lo
	s_and_b32 s72, s76, exec_lo
	s_andn2_b32 s63, s63, exec_lo
	s_and_b32 s75, s75, exec_lo
	s_or_b32 s72, s16, s72
	s_or_b32 s63, s63, s75
.LBB6_15844:                            ;   in Loop: Header=BB6_15845 Depth=4
	s_or_b32 exec_lo, exec_lo, s74
	s_and_b32 s16, exec_lo, s63
	s_or_b32 s61, s16, s61
	s_andn2_b32 s16, s62, exec_lo
	s_and_b32 s62, s72, exec_lo
	s_or_b32 s62, s16, s62
	s_andn2_b32 exec_lo, exec_lo, s61
	s_cbranch_execz .LBB6_15849
.LBB6_15845:                            ;   Parent Loop BB6_47 Depth=1
                                        ;     Parent Loop BB6_15659 Depth=2
                                        ;       Parent Loop BB6_15839 Depth=3
                                        ; =>      This Inner Loop Header: Depth=4
	s_sleep 1
	s_waitcnt vmcnt(0) lgkmcnt(0)
	flat_load_dwordx2 v[80:81], v[64:65] glc dlc
	s_or_b32 s72, s72, exec_lo
	s_or_b32 s63, s63, exec_lo
                                        ; implicit-def: $vgpr5
	s_and_saveexec_b32 s74, vcc_lo
	s_cbranch_execz .LBB6_15844
; %bb.15846:                            ;   in Loop: Header=BB6_15845 Depth=4
	s_cmpk_lt_i32 s73, 0x270f
	s_mov_b32 s75, -1
	s_cselect_b32 s77, -1, 0
	s_cmpk_gt_i32 s73, 0x270e
	s_cbranch_scc0 .LBB6_15848
; %bb.15847:                            ;   in Loop: Header=BB6_15845 Depth=4
	s_trap 2
	ds_read_b64 v[10:11], v0
	s_andn2_b32 s73, s77, exec_lo
	s_mov_b32 s76, 0
	s_waitcnt vmcnt(0) lgkmcnt(0)
	s_waitcnt_vscnt null, 0x0
	flat_load_dword v5, v[10:11] glc dlc
	s_waitcnt vmcnt(0) lgkmcnt(0)
	buffer_gl1_inv
	buffer_gl0_inv
	v_cmp_eq_u32_e64 s16, 0, v5
	s_and_b32 s16, s16, exec_lo
	s_or_b32 s77, s73, s16
	s_mov_b32 s73, 0
	s_and_saveexec_b32 s78, s77
	s_cbranch_execz .LBB6_15843
	s_branch .LBB6_15842
.LBB6_15848:                            ;   in Loop: Header=BB6_15845 Depth=4
	s_add_i32 s73, s73, 1
	s_mov_b32 s76, -1
                                        ; implicit-def: $vgpr5
	s_and_saveexec_b32 s78, s77
	s_cbranch_execz .LBB6_15843
	s_branch .LBB6_15842
.LBB6_15849:                            ;   in Loop: Header=BB6_15839 Depth=3
	s_or_b32 exec_lo, exec_lo, s61
	s_xor_b32 s16, s62, -1
	s_and_saveexec_b32 s61, s16
	s_xor_b32 s16, exec_lo, s61
	s_cbranch_execz .LBB6_15851
; %bb.15850:                            ;   in Loop: Header=BB6_15839 Depth=3
	v_or_b32_e32 v44, 64, v44
	s_waitcnt vmcnt(0) lgkmcnt(0)
	s_waitcnt_vscnt null, 0x0
	ds_write_b32 v0, v5
	s_trap 2
.LBB6_15851:                            ;   in Loop: Header=BB6_15839 Depth=3
	s_or_b32 exec_lo, exec_lo, s16
.LBB6_15852:                            ;   in Loop: Header=BB6_15839 Depth=3
	s_or_b32 exec_lo, exec_lo, s23
	v_and_b32_e32 v5, 0x108, v44
	s_mov_b32 s16, exec_lo
	;;#ASMSTART
	s_wakeup
	;;#ASMEND
                                        ; implicit-def: $vgpr10_vgpr11
	v_cmpx_ne_u32_e32 0x108, v5
	s_xor_b32 s16, exec_lo, s16
; %bb.15853:                            ;   in Loop: Header=BB6_15839 Depth=3
	v_and_b32_e32 v10, 7, v96
	v_mov_b32_e32 v11, v2
                                        ; implicit-def: $vgpr96_vgpr97
; %bb.15854:                            ;   in Loop: Header=BB6_15839 Depth=3
	s_andn2_saveexec_b32 s16, s16
	s_cbranch_execz .LBB6_15856
; %bb.15855:                            ;   in Loop: Header=BB6_15839 Depth=3
	v_and_b32_e32 v10, 7, v96
	v_ashrrev_i32_e32 v13, 31, v12
	v_mov_b32_e32 v11, v2
	v_mad_u64_u32 v[14:15], null, v10, 24, v[6:7]
	flat_store_dwordx2 v[14:15], v[12:13] offset:8
.LBB6_15856:                            ;   in Loop: Header=BB6_15839 Depth=3
	s_or_b32 exec_lo, exec_lo, s16
	v_and_b32_e32 v5, 0x100, v44
	s_mov_b32 s16, -1
	s_mov_b32 s23, exec_lo
                                        ; implicit-def: $vgpr13_vgpr14
	v_cmpx_ne_u32_e32 0, v5
	s_cbranch_execz .LBB6_15860
; %bb.15857:                            ;   in Loop: Header=BB6_15839 Depth=3
	v_mad_u64_u32 v[15:16], null, v10, 24, v[6:7]
	s_mov_b32 s61, exec_lo
	v_mov_b32_e32 v5, v16
	v_mad_u64_u32 v[13:14], null, v11, 24, v[5:6]
	v_mov_b32_e32 v16, v13
                                        ; implicit-def: $vgpr13_vgpr14
	flat_load_dword v5, v[15:16]
	s_waitcnt vmcnt(0) lgkmcnt(0)
	v_cmp_ne_u32_e32 vcc_lo, 1, v5
	v_cmpx_eq_u32_e32 1, v5
	s_cbranch_execz .LBB6_15859
; %bb.15858:                            ;   in Loop: Header=BB6_15839 Depth=3
	flat_load_dword v13, v[15:16] offset:4 glc dlc
	s_waitcnt vmcnt(0) lgkmcnt(0)
	v_ashrrev_i32_e32 v14, 31, v13
.LBB6_15859:                            ;   in Loop: Header=BB6_15839 Depth=3
	s_or_b32 exec_lo, exec_lo, s61
	s_orn2_b32 s16, vcc_lo, exec_lo
.LBB6_15860:                            ;   in Loop: Header=BB6_15839 Depth=3
	s_or_b32 exec_lo, exec_lo, s23
	s_and_saveexec_b32 s23, s16
; %bb.15861:                            ;   in Loop: Header=BB6_15839 Depth=3
	v_mul_lo_u32 v5, v11, v45
	v_mul_lo_u32 v11, v10, v102
	v_mad_u64_u32 v[13:14], null, v10, v45, 0
	v_add3_u32 v14, v14, v11, v5
; %bb.15862:                            ;   in Loop: Header=BB6_15839 Depth=3
	s_or_b32 exec_lo, exec_lo, s23
	v_cmp_eq_u32_e32 vcc_lo, 0, v4
	v_and_b32_e32 v11, 0x2000, v44
	s_mov_b32 s16, exec_lo
	v_cndmask_b32_e32 v10, 0xd0, v100, vcc_lo
	v_add_co_u32 v4, vcc_lo, v66, v13
	v_add_co_ci_u32_e64 v5, null, v67, v14, vcc_lo
	v_add_nc_u32_e32 v10, v0, v10
	ds_write_b64 v10, v[4:5] offset:584
	v_cmpx_ne_u32_e32 0, v11
	s_cbranch_execz .LBB6_15864
; %bb.15863:                            ;   in Loop: Header=BB6_15839 Depth=3
	ds_read_b64 v[4:5], v0 offset:872
	s_waitcnt lgkmcnt(0)
	v_add_co_u32 v4, vcc_lo, v4, 1
	v_add_co_ci_u32_e64 v5, null, 0, v5, vcc_lo
	ds_write_b64 v0, v[4:5] offset:872
.LBB6_15864:                            ;   in Loop: Header=BB6_15839 Depth=3
	s_or_b32 exec_lo, exec_lo, s16
	v_mov_b32_e32 v97, v9
	v_mov_b32_e32 v96, v8
.LBB6_15865:                            ;   in Loop: Header=BB6_15839 Depth=3
	s_or_b32 exec_lo, exec_lo, s22
	s_xor_b32 s16, s19, -1
	s_and_b32 s16, exec_lo, s16
	s_or_b32 s18, s16, s18
	s_and_saveexec_b32 s16, s6
	s_cbranch_execz .LBB6_15884
; %bb.15866:                            ;   in Loop: Header=BB6_15839 Depth=3
	s_and_saveexec_b32 s19, s29
	s_xor_b32 s19, exec_lo, s19
	s_cbranch_execz .LBB6_15881
; %bb.15867:                            ;   in Loop: Header=BB6_15839 Depth=3
	s_and_saveexec_b32 s22, s11
	s_cbranch_execz .LBB6_15880
; %bb.15868:                            ;   in Loop: Header=BB6_15839 Depth=3
	s_mov_b32 s61, exec_lo
	s_mov_b32 s23, exec_lo
	v_mbcnt_lo_u32_b32 v4, s61, 0
	s_waitcnt vmcnt(0) lgkmcnt(0)
	s_waitcnt_vscnt null, 0x0
	buffer_gl1_inv
	buffer_gl0_inv
	v_cmpx_eq_u32_e32 0, v4
	s_cbranch_execz .LBB6_15870
; %bb.15869:                            ;   in Loop: Header=BB6_15839 Depth=3
	s_bcnt1_i32_b32 s61, s61
	v_mov_b32_e32 v5, v2
	v_mov_b32_e32 v4, s61
	ds_add_u64 v0, v[4:5]
	s_trap 2
.LBB6_15870:                            ;   in Loop: Header=BB6_15839 Depth=3
	s_or_b32 exec_lo, exec_lo, s23
	s_trap 2
	ds_read_b64 v[4:5], v0
	s_waitcnt lgkmcnt(0)
	buffer_gl0_inv
	v_add_co_u32 v70, vcc_lo, v70, v47
	v_add_co_ci_u32_e64 v71, null, 0, v71, vcc_lo
	s_mov_b32 s23, exec_lo
	v_cmpx_lt_u64_e64 v[4:5], v[70:71]
	s_cbranch_execz .LBB6_15879
; %bb.15871:                            ;   in Loop: Header=BB6_15839 Depth=3
	s_mov_b32 s61, 0
	s_mov_b32 s72, 0
                                        ; implicit-def: $sgpr62
                                        ; implicit-def: $sgpr63
	s_inst_prefetch 0x1
	s_branch .LBB6_15873
	.p2align	6
.LBB6_15872:                            ;   in Loop: Header=BB6_15873 Depth=4
	s_or_b32 exec_lo, exec_lo, s74
	s_and_b32 s73, exec_lo, s75
	s_or_b32 s61, s73, s61
	s_andn2_b32 s62, s62, exec_lo
	s_and_b32 s73, s63, exec_lo
	s_or_b32 s62, s62, s73
	s_andn2_b32 exec_lo, exec_lo, s61
	s_cbranch_execz .LBB6_15877
.LBB6_15873:                            ;   Parent Loop BB6_47 Depth=1
                                        ;     Parent Loop BB6_15659 Depth=2
                                        ;       Parent Loop BB6_15839 Depth=3
                                        ; =>      This Inner Loop Header: Depth=4
	s_add_i32 s72, s72, 1
	s_cmpk_lg_i32 s72, 0x2710
	s_cselect_b32 s73, -1, 0
	s_and_b32 vcc_lo, exec_lo, s73
	s_cbranch_vccz .LBB6_15875
; %bb.15874:                            ;   in Loop: Header=BB6_15873 Depth=4
	s_mov_b32 s75, -1
	s_or_b32 s63, s63, exec_lo
	s_and_saveexec_b32 s74, s73
	s_cbranch_execz .LBB6_15872
	s_branch .LBB6_15876
	.p2align	6
.LBB6_15875:                            ;   in Loop: Header=BB6_15873 Depth=4
	s_trap 2
	ds_read_b64 v[4:5], v0
	s_andn2_b32 s73, s73, exec_lo
	s_mov_b32 s72, 0
	s_waitcnt lgkmcnt(0)
	flat_load_dword v4, v[4:5] glc dlc
	s_waitcnt vmcnt(0) lgkmcnt(0)
	buffer_gl1_inv
	buffer_gl0_inv
	v_cmp_eq_u32_e32 vcc_lo, 0, v4
	s_and_b32 s74, vcc_lo, exec_lo
	s_or_b32 s73, s73, s74
	s_mov_b32 s75, -1
	s_or_b32 s63, s63, exec_lo
	s_and_saveexec_b32 s74, s73
	s_cbranch_execz .LBB6_15872
.LBB6_15876:                            ;   in Loop: Header=BB6_15873 Depth=4
	s_sleep 1
	s_trap 2
	ds_read_b64 v[4:5], v0
	s_waitcnt lgkmcnt(0)
	buffer_gl0_inv
	s_andn2_b32 s63, s63, exec_lo
	v_cmp_ge_u64_e32 vcc_lo, v[4:5], v[70:71]
	s_orn2_b32 s75, vcc_lo, exec_lo
	s_branch .LBB6_15872
.LBB6_15877:                            ;   in Loop: Header=BB6_15839 Depth=3
	s_inst_prefetch 0x2
	s_or_b32 exec_lo, exec_lo, s61
	s_and_saveexec_b32 s61, s62
	s_xor_b32 s61, exec_lo, s61
	s_cbranch_execz .LBB6_15879
; %bb.15878:                            ;   in Loop: Header=BB6_15839 Depth=3
	ds_write_b32 v0, v59
	s_trap 2
.LBB6_15879:                            ;   in Loop: Header=BB6_15839 Depth=3
	s_or_b32 exec_lo, exec_lo, s23
	;;#ASMSTART
	s_wakeup
	;;#ASMEND
.LBB6_15880:                            ;   in Loop: Header=BB6_15839 Depth=3
	s_or_b32 exec_lo, exec_lo, s22
.LBB6_15881:                            ;   in Loop: Header=BB6_15839 Depth=3
	s_andn2_saveexec_b32 s19, s19
	s_cbranch_execz .LBB6_15883
; %bb.15882:                            ;   in Loop: Header=BB6_15839 Depth=3
	s_waitcnt vmcnt(0) lgkmcnt(0)
	s_waitcnt_vscnt null, 0x0
	buffer_gl1_inv
	buffer_gl0_inv
	s_barrier
.LBB6_15883:                            ;   in Loop: Header=BB6_15839 Depth=3
	s_or_b32 exec_lo, exec_lo, s19
.LBB6_15884:                            ;   in Loop: Header=BB6_15839 Depth=3
	s_or_b32 exec_lo, exec_lo, s16
                                        ; implicit-def: $vgpr4
	s_and_saveexec_b32 s16, s15
	s_xor_b32 s19, exec_lo, s16
	s_cbranch_execz .LBB6_15888
; %bb.15885:                            ;   in Loop: Header=BB6_15839 Depth=3
	s_trap 2
	ds_read_b32 v4, v0
	v_cmp_lt_i32_e32 vcc_lo, 0, v12
	s_waitcnt lgkmcnt(0)
	v_readfirstlane_b32 s16, v4
	v_and_b32_e32 v4, 16, v44
	s_cmp_eq_u32 s16, 0
	v_cmp_ne_u32_e64 s16, 0, v4
	s_cselect_b32 s22, -1, 0
	v_and_b32_e32 v4, 16, v44
	s_and_b32 s22, vcc_lo, s22
	s_and_b32 s22, s16, s22
	s_and_saveexec_b32 s16, s22
	s_cbranch_execz .LBB6_15887
; %bb.15886:                            ;   in Loop: Header=BB6_15839 Depth=3
	v_mov_b32_e32 v4, 1
	s_waitcnt vmcnt(0)
	s_waitcnt_vscnt null, 0x0
	buffer_gl1_inv
	buffer_gl0_inv
.LBB6_15887:                            ;   in Loop: Header=BB6_15839 Depth=3
	s_or_b32 exec_lo, exec_lo, s16
	s_andn2_saveexec_b32 s16, s19
	s_cbranch_execz .LBB6_15907
	s_branch .LBB6_15889
.LBB6_15888:                            ;   in Loop: Header=BB6_15839 Depth=3
	s_andn2_saveexec_b32 s16, s19
	s_cbranch_execz .LBB6_15907
.LBB6_15889:                            ;   in Loop: Header=BB6_15839 Depth=3
	s_and_saveexec_b32 s19, s29
	s_xor_b32 s19, exec_lo, s19
	s_cbranch_execz .LBB6_15904
; %bb.15890:                            ;   in Loop: Header=BB6_15839 Depth=3
	s_and_saveexec_b32 s22, s11
	s_cbranch_execz .LBB6_15903
; %bb.15891:                            ;   in Loop: Header=BB6_15839 Depth=3
	s_mov_b32 s61, exec_lo
	s_mov_b32 s23, exec_lo
	v_mbcnt_lo_u32_b32 v4, s61, 0
	;;#ASMSTART
	s_waitcnt lgkmcnt(0) vmcnt(0)
	;;#ASMEND
	v_cmpx_eq_u32_e32 0, v4
	s_cbranch_execz .LBB6_15893
; %bb.15892:                            ;   in Loop: Header=BB6_15839 Depth=3
	s_bcnt1_i32_b32 s61, s61
	v_mov_b32_e32 v5, v2
	v_mov_b32_e32 v4, s61
	s_waitcnt vmcnt(0) lgkmcnt(0)
	s_waitcnt_vscnt null, 0x0
	ds_add_u64 v0, v[4:5]
	s_trap 2
.LBB6_15893:                            ;   in Loop: Header=BB6_15839 Depth=3
	s_or_b32 exec_lo, exec_lo, s23
	s_trap 2
	ds_read_b64 v[4:5], v0
	s_waitcnt vmcnt(0) lgkmcnt(0)
	buffer_gl0_inv
	v_add_co_u32 v70, vcc_lo, v70, v47
	v_add_co_ci_u32_e64 v71, null, 0, v71, vcc_lo
	s_mov_b32 s23, exec_lo
	v_cmpx_lt_u64_e64 v[4:5], v[70:71]
	s_cbranch_execz .LBB6_15902
; %bb.15894:                            ;   in Loop: Header=BB6_15839 Depth=3
	s_mov_b32 s61, 0
	s_mov_b32 s72, 0
                                        ; implicit-def: $sgpr62
                                        ; implicit-def: $sgpr63
	s_inst_prefetch 0x1
	s_branch .LBB6_15896
	.p2align	6
.LBB6_15895:                            ;   in Loop: Header=BB6_15896 Depth=4
	s_or_b32 exec_lo, exec_lo, s74
	s_and_b32 s73, exec_lo, s75
	s_or_b32 s61, s73, s61
	s_andn2_b32 s62, s62, exec_lo
	s_and_b32 s73, s63, exec_lo
	s_or_b32 s62, s62, s73
	s_andn2_b32 exec_lo, exec_lo, s61
	s_cbranch_execz .LBB6_15900
.LBB6_15896:                            ;   Parent Loop BB6_47 Depth=1
                                        ;     Parent Loop BB6_15659 Depth=2
                                        ;       Parent Loop BB6_15839 Depth=3
                                        ; =>      This Inner Loop Header: Depth=4
	s_add_i32 s72, s72, 1
	s_cmpk_lg_i32 s72, 0x2710
	s_cselect_b32 s73, -1, 0
	s_and_b32 vcc_lo, exec_lo, s73
	s_cbranch_vccz .LBB6_15898
; %bb.15897:                            ;   in Loop: Header=BB6_15896 Depth=4
	s_mov_b32 s75, -1
	s_or_b32 s63, s63, exec_lo
	s_and_saveexec_b32 s74, s73
	s_cbranch_execz .LBB6_15895
	s_branch .LBB6_15899
	.p2align	6
.LBB6_15898:                            ;   in Loop: Header=BB6_15896 Depth=4
	s_trap 2
	ds_read_b64 v[4:5], v0
	s_andn2_b32 s73, s73, exec_lo
	s_mov_b32 s72, 0
	s_waitcnt lgkmcnt(0)
	s_waitcnt_vscnt null, 0x0
	flat_load_dword v4, v[4:5] glc dlc
	s_waitcnt vmcnt(0) lgkmcnt(0)
	buffer_gl1_inv
	buffer_gl0_inv
	v_cmp_eq_u32_e32 vcc_lo, 0, v4
	s_and_b32 s74, vcc_lo, exec_lo
	s_or_b32 s73, s73, s74
	s_mov_b32 s75, -1
	s_or_b32 s63, s63, exec_lo
	s_and_saveexec_b32 s74, s73
	s_cbranch_execz .LBB6_15895
.LBB6_15899:                            ;   in Loop: Header=BB6_15896 Depth=4
	s_sleep 1
	s_trap 2
	ds_read_b64 v[4:5], v0
	s_waitcnt lgkmcnt(0)
	buffer_gl0_inv
	s_andn2_b32 s63, s63, exec_lo
	v_cmp_ge_u64_e32 vcc_lo, v[4:5], v[70:71]
	s_orn2_b32 s75, vcc_lo, exec_lo
	s_branch .LBB6_15895
.LBB6_15900:                            ;   in Loop: Header=BB6_15839 Depth=3
	s_inst_prefetch 0x2
	s_or_b32 exec_lo, exec_lo, s61
	s_and_saveexec_b32 s61, s62
	s_xor_b32 s61, exec_lo, s61
	s_cbranch_execz .LBB6_15902
; %bb.15901:                            ;   in Loop: Header=BB6_15839 Depth=3
	ds_write_b32 v0, v59
	s_trap 2
.LBB6_15902:                            ;   in Loop: Header=BB6_15839 Depth=3
	s_or_b32 exec_lo, exec_lo, s23
	;;#ASMSTART
	s_wakeup
	;;#ASMEND
.LBB6_15903:                            ;   in Loop: Header=BB6_15839 Depth=3
	s_or_b32 exec_lo, exec_lo, s22
.LBB6_15904:                            ;   in Loop: Header=BB6_15839 Depth=3
	s_andn2_saveexec_b32 s19, s19
	s_cbranch_execz .LBB6_15906
; %bb.15905:                            ;   in Loop: Header=BB6_15839 Depth=3
	;;#ASMSTART
	s_waitcnt lgkmcnt(0) vmcnt(0)
	;;#ASMEND
	s_barrier
.LBB6_15906:                            ;   in Loop: Header=BB6_15839 Depth=3
	s_or_b32 exec_lo, exec_lo, s19
	v_and_b32_e32 v4, 16, v44
.LBB6_15907:                            ;   in Loop: Header=BB6_15839 Depth=3
	s_or_b32 exec_lo, exec_lo, s16
	v_cmp_ne_u32_e32 vcc_lo, 0, v4
	s_xor_b32 s16, s7, -1
	s_and_b32 s19, vcc_lo, s16
	s_and_saveexec_b32 s16, s19
	s_cbranch_execz .LBB6_15909
; %bb.15908:                            ;   in Loop: Header=BB6_15839 Depth=3
	s_waitcnt vmcnt(0) lgkmcnt(0)
	s_waitcnt_vscnt null, 0x0
	flat_store_dword v[68:69], v59
.LBB6_15909:                            ;   in Loop: Header=BB6_15839 Depth=3
	s_or_b32 exec_lo, exec_lo, s16
	v_and_b32_e32 v4, 48, v44
	s_mov_b32 s16, exec_lo
	v_cmpx_ne_u32_e32 0, v4
	s_cbranch_execz .LBB6_15838
; %bb.15910:                            ;   in Loop: Header=BB6_15839 Depth=3
	v_add_co_u32 v96, vcc_lo, v96, 2
	v_add_co_ci_u32_e64 v97, null, 0, v97, vcc_lo
	s_waitcnt vmcnt(0) lgkmcnt(0)
	s_waitcnt_vscnt null, 0x0
	flat_store_dwordx2 v[64:65], v[96:97]
	s_branch .LBB6_15838
.LBB6_15911:                            ;   in Loop: Header=BB6_15659 Depth=2
	s_or_b32 exec_lo, exec_lo, s18
.LBB6_15912:                            ;   in Loop: Header=BB6_15659 Depth=2
	s_or_b32 exec_lo, exec_lo, s17
	s_add_i32 s16, s21, 1
	s_cmp_eq_u32 s21, s56
	s_cbranch_scc1 .LBB6_15914
; %bb.15913:                            ;   in Loop: Header=BB6_15659 Depth=2
	s_mov_b32 s21, s16
	s_branch .LBB6_15659
.LBB6_15914:                            ;   in Loop: Header=BB6_47 Depth=1
	s_clause 0x3
	buffer_load_dword v100, off, s[0:3], s33 offset:272
	buffer_load_dword v101, off, s[0:3], s33 offset:276
	;; [unrolled: 1-line block ×4, first 2 shown]
	s_waitcnt vmcnt(1)
	v_mul_lo_u32 v3, v10, s59
	s_waitcnt vmcnt(0)
	v_mul_lo_u32 v1, v11, s58
	v_mad_u64_u32 v[8:9], null, v10, s58, 0
	v_add3_u32 v9, v9, v3, v1
	s_clause 0x1
	buffer_load_dword v3, off, s[0:3], s33 offset:196
	buffer_load_dword v4, off, s[0:3], s33 offset:200
	s_waitcnt vmcnt(1)
	v_sub_co_u32 v3, vcc_lo, v3, v8
	s_waitcnt vmcnt(0)
	v_sub_co_ci_u32_e64 v4, null, v4, v9, vcc_lo
	v_cmp_lt_i64_e32 vcc_lo, v[10:11], v[3:4]
	v_cndmask_b32_e32 v3, v3, v10, vcc_lo
	v_mov_b32_e32 v10, 0
	v_max_i32_e32 v1, 0, v3
	v_cmp_lt_i32_e32 vcc_lo, 0, v3
	v_add_nc_u32_e32 v4, 31, v1
	s_and_b32 s16, s57, vcc_lo
	v_lshrrev_b32_e32 v4, 1, v4
	v_and_b32_e32 v4, 0x3ffffff0, v4
	v_max_i32_e32 v3, s45, v4
	v_mov_b32_e32 v4, 0
	s_and_saveexec_b32 s18, s16
	s_cbranch_execz .LBB6_16052
; %bb.15915:                            ;   in Loop: Header=BB6_47 Depth=1
	buffer_load_dword v4, off, s[0:3], s33 offset:188 ; 4-byte Folded Reload
	s_mov_b32 s22, 1
	s_mov_b32 s21, -1
	s_mov_b32 s19, 0
	s_waitcnt vmcnt(0)
	v_add_co_u32 v5, vcc_lo, v8, v4
	buffer_load_dword v4, off, s[0:3], s33 offset:192 ; 4-byte Folded Reload
	s_waitcnt vmcnt(0)
	v_add_co_ci_u32_e64 v16, null, v9, v4, vcc_lo
	v_mov_b32_e32 v4, 0
	s_branch .LBB6_15917
.LBB6_15916:                            ;   in Loop: Header=BB6_15917 Depth=2
	s_or_b32 exec_lo, exec_lo, s16
	v_add_nc_u32_e32 v4, v3, v4
	s_xor_b32 s16, s21, -1
	v_mov_b32_e32 v10, s22
	s_mov_b32 s21, 0
	s_mov_b32 s22, 2
	v_cmp_ge_i32_e32 vcc_lo, v4, v1
	s_or_b32 s16, s16, vcc_lo
	s_and_b32 s16, exec_lo, s16
	s_or_b32 s19, s16, s19
	s_andn2_b32 exec_lo, exec_lo, s19
	s_cbranch_execz .LBB6_16051
.LBB6_15917:                            ;   Parent Loop BB6_47 Depth=1
                                        ; =>  This Loop Header: Depth=2
                                        ;       Child Loop BB6_15925 Depth 3
                                        ;       Child Loop BB6_15949 Depth 3
	;; [unrolled: 1-line block ×9, first 2 shown]
	s_and_saveexec_b32 s17, s4
	s_cbranch_execz .LBB6_15919
; %bb.15918:                            ;   in Loop: Header=BB6_15917 Depth=2
	s_trap 2
	ds_read_b128 v[8:11], v0
	v_ashrrev_i32_e32 v12, 31, v4
	s_waitcnt lgkmcnt(0)
	v_add_co_u32 v13, vcc_lo, v10, v5
	v_add_co_ci_u32_e64 v14, null, v11, v16, vcc_lo
	v_add_co_u32 v8, vcc_lo, v8, v5
	v_add_co_ci_u32_e64 v9, null, v9, v16, vcc_lo
	;; [unrolled: 2-line block ×3, first 2 shown]
	v_cmp_ne_u64_e32 vcc_lo, 0, v[10:11]
	v_add_co_u32 v8, s16, v8, v4
	v_add_co_ci_u32_e64 v9, null, v9, v12, s16
	v_cndmask_b32_e32 v11, 0, v14, vcc_lo
	v_cndmask_b32_e32 v10, 0, v13, vcc_lo
	ds_write_b64 v0, v[8:9]
	ds_write_b64 v0, v[10:11]
.LBB6_15919:                            ;   in Loop: Header=BB6_15917 Depth=2
	s_or_b32 exec_lo, exec_lo, s17
	v_and_b32_e32 v8, 4, v44
	s_mov_b32 s17, exec_lo
	v_cmpx_ne_u32_e32 0, v8
	s_cbranch_execz .LBB6_15941
; %bb.15920:                            ;   in Loop: Header=BB6_15917 Depth=2
	v_add_co_u32 v8, vcc_lo, v96, 2
	v_add_co_ci_u32_e64 v9, null, 0, v97, vcc_lo
	s_mov_b32 s23, exec_lo
	s_waitcnt vmcnt(0) lgkmcnt(1)
	v_cmpx_lt_u64_e64 v[80:81], v[8:9]
	s_cbranch_execz .LBB6_15932
; %bb.15921:                            ;   in Loop: Header=BB6_15917 Depth=2
	v_and_b32_e32 v10, 64, v44
	s_mov_b32 s61, 0
	s_mov_b32 s73, 0
                                        ; implicit-def: $sgpr62
                                        ; implicit-def: $sgpr63
                                        ; implicit-def: $sgpr72
	v_cmp_eq_u32_e32 vcc_lo, 0, v10
	s_branch .LBB6_15925
.LBB6_15922:                            ;   in Loop: Header=BB6_15925 Depth=3
	s_waitcnt vmcnt(0) lgkmcnt(0)
	v_cmp_ge_u64_e64 s16, v[80:81], v[8:9]
	s_or_b32 s76, s76, exec_lo
	s_orn2_b32 s75, s16, exec_lo
.LBB6_15923:                            ;   in Loop: Header=BB6_15925 Depth=3
	s_or_b32 exec_lo, exec_lo, s78
	s_andn2_b32 s16, s72, exec_lo
	s_and_b32 s72, s76, exec_lo
	s_andn2_b32 s63, s63, exec_lo
	s_and_b32 s75, s75, exec_lo
	s_or_b32 s72, s16, s72
	s_or_b32 s63, s63, s75
.LBB6_15924:                            ;   in Loop: Header=BB6_15925 Depth=3
	s_or_b32 exec_lo, exec_lo, s74
	s_and_b32 s16, exec_lo, s63
	s_or_b32 s61, s16, s61
	s_andn2_b32 s16, s62, exec_lo
	s_and_b32 s62, s72, exec_lo
	s_or_b32 s62, s16, s62
	s_andn2_b32 exec_lo, exec_lo, s61
	s_cbranch_execz .LBB6_15929
.LBB6_15925:                            ;   Parent Loop BB6_47 Depth=1
                                        ;     Parent Loop BB6_15917 Depth=2
                                        ; =>    This Inner Loop Header: Depth=3
	s_sleep 1
	s_waitcnt vmcnt(0) lgkmcnt(0)
	flat_load_dwordx2 v[80:81], v[64:65] glc dlc
	s_or_b32 s72, s72, exec_lo
	s_or_b32 s63, s63, exec_lo
                                        ; implicit-def: $vgpr10
	s_and_saveexec_b32 s74, vcc_lo
	s_cbranch_execz .LBB6_15924
; %bb.15926:                            ;   in Loop: Header=BB6_15925 Depth=3
	s_cmpk_lt_i32 s73, 0x270f
	s_mov_b32 s75, -1
	s_cselect_b32 s77, -1, 0
	s_cmpk_gt_i32 s73, 0x270e
	s_cbranch_scc0 .LBB6_15928
; %bb.15927:                            ;   in Loop: Header=BB6_15925 Depth=3
	s_trap 2
	ds_read_b64 v[10:11], v0
	s_andn2_b32 s73, s77, exec_lo
	s_mov_b32 s76, 0
	s_waitcnt vmcnt(0) lgkmcnt(0)
	s_waitcnt_vscnt null, 0x0
	flat_load_dword v10, v[10:11] glc dlc
	s_waitcnt vmcnt(0) lgkmcnt(0)
	buffer_gl1_inv
	buffer_gl0_inv
	v_cmp_eq_u32_e64 s16, 0, v10
	s_and_b32 s16, s16, exec_lo
	s_or_b32 s77, s73, s16
	s_mov_b32 s73, 0
	s_and_saveexec_b32 s78, s77
	s_cbranch_execz .LBB6_15923
	s_branch .LBB6_15922
.LBB6_15928:                            ;   in Loop: Header=BB6_15925 Depth=3
	s_add_i32 s73, s73, 1
	s_mov_b32 s76, -1
                                        ; implicit-def: $vgpr10
	s_and_saveexec_b32 s78, s77
	s_cbranch_execz .LBB6_15923
	s_branch .LBB6_15922
.LBB6_15929:                            ;   in Loop: Header=BB6_15917 Depth=2
	s_or_b32 exec_lo, exec_lo, s61
	s_xor_b32 s16, s62, -1
	s_and_saveexec_b32 s61, s16
	s_xor_b32 s16, exec_lo, s61
	s_cbranch_execz .LBB6_15931
; %bb.15930:                            ;   in Loop: Header=BB6_15917 Depth=2
	v_or_b32_e32 v44, 64, v44
	s_waitcnt vmcnt(0) lgkmcnt(0)
	s_waitcnt_vscnt null, 0x0
	ds_write_b32 v0, v10
	s_trap 2
.LBB6_15931:                            ;   in Loop: Header=BB6_15917 Depth=2
	s_or_b32 exec_lo, exec_lo, s16
.LBB6_15932:                            ;   in Loop: Header=BB6_15917 Depth=2
	s_or_b32 exec_lo, exec_lo, s23
	v_and_b32_e32 v10, 0x100, v44
	v_and_b32_e32 v14, 7, v96
	s_mov_b32 s16, -1
	;;#ASMSTART
	s_wakeup
	;;#ASMEND
	v_cmp_ne_u32_e32 vcc_lo, 0, v10
                                        ; implicit-def: $vgpr10_vgpr11
	s_and_saveexec_b32 s23, vcc_lo
	s_cbranch_execz .LBB6_15936
; %bb.15933:                            ;   in Loop: Header=BB6_15917 Depth=2
	v_mad_u64_u32 v[12:13], null, v14, 24, v[6:7]
	flat_load_dword v10, v[12:13]
	s_waitcnt vmcnt(0) lgkmcnt(0)
	v_cmp_eq_u32_e64 s16, 1, v10
	v_cmp_ne_u32_e32 vcc_lo, 1, v10
                                        ; implicit-def: $vgpr10_vgpr11
	s_and_saveexec_b32 s61, s16
	s_cbranch_execz .LBB6_15935
; %bb.15934:                            ;   in Loop: Header=BB6_15917 Depth=2
	flat_load_dword v10, v[12:13] offset:4 glc dlc
	s_waitcnt vmcnt(0) lgkmcnt(0)
	v_ashrrev_i32_e32 v11, 31, v10
.LBB6_15935:                            ;   in Loop: Header=BB6_15917 Depth=2
	s_or_b32 exec_lo, exec_lo, s61
	s_orn2_b32 s16, vcc_lo, exec_lo
.LBB6_15936:                            ;   in Loop: Header=BB6_15917 Depth=2
	s_or_b32 exec_lo, exec_lo, s23
	s_and_saveexec_b32 s23, s16
; %bb.15937:                            ;   in Loop: Header=BB6_15917 Depth=2
	v_mad_i64_i32 v[10:11], null, v14, v45, 0
; %bb.15938:                            ;   in Loop: Header=BB6_15917 Depth=2
	s_or_b32 exec_lo, exec_lo, s23
	v_add_co_u32 v10, vcc_lo, v66, v10
	v_and_b32_e32 v12, 0x2000, v44
	v_add_co_ci_u32_e64 v11, null, v67, v11, vcc_lo
	s_mov_b32 s16, exec_lo
	ds_write_b64 v0, v[10:11] offset:720
	v_cmpx_ne_u32_e32 0, v12
	s_cbranch_execz .LBB6_15940
; %bb.15939:                            ;   in Loop: Header=BB6_15917 Depth=2
	ds_read_b64 v[10:11], v0 offset:872
	s_waitcnt lgkmcnt(0)
	v_add_co_u32 v10, vcc_lo, v10, 1
	v_add_co_ci_u32_e64 v11, null, 0, v11, vcc_lo
	ds_write_b64 v0, v[10:11] offset:872
.LBB6_15940:                            ;   in Loop: Header=BB6_15917 Depth=2
	s_or_b32 exec_lo, exec_lo, s16
	v_mov_b32_e32 v97, v9
	v_mov_b32_e32 v96, v8
.LBB6_15941:                            ;   in Loop: Header=BB6_15917 Depth=2
	s_or_b32 exec_lo, exec_lo, s17
	s_and_saveexec_b32 s16, s6
	s_cbranch_execz .LBB6_15960
; %bb.15942:                            ;   in Loop: Header=BB6_15917 Depth=2
	s_and_saveexec_b32 s17, s29
	s_xor_b32 s17, exec_lo, s17
	s_cbranch_execz .LBB6_15957
; %bb.15943:                            ;   in Loop: Header=BB6_15917 Depth=2
	s_and_saveexec_b32 s23, s11
	s_cbranch_execz .LBB6_15956
; %bb.15944:                            ;   in Loop: Header=BB6_15917 Depth=2
	s_mov_b32 s62, exec_lo
	s_mov_b32 s61, exec_lo
	v_mbcnt_lo_u32_b32 v8, s62, 0
	s_waitcnt vmcnt(0) lgkmcnt(0)
	s_waitcnt_vscnt null, 0x0
	buffer_gl1_inv
	buffer_gl0_inv
	v_cmpx_eq_u32_e32 0, v8
	s_cbranch_execz .LBB6_15946
; %bb.15945:                            ;   in Loop: Header=BB6_15917 Depth=2
	s_bcnt1_i32_b32 s62, s62
	v_mov_b32_e32 v9, v2
	v_mov_b32_e32 v8, s62
	ds_add_u64 v0, v[8:9]
	s_trap 2
.LBB6_15946:                            ;   in Loop: Header=BB6_15917 Depth=2
	s_or_b32 exec_lo, exec_lo, s61
	s_trap 2
	ds_read_b64 v[8:9], v0
	s_waitcnt lgkmcnt(0)
	buffer_gl0_inv
	v_add_co_u32 v70, vcc_lo, v70, v47
	v_add_co_ci_u32_e64 v71, null, 0, v71, vcc_lo
	s_mov_b32 s61, exec_lo
	v_cmpx_lt_u64_e64 v[8:9], v[70:71]
	s_cbranch_execz .LBB6_15955
; %bb.15947:                            ;   in Loop: Header=BB6_15917 Depth=2
	s_mov_b32 s62, 0
	s_mov_b32 s73, 0
                                        ; implicit-def: $sgpr63
                                        ; implicit-def: $sgpr72
	s_inst_prefetch 0x1
	s_branch .LBB6_15949
	.p2align	6
.LBB6_15948:                            ;   in Loop: Header=BB6_15949 Depth=3
	s_or_b32 exec_lo, exec_lo, s75
	s_and_b32 s74, exec_lo, s76
	s_or_b32 s62, s74, s62
	s_andn2_b32 s63, s63, exec_lo
	s_and_b32 s74, s72, exec_lo
	s_or_b32 s63, s63, s74
	s_andn2_b32 exec_lo, exec_lo, s62
	s_cbranch_execz .LBB6_15953
.LBB6_15949:                            ;   Parent Loop BB6_47 Depth=1
                                        ;     Parent Loop BB6_15917 Depth=2
                                        ; =>    This Inner Loop Header: Depth=3
	s_add_i32 s73, s73, 1
	s_cmpk_lg_i32 s73, 0x2710
	s_cselect_b32 s74, -1, 0
	s_and_b32 vcc_lo, exec_lo, s74
	s_cbranch_vccz .LBB6_15951
; %bb.15950:                            ;   in Loop: Header=BB6_15949 Depth=3
	s_mov_b32 s76, -1
	s_or_b32 s72, s72, exec_lo
	s_and_saveexec_b32 s75, s74
	s_cbranch_execz .LBB6_15948
	s_branch .LBB6_15952
	.p2align	6
.LBB6_15951:                            ;   in Loop: Header=BB6_15949 Depth=3
	s_trap 2
	ds_read_b64 v[8:9], v0
	s_andn2_b32 s74, s74, exec_lo
	s_mov_b32 s73, 0
	s_waitcnt lgkmcnt(0)
	flat_load_dword v8, v[8:9] glc dlc
	s_waitcnt vmcnt(0) lgkmcnt(0)
	buffer_gl1_inv
	buffer_gl0_inv
	v_cmp_eq_u32_e32 vcc_lo, 0, v8
	s_and_b32 s75, vcc_lo, exec_lo
	s_or_b32 s74, s74, s75
	s_mov_b32 s76, -1
	s_or_b32 s72, s72, exec_lo
	s_and_saveexec_b32 s75, s74
	s_cbranch_execz .LBB6_15948
.LBB6_15952:                            ;   in Loop: Header=BB6_15949 Depth=3
	s_sleep 1
	s_trap 2
	ds_read_b64 v[8:9], v0
	s_waitcnt lgkmcnt(0)
	buffer_gl0_inv
	s_andn2_b32 s72, s72, exec_lo
	v_cmp_ge_u64_e32 vcc_lo, v[8:9], v[70:71]
	s_orn2_b32 s76, vcc_lo, exec_lo
	s_branch .LBB6_15948
.LBB6_15953:                            ;   in Loop: Header=BB6_15917 Depth=2
	s_inst_prefetch 0x2
	s_or_b32 exec_lo, exec_lo, s62
	s_and_saveexec_b32 s62, s63
	s_xor_b32 s62, exec_lo, s62
	s_cbranch_execz .LBB6_15955
; %bb.15954:                            ;   in Loop: Header=BB6_15917 Depth=2
	ds_write_b32 v0, v59
	s_trap 2
.LBB6_15955:                            ;   in Loop: Header=BB6_15917 Depth=2
	s_or_b32 exec_lo, exec_lo, s61
	;;#ASMSTART
	s_wakeup
	;;#ASMEND
.LBB6_15956:                            ;   in Loop: Header=BB6_15917 Depth=2
	s_or_b32 exec_lo, exec_lo, s23
.LBB6_15957:                            ;   in Loop: Header=BB6_15917 Depth=2
	s_andn2_saveexec_b32 s17, s17
	s_cbranch_execz .LBB6_15959
; %bb.15958:                            ;   in Loop: Header=BB6_15917 Depth=2
	s_waitcnt vmcnt(0) lgkmcnt(0)
	s_waitcnt_vscnt null, 0x0
	buffer_gl1_inv
	buffer_gl0_inv
	s_barrier
.LBB6_15959:                            ;   in Loop: Header=BB6_15917 Depth=2
	s_or_b32 exec_lo, exec_lo, s17
.LBB6_15960:                            ;   in Loop: Header=BB6_15917 Depth=2
	s_or_b32 exec_lo, exec_lo, s16
	s_trap 2
	ds_read_b32 v12, v0
	v_and_b32_e32 v8, 0x4000, v44
	s_xor_b32 s16, s5, -1
	v_cmp_ne_u32_e32 vcc_lo, 0, v8
	s_and_b32 s17, s16, vcc_lo
	s_and_saveexec_b32 s16, s17
	s_cbranch_execz .LBB6_15979
; %bb.15961:                            ;   in Loop: Header=BB6_15917 Depth=2
	s_and_saveexec_b32 s17, s29
	s_xor_b32 s17, exec_lo, s17
	s_cbranch_execz .LBB6_15976
; %bb.15962:                            ;   in Loop: Header=BB6_15917 Depth=2
	s_and_saveexec_b32 s23, s11
	s_cbranch_execz .LBB6_15975
; %bb.15963:                            ;   in Loop: Header=BB6_15917 Depth=2
	s_mov_b32 s62, exec_lo
	s_mov_b32 s61, exec_lo
	v_mbcnt_lo_u32_b32 v8, s62, 0
	s_waitcnt vmcnt(0) lgkmcnt(0)
	s_waitcnt_vscnt null, 0x0
	buffer_gl1_inv
	buffer_gl0_inv
	v_cmpx_eq_u32_e32 0, v8
	s_cbranch_execz .LBB6_15965
; %bb.15964:                            ;   in Loop: Header=BB6_15917 Depth=2
	s_bcnt1_i32_b32 s62, s62
	v_mov_b32_e32 v9, v2
	v_mov_b32_e32 v8, s62
	ds_add_u64 v0, v[8:9]
	s_trap 2
.LBB6_15965:                            ;   in Loop: Header=BB6_15917 Depth=2
	s_or_b32 exec_lo, exec_lo, s61
	s_trap 2
	ds_read_b64 v[8:9], v0
	s_waitcnt lgkmcnt(0)
	buffer_gl0_inv
	v_add_co_u32 v70, vcc_lo, v70, v47
	v_add_co_ci_u32_e64 v71, null, 0, v71, vcc_lo
	s_mov_b32 s61, exec_lo
	v_cmpx_lt_u64_e64 v[8:9], v[70:71]
	s_cbranch_execz .LBB6_15974
; %bb.15966:                            ;   in Loop: Header=BB6_15917 Depth=2
	s_mov_b32 s62, 0
	s_mov_b32 s73, 0
                                        ; implicit-def: $sgpr63
                                        ; implicit-def: $sgpr72
	s_inst_prefetch 0x1
	s_branch .LBB6_15968
	.p2align	6
.LBB6_15967:                            ;   in Loop: Header=BB6_15968 Depth=3
	s_or_b32 exec_lo, exec_lo, s75
	s_and_b32 s74, exec_lo, s76
	s_or_b32 s62, s74, s62
	s_andn2_b32 s63, s63, exec_lo
	s_and_b32 s74, s72, exec_lo
	s_or_b32 s63, s63, s74
	s_andn2_b32 exec_lo, exec_lo, s62
	s_cbranch_execz .LBB6_15972
.LBB6_15968:                            ;   Parent Loop BB6_47 Depth=1
                                        ;     Parent Loop BB6_15917 Depth=2
                                        ; =>    This Inner Loop Header: Depth=3
	s_add_i32 s73, s73, 1
	s_cmpk_lg_i32 s73, 0x2710
	s_cselect_b32 s74, -1, 0
	s_and_b32 vcc_lo, exec_lo, s74
	s_cbranch_vccz .LBB6_15970
; %bb.15969:                            ;   in Loop: Header=BB6_15968 Depth=3
	s_mov_b32 s76, -1
	s_or_b32 s72, s72, exec_lo
	s_and_saveexec_b32 s75, s74
	s_cbranch_execz .LBB6_15967
	s_branch .LBB6_15971
	.p2align	6
.LBB6_15970:                            ;   in Loop: Header=BB6_15968 Depth=3
	s_trap 2
	ds_read_b64 v[8:9], v0
	s_andn2_b32 s74, s74, exec_lo
	s_mov_b32 s73, 0
	s_waitcnt lgkmcnt(0)
	flat_load_dword v8, v[8:9] glc dlc
	s_waitcnt vmcnt(0) lgkmcnt(0)
	buffer_gl1_inv
	buffer_gl0_inv
	v_cmp_eq_u32_e32 vcc_lo, 0, v8
	s_and_b32 s75, vcc_lo, exec_lo
	s_or_b32 s74, s74, s75
	s_mov_b32 s76, -1
	s_or_b32 s72, s72, exec_lo
	s_and_saveexec_b32 s75, s74
	s_cbranch_execz .LBB6_15967
.LBB6_15971:                            ;   in Loop: Header=BB6_15968 Depth=3
	s_sleep 1
	s_trap 2
	ds_read_b64 v[8:9], v0
	s_waitcnt lgkmcnt(0)
	buffer_gl0_inv
	s_andn2_b32 s72, s72, exec_lo
	v_cmp_ge_u64_e32 vcc_lo, v[8:9], v[70:71]
	s_orn2_b32 s76, vcc_lo, exec_lo
	s_branch .LBB6_15967
.LBB6_15972:                            ;   in Loop: Header=BB6_15917 Depth=2
	s_inst_prefetch 0x2
	s_or_b32 exec_lo, exec_lo, s62
	s_and_saveexec_b32 s62, s63
	s_xor_b32 s62, exec_lo, s62
	s_cbranch_execz .LBB6_15974
; %bb.15973:                            ;   in Loop: Header=BB6_15917 Depth=2
	ds_write_b32 v0, v59
	s_trap 2
.LBB6_15974:                            ;   in Loop: Header=BB6_15917 Depth=2
	s_or_b32 exec_lo, exec_lo, s61
	;;#ASMSTART
	s_wakeup
	;;#ASMEND
.LBB6_15975:                            ;   in Loop: Header=BB6_15917 Depth=2
	s_or_b32 exec_lo, exec_lo, s23
.LBB6_15976:                            ;   in Loop: Header=BB6_15917 Depth=2
	s_andn2_saveexec_b32 s17, s17
	s_cbranch_execz .LBB6_15978
; %bb.15977:                            ;   in Loop: Header=BB6_15917 Depth=2
	s_waitcnt vmcnt(0) lgkmcnt(0)
	s_waitcnt_vscnt null, 0x0
	buffer_gl1_inv
	buffer_gl0_inv
	s_barrier
.LBB6_15978:                            ;   in Loop: Header=BB6_15917 Depth=2
	s_or_b32 exec_lo, exec_lo, s17
.LBB6_15979:                            ;   in Loop: Header=BB6_15917 Depth=2
	s_or_b32 exec_lo, exec_lo, s16
	s_trap 2
	ds_read_b64 v[8:9], v0
	v_sub_nc_u32_e32 v10, v1, v4
	v_min_i32_e32 v3, v3, v10
	s_waitcnt lgkmcnt(0)
	v_cmp_eq_u64_e32 vcc_lo, 0, v[8:9]
	s_cbranch_vccnz .LBB6_15987
; %bb.15980:                            ;   in Loop: Header=BB6_15917 Depth=2
	s_trap 2
	ds_read_b64 v[10:11], v0
	s_waitcnt lgkmcnt(0)
	v_cmp_eq_u64_e32 vcc_lo, 0, v[10:11]
	s_cbranch_vccnz .LBB6_15987
; %bb.15981:                            ;   in Loop: Header=BB6_15917 Depth=2
	s_mov_b32 s16, -1
	s_and_saveexec_b32 s17, s13
	s_cbranch_execz .LBB6_15983
; %bb.15982:                            ;   in Loop: Header=BB6_15917 Depth=2
	ds_read_b32 v13, v0 offset:720
	s_waitcnt lgkmcnt(0)
	v_and_b32_e32 v13, 15, v13
	v_cmp_eq_u32_e32 vcc_lo, 0, v13
	s_orn2_b32 s16, vcc_lo, exec_lo
.LBB6_15983:                            ;   in Loop: Header=BB6_15917 Depth=2
	s_or_b32 exec_lo, exec_lo, s17
	s_and_saveexec_b32 s17, s12
	s_cbranch_execz .LBB6_15985
; %bb.15984:                            ;   in Loop: Header=BB6_15917 Depth=2
	ds_read_b32 v13, v0 offset:784
	s_waitcnt lgkmcnt(0)
	v_and_b32_e32 v13, 15, v13
	v_cmp_eq_u32_e32 vcc_lo, 0, v13
	s_and_b32 s23, s16, vcc_lo
	s_andn2_b32 s16, s16, exec_lo
	s_and_b32 s23, s23, exec_lo
	s_or_b32 s16, s16, s23
.LBB6_15985:                            ;   in Loop: Header=BB6_15917 Depth=2
	s_or_b32 exec_lo, exec_lo, s17
	v_cmp_eq_u32_e32 vcc_lo, 0, v12
	s_xor_b32 s16, s16, -1
	v_mov_b32_e32 v12, 0
	v_cndmask_b32_e64 v13, 0, 1, s16
	v_mov_b32_e32 v14, v0
	v_cndmask_b32_e32 v17, 0, v3, vcc_lo
	s_mov_b32 s16, -1
	v_cmp_ne_u32_e32 vcc_lo, 0, v13
	v_mov_b32_e32 v13, v17
	s_cbranch_vccz .LBB6_15992
; %bb.15986:                            ;   in Loop: Header=BB6_15917 Depth=2
	s_and_saveexec_b32 s17, s16
	s_cbranch_execnz .LBB6_16003
	s_branch .LBB6_16011
.LBB6_15987:                            ;   in Loop: Header=BB6_15917 Depth=2
	s_mov_b32 s16, 0
	s_and_saveexec_b32 s17, s6
	s_cbranch_execnz .LBB6_16012
.LBB6_15988:                            ;   in Loop: Header=BB6_15917 Depth=2
	s_or_b32 exec_lo, exec_lo, s17
	s_and_saveexec_b32 s17, s15
	s_xor_b32 s17, exec_lo, s17
	s_cbranch_execz .LBB6_16030
.LBB6_15989:                            ;   in Loop: Header=BB6_15917 Depth=2
	v_and_b32_e32 v8, 16, v44
	v_cmp_ne_u32_e32 vcc_lo, 0, v8
	s_and_b32 s23, vcc_lo, s16
	s_and_saveexec_b32 s16, s23
	s_cbranch_execz .LBB6_15991
; %bb.15990:                            ;   in Loop: Header=BB6_15917 Depth=2
	s_waitcnt vmcnt(0) lgkmcnt(0)
	s_waitcnt_vscnt null, 0x0
	buffer_gl1_inv
	buffer_gl0_inv
.LBB6_15991:                            ;   in Loop: Header=BB6_15917 Depth=2
	s_or_b32 exec_lo, exec_lo, s16
	s_andn2_saveexec_b32 s16, s17
	s_cbranch_execz .LBB6_16049
	s_branch .LBB6_16031
.LBB6_15992:                            ;   in Loop: Header=BB6_15917 Depth=2
	v_ashrrev_i32_e32 v12, 31, v17
	s_mov_b32 s17, exec_lo
	v_lshrrev_b32_e32 v12, 20, v12
	v_add_nc_u32_e32 v12, v17, v12
	v_ashrrev_i32_e32 v19, 12, v12
	v_lshrrev_b32_e32 v12, 5, v0
	v_sub_nc_u32_e32 v18, v19, v12
	v_cmpx_lt_i32_e32 0, v18
	s_cbranch_execz .LBB6_15996
; %bb.15993:                            ;   in Loop: Header=BB6_15917 Depth=2
	v_mov_b32_e32 v13, v11
	v_mov_b32_e32 v15, v9
	;; [unrolled: 1-line block ×4, first 2 shown]
	s_mov_b32 s23, 0
.LBB6_15994:                            ;   Parent Loop BB6_47 Depth=1
                                        ;     Parent Loop BB6_15917 Depth=2
                                        ; =>    This Inner Loop Header: Depth=3
	v_add_co_u32 v32, vcc_lo, v91, v14
	v_add_co_ci_u32_e64 v33, null, 0, v15, vcc_lo
	v_sub_nc_u32_e32 v18, v18, v47
	v_add_co_u32 v82, vcc_lo, 0x800, v32
	v_add_co_ci_u32_e64 v83, null, 0, v33, vcc_lo
	s_clause 0x3
	global_load_dwordx4 v[20:23], v[32:33], off slc
	global_load_dwordx4 v[24:27], v[32:33], off offset:512 slc
	global_load_dwordx4 v[28:31], v[32:33], off offset:1024 slc
	;; [unrolled: 1-line block ×3, first 2 shown]
	s_clause 0x3
	global_load_dwordx4 v[36:39], v[82:83], off slc
	global_load_dwordx4 v[48:51], v[82:83], off offset:512 slc
	global_load_dwordx4 v[52:55], v[82:83], off offset:1024 slc
	global_load_dwordx4 v[82:85], v[82:83], off offset:1536 slc
	v_add_co_u32 v86, vcc_lo, v91, v12
	v_add_co_ci_u32_e64 v87, null, 0, v13, vcc_lo
	v_add_co_u32 v14, vcc_lo, v14, v75
	v_add_co_ci_u32_e64 v15, null, 0, v15, vcc_lo
	;; [unrolled: 2-line block ×3, first 2 shown]
	v_cmp_gt_i32_e32 vcc_lo, 1, v18
	v_add_co_u32 v98, s16, 0x800, v86
	v_add_co_ci_u32_e64 v99, null, 0, v87, s16
	s_or_b32 s23, vcc_lo, s23
	s_waitcnt vmcnt(7)
	global_store_dwordx4 v[86:87], v[20:23], off glc slc
	s_waitcnt vmcnt(6)
	global_store_dwordx4 v[86:87], v[24:27], off offset:512 glc slc
	s_waitcnt vmcnt(5)
	global_store_dwordx4 v[86:87], v[28:31], off offset:1024 glc slc
	;; [unrolled: 2-line block ×3, first 2 shown]
	s_waitcnt vmcnt(3)
	global_store_dwordx4 v[98:99], v[36:39], off glc slc
	s_waitcnt vmcnt(2)
	global_store_dwordx4 v[98:99], v[48:51], off offset:512 glc slc
	s_waitcnt vmcnt(1)
	global_store_dwordx4 v[98:99], v[52:55], off offset:1024 glc slc
	;; [unrolled: 2-line block ×3, first 2 shown]
	s_andn2_b32 exec_lo, exec_lo, s23
	s_cbranch_execnz .LBB6_15994
; %bb.15995:                            ;   in Loop: Header=BB6_15917 Depth=2
	s_or_b32 exec_lo, exec_lo, s23
.LBB6_15996:                            ;   in Loop: Header=BB6_15917 Depth=2
	s_or_b32 exec_lo, exec_lo, s17
	v_lshlrev_b32_e32 v15, 12, v19
	v_mov_b32_e32 v12, 0
	s_mov_b32 s16, 0
	s_mov_b32 s23, exec_lo
                                        ; implicit-def: $vgpr13
                                        ; implicit-def: $vgpr14
	v_cmpx_ne_u32_e64 v17, v15
	s_cbranch_execz .LBB6_16002
; %bb.15997:                            ;   in Loop: Header=BB6_15917 Depth=2
	v_lshlrev_b32_e32 v12, 5, v18
	v_sub_nc_u32_e32 v18, v17, v15
	s_mov_b32 s61, exec_lo
	v_sub_nc_u32_e32 v12, v103, v12
	v_ashrrev_i32_e32 v14, 31, v18
	v_ashrrev_i32_e32 v13, 31, v12
	v_lshrrev_b32_e32 v14, 23, v14
	v_lshrrev_b32_e32 v13, 27, v13
	v_add_nc_u32_e32 v20, v18, v14
	v_add_nc_u32_e32 v13, v12, v13
	v_ashrrev_i32_e32 v22, 9, v20
	v_and_b32_e32 v19, 0xffffffe0, v13
	v_ashrrev_i32_e32 v21, 5, v13
	v_sub_nc_u32_e32 v14, v12, v19
	v_and_b32_e32 v12, 0xfffffe00, v20
	v_lshlrev_b32_e32 v19, 4, v14
	v_sub_nc_u32_e32 v13, v18, v12
	v_lshl_add_u32 v20, v21, 9, v19
	v_cmp_lt_i32_e32 vcc_lo, 15, v13
	v_sub_nc_u32_e32 v19, v18, v20
	v_add_co_ci_u32_e64 v22, null, 0, v22, vcc_lo
	v_sub_nc_u32_e32 v18, v22, v21
	v_cmpx_lt_i32_e32 15, v19
	s_cbranch_execz .LBB6_16001
; %bb.15998:                            ;   in Loop: Header=BB6_15917 Depth=2
	v_add_nc_u32_e32 v20, v20, v15
	s_mov_b32 s62, 0
	v_ashrrev_i32_e32 v21, 31, v20
	.p2align	6
.LBB6_15999:                            ;   Parent Loop BB6_47 Depth=1
                                        ;     Parent Loop BB6_15917 Depth=2
                                        ; =>    This Inner Loop Header: Depth=3
	v_add_co_u32 v22, s16, v8, v20
	v_add_co_ci_u32_e64 v23, null, v9, v21, s16
	v_sub_nc_u32_e32 v19, v19, v76
	v_add_co_u32 v26, s16, v10, v20
	global_load_dwordx4 v[22:25], v[22:23], off slc
	v_add_co_ci_u32_e64 v27, null, v11, v21, s16
	v_cmp_gt_i32_e64 s16, 16, v19
	v_add_co_u32 v20, s17, v20, v76
	v_sub_nc_u32_e32 v18, v18, v47
	v_add_co_ci_u32_e64 v21, null, 0, v21, s17
	s_or_b32 s62, s16, s62
	s_waitcnt vmcnt(0)
	global_store_dwordx4 v[26:27], v[22:25], off glc slc
	s_andn2_b32 exec_lo, exec_lo, s62
	s_cbranch_execnz .LBB6_15999
; %bb.16000:                            ;   in Loop: Header=BB6_15917 Depth=2
	s_or_b32 exec_lo, exec_lo, s62
.LBB6_16001:                            ;   in Loop: Header=BB6_15917 Depth=2
	s_or_b32 exec_lo, exec_lo, s61
	v_and_b32_e32 v19, 15, v17
	v_cmp_lt_i32_e64 s16, 0, v18
	v_sub_nc_u32_e32 v20, v13, v19
	v_cndmask_b32_e64 v21, 0, v47, s16
	v_cndmask_b32_e32 v13, v13, v19, vcc_lo
	v_cndmask_b32_e32 v19, 0, v20, vcc_lo
	v_sub_nc_u32_e32 v18, v21, v18
	v_cmp_ne_u32_e32 vcc_lo, 0, v13
	v_add3_u32 v12, v12, v15, v19
	v_lshl_add_u32 v14, v18, 5, v14
	s_and_b32 s16, vcc_lo, exec_lo
.LBB6_16002:                            ;   in Loop: Header=BB6_15917 Depth=2
	s_or_b32 exec_lo, exec_lo, s23
	s_and_saveexec_b32 s17, s16
	s_cbranch_execz .LBB6_16011
.LBB6_16003:                            ;   in Loop: Header=BB6_15917 Depth=2
	v_ashrrev_i32_e32 v15, 31, v14
	v_ashrrev_i32_e32 v18, 31, v13
	s_mov_b32 s16, exec_lo
	v_lshrrev_b32_e32 v15, 27, v15
	v_lshrrev_b32_e32 v18, 22, v18
	v_add_nc_u32_e32 v20, v14, v15
	v_add_nc_u32_e32 v18, v13, v18
	v_ashrrev_i32_e32 v15, 5, v20
	v_ashrrev_i32_e32 v19, 10, v18
	v_sub_nc_u32_e32 v18, v19, v15
	v_cmpx_lt_i32_e32 0, v18
	s_cbranch_execz .LBB6_16007
; %bb.16004:                            ;   in Loop: Header=BB6_15917 Depth=2
	v_and_b32_e32 v20, 0xffffffe0, v20
	v_lshlrev_b32_e32 v21, 10, v15
	s_mov_b32 s23, 0
	v_sub_nc_u32_e32 v20, v14, v20
	v_add3_u32 v20, v12, v20, v21
	v_ashrrev_i32_e32 v21, 31, v20
.LBB6_16005:                            ;   Parent Loop BB6_47 Depth=1
                                        ;     Parent Loop BB6_15917 Depth=2
                                        ; =>    This Inner Loop Header: Depth=3
	v_add_co_u32 v22, vcc_lo, v20, v8
	v_add_co_ci_u32_e64 v23, null, v21, v9, vcc_lo
	v_sub_nc_u32_e32 v18, v18, v47
	s_clause 0x1f
	flat_load_ubyte v24, v[22:23] slc
	flat_load_ubyte v25, v[22:23] offset:32 slc
	flat_load_ubyte v26, v[22:23] offset:64 slc
	;; [unrolled: 1-line block ×31, first 2 shown]
	v_add_co_u32 v22, vcc_lo, v20, v10
	v_add_co_ci_u32_e64 v23, null, v21, v11, vcc_lo
	v_add_co_u32 v8, vcc_lo, v8, v77
	v_add_co_ci_u32_e64 v9, null, 0, v9, vcc_lo
	;; [unrolled: 2-line block ×3, first 2 shown]
	v_cmp_gt_i32_e32 vcc_lo, 1, v18
	s_waitcnt vmcnt(31) lgkmcnt(31)
	flat_store_byte v[22:23], v24 glc slc
	s_waitcnt vmcnt(30) lgkmcnt(31)
	flat_store_byte v[22:23], v25 offset:32 glc slc
	s_waitcnt vmcnt(29) lgkmcnt(31)
	flat_store_byte v[22:23], v26 offset:64 glc slc
	;; [unrolled: 2-line block ×31, first 2 shown]
	s_or_b32 s23, vcc_lo, s23
	s_andn2_b32 exec_lo, exec_lo, s23
	s_cbranch_execnz .LBB6_16005
; %bb.16006:                            ;   in Loop: Header=BB6_15917 Depth=2
	s_or_b32 exec_lo, exec_lo, s23
.LBB6_16007:                            ;   in Loop: Header=BB6_15917 Depth=2
	s_or_b32 exec_lo, exec_lo, s16
	v_lshlrev_b32_e32 v8, 10, v19
	v_cmp_ne_u32_e32 vcc_lo, v13, v8
	s_and_b32 exec_lo, exec_lo, vcc_lo
	s_cbranch_execz .LBB6_16011
; %bb.16008:                            ;   in Loop: Header=BB6_15917 Depth=2
	v_lshlrev_b32_e32 v9, 5, v15
	v_lshlrev_b32_e32 v10, 5, v18
	v_sub_nc_u32_e32 v9, v14, v9
	v_sub_nc_u32_e32 v9, v9, v10
	v_add_nc_u32_e32 v11, v8, v9
	v_sub_nc_u32_e32 v10, v13, v11
	v_cmp_lt_i32_e32 vcc_lo, 0, v10
	s_and_b32 exec_lo, exec_lo, vcc_lo
	s_cbranch_execz .LBB6_16011
; %bb.16009:                            ;   in Loop: Header=BB6_15917 Depth=2
	s_trap 2
	ds_read_b64 v[8:9], v0
	v_add_nc_u32_e32 v11, v11, v12
	s_mov_b32 s23, 0
	v_ashrrev_i32_e32 v12, 31, v11
	.p2align	6
.LBB6_16010:                            ;   Parent Loop BB6_47 Depth=1
                                        ;     Parent Loop BB6_15917 Depth=2
                                        ; =>    This Inner Loop Header: Depth=3
	s_waitcnt lgkmcnt(0)
	v_add_co_u32 v13, vcc_lo, v8, v11
	v_add_co_ci_u32_e64 v14, null, v9, v12, vcc_lo
	v_sub_nc_u32_e32 v10, v10, v58
	v_add_co_u32 v11, s16, v11, v58
	flat_load_ubyte v15, v[13:14] slc
	v_add_co_ci_u32_e64 v12, null, 0, v12, s16
	v_cmp_gt_i32_e32 vcc_lo, 1, v10
	s_or_b32 s23, vcc_lo, s23
	s_waitcnt vmcnt(0) lgkmcnt(0)
	flat_store_byte v[13:14], v15 glc slc
	s_andn2_b32 exec_lo, exec_lo, s23
	s_cbranch_execnz .LBB6_16010
.LBB6_16011:                            ;   in Loop: Header=BB6_15917 Depth=2
	s_or_b32 exec_lo, exec_lo, s17
	v_cmp_lt_i32_e64 s16, 0, v17
	s_and_saveexec_b32 s17, s6
	s_cbranch_execz .LBB6_15988
.LBB6_16012:                            ;   in Loop: Header=BB6_15917 Depth=2
	s_and_saveexec_b32 s23, s29
	s_xor_b32 s23, exec_lo, s23
	s_cbranch_execz .LBB6_16027
; %bb.16013:                            ;   in Loop: Header=BB6_15917 Depth=2
	s_and_saveexec_b32 s61, s11
	s_cbranch_execz .LBB6_16026
; %bb.16014:                            ;   in Loop: Header=BB6_15917 Depth=2
	s_mov_b32 s63, exec_lo
	s_mov_b32 s62, exec_lo
	v_mbcnt_lo_u32_b32 v8, s63, 0
	s_waitcnt vmcnt(0) lgkmcnt(0)
	s_waitcnt_vscnt null, 0x0
	buffer_gl1_inv
	buffer_gl0_inv
	v_cmpx_eq_u32_e32 0, v8
	s_cbranch_execz .LBB6_16016
; %bb.16015:                            ;   in Loop: Header=BB6_15917 Depth=2
	s_bcnt1_i32_b32 s63, s63
	v_mov_b32_e32 v9, v2
	v_mov_b32_e32 v8, s63
	ds_add_u64 v0, v[8:9]
	s_trap 2
.LBB6_16016:                            ;   in Loop: Header=BB6_15917 Depth=2
	s_or_b32 exec_lo, exec_lo, s62
	s_trap 2
	ds_read_b64 v[8:9], v0
	s_waitcnt lgkmcnt(0)
	buffer_gl0_inv
	v_add_co_u32 v70, vcc_lo, v70, v47
	v_add_co_ci_u32_e64 v71, null, 0, v71, vcc_lo
	s_mov_b32 s62, exec_lo
	v_cmpx_lt_u64_e64 v[8:9], v[70:71]
	s_cbranch_execz .LBB6_16025
; %bb.16017:                            ;   in Loop: Header=BB6_15917 Depth=2
	s_mov_b32 s63, 0
	s_mov_b32 s74, 0
                                        ; implicit-def: $sgpr72
                                        ; implicit-def: $sgpr73
	s_inst_prefetch 0x1
	s_branch .LBB6_16019
	.p2align	6
.LBB6_16018:                            ;   in Loop: Header=BB6_16019 Depth=3
	s_or_b32 exec_lo, exec_lo, s76
	s_and_b32 s75, exec_lo, s77
	s_or_b32 s63, s75, s63
	s_andn2_b32 s72, s72, exec_lo
	s_and_b32 s75, s73, exec_lo
	s_or_b32 s72, s72, s75
	s_andn2_b32 exec_lo, exec_lo, s63
	s_cbranch_execz .LBB6_16023
.LBB6_16019:                            ;   Parent Loop BB6_47 Depth=1
                                        ;     Parent Loop BB6_15917 Depth=2
                                        ; =>    This Inner Loop Header: Depth=3
	s_add_i32 s74, s74, 1
	s_cmpk_lg_i32 s74, 0x2710
	s_cselect_b32 s75, -1, 0
	s_and_b32 vcc_lo, exec_lo, s75
	s_cbranch_vccz .LBB6_16021
; %bb.16020:                            ;   in Loop: Header=BB6_16019 Depth=3
	s_mov_b32 s77, -1
	s_or_b32 s73, s73, exec_lo
	s_and_saveexec_b32 s76, s75
	s_cbranch_execz .LBB6_16018
	s_branch .LBB6_16022
	.p2align	6
.LBB6_16021:                            ;   in Loop: Header=BB6_16019 Depth=3
	s_trap 2
	ds_read_b64 v[8:9], v0
	s_andn2_b32 s75, s75, exec_lo
	s_mov_b32 s74, 0
	s_waitcnt lgkmcnt(0)
	flat_load_dword v8, v[8:9] glc dlc
	s_waitcnt vmcnt(0) lgkmcnt(0)
	buffer_gl1_inv
	buffer_gl0_inv
	v_cmp_eq_u32_e32 vcc_lo, 0, v8
	s_and_b32 s76, vcc_lo, exec_lo
	s_or_b32 s75, s75, s76
	s_mov_b32 s77, -1
	s_or_b32 s73, s73, exec_lo
	s_and_saveexec_b32 s76, s75
	s_cbranch_execz .LBB6_16018
.LBB6_16022:                            ;   in Loop: Header=BB6_16019 Depth=3
	s_sleep 1
	s_trap 2
	ds_read_b64 v[8:9], v0
	s_waitcnt lgkmcnt(0)
	buffer_gl0_inv
	s_andn2_b32 s73, s73, exec_lo
	v_cmp_ge_u64_e32 vcc_lo, v[8:9], v[70:71]
	s_orn2_b32 s77, vcc_lo, exec_lo
	s_branch .LBB6_16018
.LBB6_16023:                            ;   in Loop: Header=BB6_15917 Depth=2
	s_inst_prefetch 0x2
	s_or_b32 exec_lo, exec_lo, s63
	s_and_saveexec_b32 s63, s72
	s_xor_b32 s63, exec_lo, s63
	s_cbranch_execz .LBB6_16025
; %bb.16024:                            ;   in Loop: Header=BB6_15917 Depth=2
	ds_write_b32 v0, v59
	s_trap 2
.LBB6_16025:                            ;   in Loop: Header=BB6_15917 Depth=2
	s_or_b32 exec_lo, exec_lo, s62
	;;#ASMSTART
	s_wakeup
	;;#ASMEND
.LBB6_16026:                            ;   in Loop: Header=BB6_15917 Depth=2
	s_or_b32 exec_lo, exec_lo, s61
.LBB6_16027:                            ;   in Loop: Header=BB6_15917 Depth=2
	s_andn2_saveexec_b32 s23, s23
	s_cbranch_execz .LBB6_16029
; %bb.16028:                            ;   in Loop: Header=BB6_15917 Depth=2
	s_waitcnt vmcnt(0) lgkmcnt(0)
	s_waitcnt_vscnt null, 0x0
	buffer_gl1_inv
	buffer_gl0_inv
	s_barrier
.LBB6_16029:                            ;   in Loop: Header=BB6_15917 Depth=2
	s_or_b32 exec_lo, exec_lo, s23
	s_or_b32 exec_lo, exec_lo, s17
	s_and_saveexec_b32 s17, s15
	s_xor_b32 s17, exec_lo, s17
	s_cbranch_execnz .LBB6_15989
.LBB6_16030:                            ;   in Loop: Header=BB6_15917 Depth=2
	s_andn2_saveexec_b32 s16, s17
	s_cbranch_execz .LBB6_16049
.LBB6_16031:                            ;   in Loop: Header=BB6_15917 Depth=2
	s_and_saveexec_b32 s17, s29
	s_xor_b32 s17, exec_lo, s17
	s_cbranch_execz .LBB6_16046
; %bb.16032:                            ;   in Loop: Header=BB6_15917 Depth=2
	s_and_saveexec_b32 s23, s11
	s_cbranch_execz .LBB6_16045
; %bb.16033:                            ;   in Loop: Header=BB6_15917 Depth=2
	s_mov_b32 s62, exec_lo
	s_mov_b32 s61, exec_lo
	v_mbcnt_lo_u32_b32 v8, s62, 0
	;;#ASMSTART
	s_waitcnt lgkmcnt(0) vmcnt(0)
	;;#ASMEND
	v_cmpx_eq_u32_e32 0, v8
	s_cbranch_execz .LBB6_16035
; %bb.16034:                            ;   in Loop: Header=BB6_15917 Depth=2
	s_bcnt1_i32_b32 s62, s62
	v_mov_b32_e32 v9, v2
	v_mov_b32_e32 v8, s62
	s_waitcnt vmcnt(0) lgkmcnt(0)
	s_waitcnt_vscnt null, 0x0
	ds_add_u64 v0, v[8:9]
	s_trap 2
.LBB6_16035:                            ;   in Loop: Header=BB6_15917 Depth=2
	s_or_b32 exec_lo, exec_lo, s61
	s_trap 2
	ds_read_b64 v[8:9], v0
	s_waitcnt vmcnt(0) lgkmcnt(0)
	buffer_gl0_inv
	v_add_co_u32 v70, vcc_lo, v70, v47
	v_add_co_ci_u32_e64 v71, null, 0, v71, vcc_lo
	s_mov_b32 s61, exec_lo
	v_cmpx_lt_u64_e64 v[8:9], v[70:71]
	s_cbranch_execz .LBB6_16044
; %bb.16036:                            ;   in Loop: Header=BB6_15917 Depth=2
	s_mov_b32 s62, 0
	s_mov_b32 s73, 0
                                        ; implicit-def: $sgpr63
                                        ; implicit-def: $sgpr72
	s_inst_prefetch 0x1
	s_branch .LBB6_16038
	.p2align	6
.LBB6_16037:                            ;   in Loop: Header=BB6_16038 Depth=3
	s_or_b32 exec_lo, exec_lo, s75
	s_and_b32 s74, exec_lo, s76
	s_or_b32 s62, s74, s62
	s_andn2_b32 s63, s63, exec_lo
	s_and_b32 s74, s72, exec_lo
	s_or_b32 s63, s63, s74
	s_andn2_b32 exec_lo, exec_lo, s62
	s_cbranch_execz .LBB6_16042
.LBB6_16038:                            ;   Parent Loop BB6_47 Depth=1
                                        ;     Parent Loop BB6_15917 Depth=2
                                        ; =>    This Inner Loop Header: Depth=3
	s_add_i32 s73, s73, 1
	s_cmpk_lg_i32 s73, 0x2710
	s_cselect_b32 s74, -1, 0
	s_and_b32 vcc_lo, exec_lo, s74
	s_cbranch_vccz .LBB6_16040
; %bb.16039:                            ;   in Loop: Header=BB6_16038 Depth=3
	s_mov_b32 s76, -1
	s_or_b32 s72, s72, exec_lo
	s_and_saveexec_b32 s75, s74
	s_cbranch_execz .LBB6_16037
	s_branch .LBB6_16041
	.p2align	6
.LBB6_16040:                            ;   in Loop: Header=BB6_16038 Depth=3
	s_trap 2
	ds_read_b64 v[8:9], v0
	s_andn2_b32 s74, s74, exec_lo
	s_mov_b32 s73, 0
	s_waitcnt lgkmcnt(0)
	s_waitcnt_vscnt null, 0x0
	flat_load_dword v8, v[8:9] glc dlc
	s_waitcnt vmcnt(0) lgkmcnt(0)
	buffer_gl1_inv
	buffer_gl0_inv
	v_cmp_eq_u32_e32 vcc_lo, 0, v8
	s_and_b32 s75, vcc_lo, exec_lo
	s_or_b32 s74, s74, s75
	s_mov_b32 s76, -1
	s_or_b32 s72, s72, exec_lo
	s_and_saveexec_b32 s75, s74
	s_cbranch_execz .LBB6_16037
.LBB6_16041:                            ;   in Loop: Header=BB6_16038 Depth=3
	s_sleep 1
	s_trap 2
	ds_read_b64 v[8:9], v0
	s_waitcnt lgkmcnt(0)
	buffer_gl0_inv
	s_andn2_b32 s72, s72, exec_lo
	v_cmp_ge_u64_e32 vcc_lo, v[8:9], v[70:71]
	s_orn2_b32 s76, vcc_lo, exec_lo
	s_branch .LBB6_16037
.LBB6_16042:                            ;   in Loop: Header=BB6_15917 Depth=2
	s_inst_prefetch 0x2
	s_or_b32 exec_lo, exec_lo, s62
	s_and_saveexec_b32 s62, s63
	s_xor_b32 s62, exec_lo, s62
	s_cbranch_execz .LBB6_16044
; %bb.16043:                            ;   in Loop: Header=BB6_15917 Depth=2
	ds_write_b32 v0, v59
	s_trap 2
.LBB6_16044:                            ;   in Loop: Header=BB6_15917 Depth=2
	s_or_b32 exec_lo, exec_lo, s61
	;;#ASMSTART
	s_wakeup
	;;#ASMEND
.LBB6_16045:                            ;   in Loop: Header=BB6_15917 Depth=2
	s_or_b32 exec_lo, exec_lo, s23
.LBB6_16046:                            ;   in Loop: Header=BB6_15917 Depth=2
	s_andn2_saveexec_b32 s17, s17
	s_cbranch_execz .LBB6_16048
; %bb.16047:                            ;   in Loop: Header=BB6_15917 Depth=2
	;;#ASMSTART
	s_waitcnt lgkmcnt(0) vmcnt(0)
	;;#ASMEND
	s_barrier
.LBB6_16048:                            ;   in Loop: Header=BB6_15917 Depth=2
	s_or_b32 exec_lo, exec_lo, s17
.LBB6_16049:                            ;   in Loop: Header=BB6_15917 Depth=2
	s_or_b32 exec_lo, exec_lo, s16
	v_and_b32_e32 v8, 32, v44
	s_mov_b32 s16, exec_lo
	v_cmpx_ne_u32_e32 0, v8
	s_cbranch_execz .LBB6_15916
; %bb.16050:                            ;   in Loop: Header=BB6_15917 Depth=2
	v_add_co_u32 v96, vcc_lo, v96, 2
	v_add_co_ci_u32_e64 v97, null, 0, v97, vcc_lo
	s_waitcnt vmcnt(0) lgkmcnt(0)
	s_waitcnt_vscnt null, 0x0
	flat_store_dwordx2 v[64:65], v[96:97]
	s_branch .LBB6_15916
.LBB6_16051:                            ;   in Loop: Header=BB6_47 Depth=1
	s_or_b32 exec_lo, exec_lo, s19
.LBB6_16052:                            ;   in Loop: Header=BB6_47 Depth=1
	s_or_b32 exec_lo, exec_lo, s18
	s_mov_b32 s17, exec_lo
	v_cmpx_gt_i32_e32 2, v10
	s_cbranch_execnz .LBB6_16053
; %bb.16223:                            ;   in Loop: Header=BB6_47 Depth=1
	s_getpc_b64 s[34:35]
.Lpost_getpc52:
	s_add_u32 s34, s34, (.LBB6_46-.Lpost_getpc52)&4294967295
	s_addc_u32 s35, s35, (.LBB6_46-.Lpost_getpc52)>>32
	s_setpc_b64 s[34:35]
.LBB6_16053:                            ;   in Loop: Header=BB6_47 Depth=1
	v_cmp_eq_u32_e64 s19, 0, v10
	s_mov_b32 s18, 0
	s_branch .LBB6_16055
.LBB6_16054:                            ;   in Loop: Header=BB6_16055 Depth=2
	s_or_b32 exec_lo, exec_lo, s16
	v_add_nc_u32_e32 v4, v3, v4
	s_mov_b32 s19, 0
	s_andn2_b32 exec_lo, exec_lo, s18
	s_cbranch_execnz .LBB6_16055
; %bb.16225:                            ;   in Loop: Header=BB6_47 Depth=1
	s_getpc_b64 s[34:35]
.Lpost_getpc53:
	s_add_u32 s34, s34, (.LBB6_45-.Lpost_getpc53)&4294967295
	s_addc_u32 s35, s35, (.LBB6_45-.Lpost_getpc53)>>32
	s_setpc_b64 s[34:35]
.LBB6_16055:                            ;   Parent Loop BB6_47 Depth=1
                                        ; =>  This Loop Header: Depth=2
                                        ;       Child Loop BB6_16061 Depth 3
                                        ;       Child Loop BB6_16085 Depth 3
	;; [unrolled: 1-line block ×3, first 2 shown]
	v_and_b32_e32 v5, 4, v44
	s_mov_b32 s21, exec_lo
	v_cmpx_ne_u32_e32 0, v5
	s_cbranch_execz .LBB6_16077
; %bb.16056:                            ;   in Loop: Header=BB6_16055 Depth=2
	v_add_co_u32 v8, vcc_lo, v96, 2
	v_add_co_ci_u32_e64 v9, null, 0, v97, vcc_lo
	s_mov_b32 s22, exec_lo
	s_waitcnt vmcnt(0) lgkmcnt(1)
	v_cmpx_lt_u64_e64 v[80:81], v[8:9]
	s_cbranch_execz .LBB6_16068
; %bb.16057:                            ;   in Loop: Header=BB6_16055 Depth=2
	v_and_b32_e32 v5, 64, v44
	s_mov_b32 s23, 0
	s_mov_b32 s72, 0
                                        ; implicit-def: $sgpr61
                                        ; implicit-def: $sgpr62
                                        ; implicit-def: $sgpr63
	v_cmp_eq_u32_e32 vcc_lo, 0, v5
	s_branch .LBB6_16061
.LBB6_16058:                            ;   in Loop: Header=BB6_16061 Depth=3
	s_waitcnt vmcnt(0) lgkmcnt(0)
	v_cmp_ge_u64_e64 s16, v[80:81], v[8:9]
	s_or_b32 s75, s75, exec_lo
	s_orn2_b32 s74, s16, exec_lo
.LBB6_16059:                            ;   in Loop: Header=BB6_16061 Depth=3
	s_or_b32 exec_lo, exec_lo, s77
	s_andn2_b32 s16, s63, exec_lo
	s_and_b32 s63, s75, exec_lo
	s_andn2_b32 s62, s62, exec_lo
	s_and_b32 s74, s74, exec_lo
	s_or_b32 s63, s16, s63
	s_or_b32 s62, s62, s74
.LBB6_16060:                            ;   in Loop: Header=BB6_16061 Depth=3
	s_or_b32 exec_lo, exec_lo, s73
	s_and_b32 s16, exec_lo, s62
	s_or_b32 s23, s16, s23
	s_andn2_b32 s16, s61, exec_lo
	s_and_b32 s61, s63, exec_lo
	s_or_b32 s61, s16, s61
	s_andn2_b32 exec_lo, exec_lo, s23
	s_cbranch_execz .LBB6_16065
.LBB6_16061:                            ;   Parent Loop BB6_47 Depth=1
                                        ;     Parent Loop BB6_16055 Depth=2
                                        ; =>    This Inner Loop Header: Depth=3
	s_sleep 1
	s_waitcnt vmcnt(0) lgkmcnt(0)
	flat_load_dwordx2 v[80:81], v[64:65] glc dlc
	s_or_b32 s63, s63, exec_lo
	s_or_b32 s62, s62, exec_lo
                                        ; implicit-def: $vgpr5
	s_and_saveexec_b32 s73, vcc_lo
	s_cbranch_execz .LBB6_16060
; %bb.16062:                            ;   in Loop: Header=BB6_16061 Depth=3
	s_cmpk_lt_i32 s72, 0x270f
	s_mov_b32 s74, -1
	s_cselect_b32 s76, -1, 0
	s_cmpk_gt_i32 s72, 0x270e
	s_cbranch_scc0 .LBB6_16064
; %bb.16063:                            ;   in Loop: Header=BB6_16061 Depth=3
	s_trap 2
	ds_read_b64 v[10:11], v0
	s_andn2_b32 s72, s76, exec_lo
	s_mov_b32 s75, 0
	s_waitcnt vmcnt(0) lgkmcnt(0)
	s_waitcnt_vscnt null, 0x0
	flat_load_dword v5, v[10:11] glc dlc
	s_waitcnt vmcnt(0) lgkmcnt(0)
	buffer_gl1_inv
	buffer_gl0_inv
	v_cmp_eq_u32_e64 s16, 0, v5
	s_and_b32 s16, s16, exec_lo
	s_or_b32 s76, s72, s16
	s_mov_b32 s72, 0
	s_and_saveexec_b32 s77, s76
	s_cbranch_execz .LBB6_16059
	s_branch .LBB6_16058
.LBB6_16064:                            ;   in Loop: Header=BB6_16061 Depth=3
	s_add_i32 s72, s72, 1
	s_mov_b32 s75, -1
                                        ; implicit-def: $vgpr5
	s_and_saveexec_b32 s77, s76
	s_cbranch_execz .LBB6_16059
	s_branch .LBB6_16058
.LBB6_16065:                            ;   in Loop: Header=BB6_16055 Depth=2
	s_or_b32 exec_lo, exec_lo, s23
	s_xor_b32 s16, s61, -1
	s_and_saveexec_b32 s23, s16
	s_xor_b32 s16, exec_lo, s23
	s_cbranch_execz .LBB6_16067
; %bb.16066:                            ;   in Loop: Header=BB6_16055 Depth=2
	v_or_b32_e32 v44, 64, v44
	s_waitcnt vmcnt(0) lgkmcnt(0)
	s_waitcnt_vscnt null, 0x0
	ds_write_b32 v0, v5
	s_trap 2
.LBB6_16067:                            ;   in Loop: Header=BB6_16055 Depth=2
	s_or_b32 exec_lo, exec_lo, s16
.LBB6_16068:                            ;   in Loop: Header=BB6_16055 Depth=2
	s_or_b32 exec_lo, exec_lo, s22
	v_and_b32_e32 v5, 0x100, v44
	s_mov_b32 s16, -1
	;;#ASMSTART
	s_wakeup
	;;#ASMEND
                                        ; implicit-def: $vgpr10_vgpr11
	v_cmp_ne_u32_e32 vcc_lo, 0, v5
	v_and_b32_e32 v5, 7, v96
	s_and_saveexec_b32 s22, vcc_lo
	s_cbranch_execz .LBB6_16072
; %bb.16069:                            ;   in Loop: Header=BB6_16055 Depth=2
	v_mad_u64_u32 v[12:13], null, v5, 24, v[6:7]
	flat_load_dword v10, v[12:13]
	s_waitcnt vmcnt(0) lgkmcnt(0)
	v_cmp_eq_u32_e64 s16, 1, v10
	v_cmp_ne_u32_e32 vcc_lo, 1, v10
                                        ; implicit-def: $vgpr10_vgpr11
	s_and_saveexec_b32 s23, s16
	s_cbranch_execz .LBB6_16071
; %bb.16070:                            ;   in Loop: Header=BB6_16055 Depth=2
	flat_load_dword v10, v[12:13] offset:4 glc dlc
	s_waitcnt vmcnt(0) lgkmcnt(0)
	v_ashrrev_i32_e32 v11, 31, v10
.LBB6_16071:                            ;   in Loop: Header=BB6_16055 Depth=2
	s_or_b32 exec_lo, exec_lo, s23
	s_orn2_b32 s16, vcc_lo, exec_lo
.LBB6_16072:                            ;   in Loop: Header=BB6_16055 Depth=2
	s_or_b32 exec_lo, exec_lo, s22
	s_and_saveexec_b32 s22, s16
; %bb.16073:                            ;   in Loop: Header=BB6_16055 Depth=2
	v_mad_i64_i32 v[10:11], null, v5, v45, 0
; %bb.16074:                            ;   in Loop: Header=BB6_16055 Depth=2
	s_or_b32 exec_lo, exec_lo, s22
	v_add_co_u32 v10, vcc_lo, v66, v10
	v_and_b32_e32 v5, 0x2000, v44
	v_add_co_ci_u32_e64 v11, null, v67, v11, vcc_lo
	s_mov_b32 s16, exec_lo
	ds_write_b64 v0, v[10:11] offset:720
	v_cmpx_ne_u32_e32 0, v5
	s_cbranch_execz .LBB6_16076
; %bb.16075:                            ;   in Loop: Header=BB6_16055 Depth=2
	ds_read_b64 v[10:11], v0 offset:872
	s_waitcnt lgkmcnt(0)
	v_add_co_u32 v10, vcc_lo, v10, 1
	v_add_co_ci_u32_e64 v11, null, 0, v11, vcc_lo
	ds_write_b64 v0, v[10:11] offset:872
.LBB6_16076:                            ;   in Loop: Header=BB6_16055 Depth=2
	s_or_b32 exec_lo, exec_lo, s16
	v_mov_b32_e32 v97, v9
	v_mov_b32_e32 v96, v8
.LBB6_16077:                            ;   in Loop: Header=BB6_16055 Depth=2
	s_or_b32 exec_lo, exec_lo, s21
	s_xor_b32 s16, s19, -1
	s_and_b32 s16, exec_lo, s16
	s_or_b32 s18, s16, s18
	s_and_saveexec_b32 s16, s6
	s_cbranch_execz .LBB6_16096
; %bb.16078:                            ;   in Loop: Header=BB6_16055 Depth=2
	s_and_saveexec_b32 s19, s29
	s_xor_b32 s19, exec_lo, s19
	s_cbranch_execz .LBB6_16093
; %bb.16079:                            ;   in Loop: Header=BB6_16055 Depth=2
	s_and_saveexec_b32 s21, s11
	s_cbranch_execz .LBB6_16092
; %bb.16080:                            ;   in Loop: Header=BB6_16055 Depth=2
	s_mov_b32 s23, exec_lo
	s_mov_b32 s22, exec_lo
	v_mbcnt_lo_u32_b32 v5, s23, 0
	s_waitcnt vmcnt(0) lgkmcnt(0)
	s_waitcnt_vscnt null, 0x0
	buffer_gl1_inv
	buffer_gl0_inv
	v_cmpx_eq_u32_e32 0, v5
	s_cbranch_execz .LBB6_16082
; %bb.16081:                            ;   in Loop: Header=BB6_16055 Depth=2
	s_bcnt1_i32_b32 s23, s23
	v_mov_b32_e32 v9, v2
	v_mov_b32_e32 v8, s23
	ds_add_u64 v0, v[8:9]
	s_trap 2
.LBB6_16082:                            ;   in Loop: Header=BB6_16055 Depth=2
	s_or_b32 exec_lo, exec_lo, s22
	s_trap 2
	ds_read_b64 v[8:9], v0
	s_waitcnt lgkmcnt(0)
	buffer_gl0_inv
	v_add_co_u32 v70, vcc_lo, v70, v47
	v_add_co_ci_u32_e64 v71, null, 0, v71, vcc_lo
	s_mov_b32 s22, exec_lo
	v_cmpx_lt_u64_e64 v[8:9], v[70:71]
	s_cbranch_execz .LBB6_16091
; %bb.16083:                            ;   in Loop: Header=BB6_16055 Depth=2
	s_mov_b32 s23, 0
	s_mov_b32 s63, 0
                                        ; implicit-def: $sgpr61
                                        ; implicit-def: $sgpr62
	s_inst_prefetch 0x1
	s_branch .LBB6_16085
	.p2align	6
.LBB6_16084:                            ;   in Loop: Header=BB6_16085 Depth=3
	s_or_b32 exec_lo, exec_lo, s73
	s_and_b32 s72, exec_lo, s74
	s_or_b32 s23, s72, s23
	s_andn2_b32 s61, s61, exec_lo
	s_and_b32 s72, s62, exec_lo
	s_or_b32 s61, s61, s72
	s_andn2_b32 exec_lo, exec_lo, s23
	s_cbranch_execz .LBB6_16089
.LBB6_16085:                            ;   Parent Loop BB6_47 Depth=1
                                        ;     Parent Loop BB6_16055 Depth=2
                                        ; =>    This Inner Loop Header: Depth=3
	s_add_i32 s63, s63, 1
	s_cmpk_lg_i32 s63, 0x2710
	s_cselect_b32 s72, -1, 0
	s_and_b32 vcc_lo, exec_lo, s72
	s_cbranch_vccz .LBB6_16087
; %bb.16086:                            ;   in Loop: Header=BB6_16085 Depth=3
	s_mov_b32 s74, -1
	s_or_b32 s62, s62, exec_lo
	s_and_saveexec_b32 s73, s72
	s_cbranch_execz .LBB6_16084
	s_branch .LBB6_16088
	.p2align	6
.LBB6_16087:                            ;   in Loop: Header=BB6_16085 Depth=3
	s_trap 2
	ds_read_b64 v[8:9], v0
	s_andn2_b32 s72, s72, exec_lo
	s_mov_b32 s63, 0
	s_waitcnt lgkmcnt(0)
	flat_load_dword v5, v[8:9] glc dlc
	s_waitcnt vmcnt(0) lgkmcnt(0)
	buffer_gl1_inv
	buffer_gl0_inv
	v_cmp_eq_u32_e32 vcc_lo, 0, v5
	s_and_b32 s73, vcc_lo, exec_lo
	s_or_b32 s72, s72, s73
	s_mov_b32 s74, -1
	s_or_b32 s62, s62, exec_lo
	s_and_saveexec_b32 s73, s72
	s_cbranch_execz .LBB6_16084
.LBB6_16088:                            ;   in Loop: Header=BB6_16085 Depth=3
	s_sleep 1
	s_trap 2
	ds_read_b64 v[8:9], v0
	s_waitcnt lgkmcnt(0)
	buffer_gl0_inv
	s_andn2_b32 s62, s62, exec_lo
	v_cmp_ge_u64_e32 vcc_lo, v[8:9], v[70:71]
	s_orn2_b32 s74, vcc_lo, exec_lo
	s_branch .LBB6_16084
.LBB6_16089:                            ;   in Loop: Header=BB6_16055 Depth=2
	s_inst_prefetch 0x2
	s_or_b32 exec_lo, exec_lo, s23
	s_and_saveexec_b32 s23, s61
	s_xor_b32 s23, exec_lo, s23
	s_cbranch_execz .LBB6_16091
; %bb.16090:                            ;   in Loop: Header=BB6_16055 Depth=2
	ds_write_b32 v0, v59
	s_trap 2
.LBB6_16091:                            ;   in Loop: Header=BB6_16055 Depth=2
	s_or_b32 exec_lo, exec_lo, s22
	;;#ASMSTART
	s_wakeup
	;;#ASMEND
.LBB6_16092:                            ;   in Loop: Header=BB6_16055 Depth=2
	s_or_b32 exec_lo, exec_lo, s21
.LBB6_16093:                            ;   in Loop: Header=BB6_16055 Depth=2
	s_andn2_saveexec_b32 s19, s19
	s_cbranch_execz .LBB6_16095
; %bb.16094:                            ;   in Loop: Header=BB6_16055 Depth=2
	s_waitcnt vmcnt(0) lgkmcnt(0)
	s_waitcnt_vscnt null, 0x0
	buffer_gl1_inv
	buffer_gl0_inv
	s_barrier
.LBB6_16095:                            ;   in Loop: Header=BB6_16055 Depth=2
	s_or_b32 exec_lo, exec_lo, s19
.LBB6_16096:                            ;   in Loop: Header=BB6_16055 Depth=2
	s_or_b32 exec_lo, exec_lo, s16
	v_sub_nc_u32_e32 v5, v1, v4
	v_min_i32_e32 v3, v3, v5
	s_and_saveexec_b32 s16, s15
	s_xor_b32 s19, exec_lo, s16
	s_cbranch_execz .LBB6_16100
; %bb.16097:                            ;   in Loop: Header=BB6_16055 Depth=2
	s_trap 2
	ds_read_b32 v5, v0
	v_cmp_lt_i32_e32 vcc_lo, 0, v3
	s_waitcnt lgkmcnt(0)
	v_readfirstlane_b32 s16, v5
	v_and_b32_e32 v5, 16, v44
	s_cmp_eq_u32 s16, 0
	v_cmp_ne_u32_e64 s16, 0, v5
	s_cselect_b32 s21, -1, 0
	s_and_b32 s21, vcc_lo, s21
	s_and_b32 s21, s16, s21
	s_and_saveexec_b32 s16, s21
	s_cbranch_execz .LBB6_16099
; %bb.16098:                            ;   in Loop: Header=BB6_16055 Depth=2
	s_waitcnt vmcnt(0)
	s_waitcnt_vscnt null, 0x0
	buffer_gl1_inv
	buffer_gl0_inv
.LBB6_16099:                            ;   in Loop: Header=BB6_16055 Depth=2
	s_or_b32 exec_lo, exec_lo, s16
.LBB6_16100:                            ;   in Loop: Header=BB6_16055 Depth=2
	s_andn2_saveexec_b32 s16, s19
	s_cbranch_execz .LBB6_16119
; %bb.16101:                            ;   in Loop: Header=BB6_16055 Depth=2
	s_and_saveexec_b32 s19, s29
	s_xor_b32 s19, exec_lo, s19
	s_cbranch_execz .LBB6_16116
; %bb.16102:                            ;   in Loop: Header=BB6_16055 Depth=2
	s_and_saveexec_b32 s21, s11
	s_cbranch_execz .LBB6_16115
; %bb.16103:                            ;   in Loop: Header=BB6_16055 Depth=2
	s_mov_b32 s23, exec_lo
	s_mov_b32 s22, exec_lo
	v_mbcnt_lo_u32_b32 v5, s23, 0
	;;#ASMSTART
	s_waitcnt lgkmcnt(0) vmcnt(0)
	;;#ASMEND
	v_cmpx_eq_u32_e32 0, v5
	s_cbranch_execz .LBB6_16105
; %bb.16104:                            ;   in Loop: Header=BB6_16055 Depth=2
	s_bcnt1_i32_b32 s23, s23
	v_mov_b32_e32 v9, v2
	v_mov_b32_e32 v8, s23
	s_waitcnt vmcnt(0) lgkmcnt(0)
	s_waitcnt_vscnt null, 0x0
	ds_add_u64 v0, v[8:9]
	s_trap 2
.LBB6_16105:                            ;   in Loop: Header=BB6_16055 Depth=2
	s_or_b32 exec_lo, exec_lo, s22
	s_trap 2
	ds_read_b64 v[8:9], v0
	s_waitcnt vmcnt(0) lgkmcnt(0)
	buffer_gl0_inv
	v_add_co_u32 v70, vcc_lo, v70, v47
	v_add_co_ci_u32_e64 v71, null, 0, v71, vcc_lo
	s_mov_b32 s22, exec_lo
	v_cmpx_lt_u64_e64 v[8:9], v[70:71]
	s_cbranch_execz .LBB6_16114
; %bb.16106:                            ;   in Loop: Header=BB6_16055 Depth=2
	s_mov_b32 s23, 0
	s_mov_b32 s63, 0
                                        ; implicit-def: $sgpr61
                                        ; implicit-def: $sgpr62
	s_inst_prefetch 0x1
	s_branch .LBB6_16108
	.p2align	6
.LBB6_16107:                            ;   in Loop: Header=BB6_16108 Depth=3
	s_or_b32 exec_lo, exec_lo, s73
	s_and_b32 s72, exec_lo, s74
	s_or_b32 s23, s72, s23
	s_andn2_b32 s61, s61, exec_lo
	s_and_b32 s72, s62, exec_lo
	s_or_b32 s61, s61, s72
	s_andn2_b32 exec_lo, exec_lo, s23
	s_cbranch_execz .LBB6_16112
.LBB6_16108:                            ;   Parent Loop BB6_47 Depth=1
                                        ;     Parent Loop BB6_16055 Depth=2
                                        ; =>    This Inner Loop Header: Depth=3
	s_add_i32 s63, s63, 1
	s_cmpk_lg_i32 s63, 0x2710
	s_cselect_b32 s72, -1, 0
	s_and_b32 vcc_lo, exec_lo, s72
	s_cbranch_vccz .LBB6_16110
; %bb.16109:                            ;   in Loop: Header=BB6_16108 Depth=3
	s_mov_b32 s74, -1
	s_or_b32 s62, s62, exec_lo
	s_and_saveexec_b32 s73, s72
	s_cbranch_execz .LBB6_16107
	s_branch .LBB6_16111
	.p2align	6
.LBB6_16110:                            ;   in Loop: Header=BB6_16108 Depth=3
	s_trap 2
	ds_read_b64 v[8:9], v0
	s_andn2_b32 s72, s72, exec_lo
	s_mov_b32 s63, 0
	s_waitcnt lgkmcnt(0)
	s_waitcnt_vscnt null, 0x0
	flat_load_dword v5, v[8:9] glc dlc
	s_waitcnt vmcnt(0) lgkmcnt(0)
	buffer_gl1_inv
	buffer_gl0_inv
	v_cmp_eq_u32_e32 vcc_lo, 0, v5
	s_and_b32 s73, vcc_lo, exec_lo
	s_or_b32 s72, s72, s73
	s_mov_b32 s74, -1
	s_or_b32 s62, s62, exec_lo
	s_and_saveexec_b32 s73, s72
	s_cbranch_execz .LBB6_16107
.LBB6_16111:                            ;   in Loop: Header=BB6_16108 Depth=3
	s_sleep 1
	s_trap 2
	ds_read_b64 v[8:9], v0
	s_waitcnt lgkmcnt(0)
	buffer_gl0_inv
	s_andn2_b32 s62, s62, exec_lo
	v_cmp_ge_u64_e32 vcc_lo, v[8:9], v[70:71]
	s_orn2_b32 s74, vcc_lo, exec_lo
	s_branch .LBB6_16107
.LBB6_16112:                            ;   in Loop: Header=BB6_16055 Depth=2
	s_inst_prefetch 0x2
	s_or_b32 exec_lo, exec_lo, s23
	s_and_saveexec_b32 s23, s61
	s_xor_b32 s23, exec_lo, s23
	s_cbranch_execz .LBB6_16114
; %bb.16113:                            ;   in Loop: Header=BB6_16055 Depth=2
	ds_write_b32 v0, v59
	s_trap 2
.LBB6_16114:                            ;   in Loop: Header=BB6_16055 Depth=2
	s_or_b32 exec_lo, exec_lo, s22
	;;#ASMSTART
	s_wakeup
	;;#ASMEND
.LBB6_16115:                            ;   in Loop: Header=BB6_16055 Depth=2
	s_or_b32 exec_lo, exec_lo, s21
.LBB6_16116:                            ;   in Loop: Header=BB6_16055 Depth=2
	s_andn2_saveexec_b32 s19, s19
	s_cbranch_execz .LBB6_16118
; %bb.16117:                            ;   in Loop: Header=BB6_16055 Depth=2
	;;#ASMSTART
	s_waitcnt lgkmcnt(0) vmcnt(0)
	;;#ASMEND
	s_barrier
.LBB6_16118:                            ;   in Loop: Header=BB6_16055 Depth=2
	s_or_b32 exec_lo, exec_lo, s19
.LBB6_16119:                            ;   in Loop: Header=BB6_16055 Depth=2
	s_or_b32 exec_lo, exec_lo, s16
	v_and_b32_e32 v5, 32, v44
	s_mov_b32 s16, exec_lo
	v_cmpx_ne_u32_e32 0, v5
	s_cbranch_execz .LBB6_16054
; %bb.16120:                            ;   in Loop: Header=BB6_16055 Depth=2
	v_add_co_u32 v96, vcc_lo, v96, 2
	v_add_co_ci_u32_e64 v97, null, 0, v97, vcc_lo
	s_waitcnt vmcnt(0) lgkmcnt(0)
	s_waitcnt_vscnt null, 0x0
	flat_store_dwordx2 v[64:65], v[96:97]
	s_branch .LBB6_16054
.LBB6_16121:
	s_or_b32 exec_lo, exec_lo, s27
	s_clause 0x1
	buffer_load_dword v19, off, s[0:3], s33 offset:280
	buffer_load_dword v31, off, s[0:3], s33 offset:284
	s_waitcnt lgkmcnt(62)
	s_clause 0x2
	buffer_load_dword v20, off, s[0:3], s33 offset:288
	buffer_load_dword v21, off, s[0:3], s33 offset:292
	;; [unrolled: 1-line block ×3, first 2 shown]
.LBB6_16122:
	s_or_b32 exec_lo, exec_lo, s26
	v_and_b32_e32 v0, 0x800, v44
	s_mov_b32 s5, exec_lo
	v_cmpx_eq_u32_e32 0, v0
	s_cbranch_execz .LBB6_16155
; %bb.16123:
	v_and_b32_e32 v0, 48, v44
	s_mov_b32 s4, exec_lo
	v_cmpx_ne_u32_e32 0, v0
	s_cbranch_execz .LBB6_16125
; %bb.16124:
	s_waitcnt vmcnt(0)
	flat_store_dwordx2 v[21:22], v[96:97] offset:104
.LBB6_16125:
	s_or_b32 exec_lo, exec_lo, s4
	v_and_b32_e32 v0, 0x88, v44
	s_mov_b32 s6, exec_lo
	v_cmpx_eq_u32_e32 0x88, v0
	s_cbranch_execz .LBB6_16135
; %bb.16126:
	v_add_nc_u32_e32 v0, 6, v96
	v_and_b32_e32 v4, 64, v44
	s_mov_b32 s7, 0
	v_and_b32_e32 v0, 7, v0
	v_cmp_eq_u32_e64 s4, 0, v4
	v_mad_u64_u32 v[2:3], null, v0, 24, v[6:7]
	flat_load_dwordx2 v[0:1], v[2:3] offset:8 glc dlc
	s_waitcnt vmcnt(0) lgkmcnt(0)
	v_cmp_ne_u64_e32 vcc_lo, -1, v[0:1]
	s_and_b32 s4, vcc_lo, s4
	s_and_b32 exec_lo, exec_lo, s4
	s_cbranch_execz .LBB6_16135
; %bb.16127:
	s_mov_b32 s11, 0
                                        ; implicit-def: $sgpr4
                                        ; implicit-def: $sgpr10
	s_inst_prefetch 0x1
	s_branch .LBB6_16130
	.p2align	6
.LBB6_16128:                            ;   in Loop: Header=BB6_16130 Depth=1
	flat_load_dwordx2 v[4:5], v[2:3] offset:8 glc dlc
	s_waitcnt vmcnt(0)
	s_andn2_b32 s10, s10, exec_lo
	s_waitcnt lgkmcnt(0)
	v_cmp_eq_u64_e32 vcc_lo, -1, v[4:5]
	s_orn2_b32 s13, vcc_lo, exec_lo
.LBB6_16129:                            ;   in Loop: Header=BB6_16130 Depth=1
	s_or_b32 exec_lo, exec_lo, s14
	s_and_b32 s12, exec_lo, s13
	s_or_b32 s7, s12, s7
	s_andn2_b32 s4, s4, exec_lo
	s_and_b32 s12, s10, exec_lo
	s_or_b32 s4, s4, s12
	s_andn2_b32 exec_lo, exec_lo, s7
	s_cbranch_execz .LBB6_16133
.LBB6_16130:                            ; =>This Inner Loop Header: Depth=1
	s_cmpk_lt_i32 s11, 0x270f
	s_cselect_b32 s12, -1, 0
	s_and_b32 vcc_lo, exec_lo, s12
	s_cbranch_vccnz .LBB6_16132
; %bb.16131:                            ;   in Loop: Header=BB6_16130 Depth=1
	s_trap 2
	ds_read_b64 v[0:1], v0
	s_andn2_b32 s12, s12, exec_lo
	s_mov_b32 s11, 0
	s_waitcnt lgkmcnt(0)
	s_waitcnt_vscnt null, 0x0
	flat_load_dword v0, v[0:1] glc dlc
	s_waitcnt vmcnt(0) lgkmcnt(0)
	buffer_gl1_inv
	buffer_gl0_inv
	v_cmp_eq_u32_e32 vcc_lo, 0, v0
	s_and_b32 s13, vcc_lo, exec_lo
	s_or_b32 s12, s12, s13
	s_mov_b32 s13, -1
	s_or_b32 s10, s10, exec_lo
	s_and_saveexec_b32 s14, s12
	s_cbranch_execz .LBB6_16129
	s_branch .LBB6_16128
	.p2align	6
.LBB6_16132:                            ;   in Loop: Header=BB6_16130 Depth=1
	s_add_i32 s11, s11, 1
                                        ; implicit-def: $vgpr0
	s_mov_b32 s13, -1
	s_or_b32 s10, s10, exec_lo
	s_and_saveexec_b32 s14, s12
	s_cbranch_execz .LBB6_16129
	s_branch .LBB6_16128
.LBB6_16133:
	s_inst_prefetch 0x2
	s_or_b32 exec_lo, exec_lo, s7
	s_and_saveexec_b32 s7, s4
	s_xor_b32 s7, exec_lo, s7
	s_cbranch_execz .LBB6_16135
; %bb.16134:
	s_waitcnt_vscnt null, 0x0
	ds_write_b32 v0, v0
	s_trap 2
.LBB6_16135:
	s_or_b32 exec_lo, exec_lo, s6
	v_and_b32_e32 v0, 0x2000, v44
	s_mov_b32 s4, exec_lo
	v_cmpx_ne_u32_e32 0, v0
	s_cbranch_execz .LBB6_16137
; %bb.16136:
	s_trap 2
	ds_read_b64 v[0:1], v0
	s_clause 0x1
	buffer_load_dword v2, off, s[0:3], s33 offset:300
	buffer_load_dword v3, off, s[0:3], s33 offset:304
	s_waitcnt vmcnt(0) lgkmcnt(0)
	flat_store_dwordx2 v[2:3], v[0:1] offset:16
.LBB6_16137:
	s_or_b32 exec_lo, exec_lo, s4
	s_waitcnt vmcnt(4)
	v_cmp_ne_u32_e32 vcc_lo, 32, v19
	s_and_b32 exec_lo, exec_lo, vcc_lo
	s_cbranch_execz .LBB6_16155
; %bb.16138:
	s_waitcnt vmcnt(2)
	v_cmp_ne_u32_sdwa s4, v19, v20 src0_sel:DWORD src1_sel:WORD_0
	s_and_saveexec_b32 s6, s4
	s_xor_b32 s4, exec_lo, s6
	s_cbranch_execz .LBB6_16153
; %bb.16139:
	v_and_b32_e32 v0, 31, v31
	s_mov_b32 s6, exec_lo
	v_cmpx_eq_u32_e32 0, v0
	s_cbranch_execz .LBB6_16152
; %bb.16140:
	s_mov_b32 s10, exec_lo
	s_mov_b32 s7, exec_lo
	v_mbcnt_lo_u32_b32 v0, s10, 0
	s_waitcnt vmcnt(0) lgkmcnt(0)
	s_waitcnt_vscnt null, 0x0
	buffer_gl1_inv
	buffer_gl0_inv
	v_cmpx_eq_u32_e32 0, v0
	s_cbranch_execz .LBB6_16142
; %bb.16141:
	s_bcnt1_i32_b32 s10, s10
	v_mov_b32_e32 v1, 0
	v_mov_b32_e32 v0, s10
	ds_add_u64 v0, v[0:1]
	s_trap 2
.LBB6_16142:
	s_or_b32 exec_lo, exec_lo, s7
	s_trap 2
	ds_read_b64 v[2:3], v0
	s_waitcnt lgkmcnt(0)
	buffer_gl0_inv
	v_lshrrev_b32_e32 v0, 5, v19
	s_mov_b32 s7, exec_lo
	v_add_co_u32 v0, vcc_lo, v70, v0
	v_add_co_ci_u32_e64 v1, null, 0, v71, vcc_lo
	v_cmpx_lt_u64_e64 v[2:3], v[0:1]
	s_cbranch_execz .LBB6_16151
; %bb.16143:
	s_mov_b32 s10, 0
	s_mov_b32 s13, 0
                                        ; implicit-def: $sgpr11
                                        ; implicit-def: $sgpr12
	s_inst_prefetch 0x1
	s_branch .LBB6_16145
	.p2align	6
.LBB6_16144:                            ;   in Loop: Header=BB6_16145 Depth=1
	s_or_b32 exec_lo, exec_lo, s15
	s_and_b32 s14, exec_lo, s16
	s_or_b32 s10, s14, s10
	s_andn2_b32 s11, s11, exec_lo
	s_and_b32 s14, s12, exec_lo
	s_or_b32 s11, s11, s14
	s_andn2_b32 exec_lo, exec_lo, s10
	s_cbranch_execz .LBB6_16149
.LBB6_16145:                            ; =>This Inner Loop Header: Depth=1
	s_add_i32 s13, s13, 1
	s_cmpk_lg_i32 s13, 0x2710
	s_cselect_b32 s14, -1, 0
	s_and_b32 vcc_lo, exec_lo, s14
	s_cbranch_vccz .LBB6_16147
; %bb.16146:                            ;   in Loop: Header=BB6_16145 Depth=1
	s_mov_b32 s16, -1
	s_or_b32 s12, s12, exec_lo
	s_and_saveexec_b32 s15, s14
	s_cbranch_execz .LBB6_16144
	s_branch .LBB6_16148
.LBB6_16147:                            ;   in Loop: Header=BB6_16145 Depth=1
	s_trap 2
	ds_read_b64 v[2:3], v0
	s_andn2_b32 s14, s14, exec_lo
	s_mov_b32 s13, 0
	s_waitcnt lgkmcnt(0)
	flat_load_dword v2, v[2:3] glc dlc
	s_waitcnt vmcnt(0) lgkmcnt(0)
	buffer_gl1_inv
	buffer_gl0_inv
	v_cmp_eq_u32_e32 vcc_lo, 0, v2
	s_and_b32 s15, vcc_lo, exec_lo
	s_or_b32 s14, s14, s15
	s_mov_b32 s16, -1
	s_or_b32 s12, s12, exec_lo
	s_and_saveexec_b32 s15, s14
	s_cbranch_execz .LBB6_16144
.LBB6_16148:                            ;   in Loop: Header=BB6_16145 Depth=1
	s_sleep 1
	s_trap 2
	ds_read_b64 v[2:3], v0
	s_waitcnt lgkmcnt(0)
	buffer_gl0_inv
	s_andn2_b32 s12, s12, exec_lo
	v_cmp_ge_u64_e32 vcc_lo, v[2:3], v[0:1]
	s_orn2_b32 s16, vcc_lo, exec_lo
	s_branch .LBB6_16144
.LBB6_16149:
	s_inst_prefetch 0x2
	s_or_b32 exec_lo, exec_lo, s10
	s_and_saveexec_b32 s10, s11
	s_xor_b32 s10, exec_lo, s10
	s_cbranch_execz .LBB6_16151
; %bb.16150:
	v_mov_b32_e32 v0, 1
	ds_write_b32 v0, v0
	s_trap 2
.LBB6_16151:
	s_or_b32 exec_lo, exec_lo, s7
	;;#ASMSTART
	s_wakeup
	;;#ASMEND
.LBB6_16152:
	s_or_b32 exec_lo, exec_lo, s6
.LBB6_16153:
	s_andn2_saveexec_b32 s4, s4
	s_cbranch_execz .LBB6_16155
; %bb.16154:
	s_waitcnt vmcnt(0) lgkmcnt(0)
	s_waitcnt_vscnt null, 0x0
	buffer_gl1_inv
	buffer_gl0_inv
	s_barrier
.LBB6_16155:
	s_or_b32 exec_lo, exec_lo, s5
.LBB6_16156:
	s_andn2_saveexec_b32 s25, s24
	s_cbranch_execz .LBB6_16158
; %bb.16157:
	s_getpc_b64 s[4:5]
	s_add_u32 s4, s4, __PRETTY_FUNCTION__._ZN10PrimitivesI11rccl_float810FuncMinMaxIS0_E12FanSymmetricILi1EELi0E11ProtoSimpleILi2ELi2ELi0ELi4ELi0ELi0EELi0ELb0ELi0ELi0ELi0EEC2EiiPKiS9_PKvPvmhhhP15ncclDevWorkCollP14ncclDevWorkP2pii@rel32@lo+4
	s_addc_u32 s5, s5, __PRETTY_FUNCTION__._ZN10PrimitivesI11rccl_float810FuncMinMaxIS0_E12FanSymmetricILi1EELi0E11ProtoSimpleILi2ELi2ELi0ELi4ELi0ELi0EELi0ELb0ELi0ELi0ELi0EEC2EiiPKiS9_PKvPvmhhhP15ncclDevWorkCollP14ncclDevWorkP2pii@rel32@hi+12
	v_mov_b32_e32 v0, s4
	v_mov_b32_e32 v1, s5
	s_getpc_b64 s[6:7]
	s_add_u32 s6, s6, __assert_fail@rel32@lo+4
	s_addc_u32 s7, s7, __assert_fail@rel32@hi+12
	s_swappc_b64 s[30:31], s[6:7]
	; divergent unreachable
.LBB6_16158:
	s_or_b32 exec_lo, exec_lo, s25
	s_clause 0x2e
	buffer_load_dword v126, off, s[0:3], s33
	buffer_load_dword v125, off, s[0:3], s33 offset:4
	buffer_load_dword v124, off, s[0:3], s33 offset:8
	;; [unrolled: 1-line block ×46, first 2 shown]
	v_readlane_b32 s30, v127, 0
	v_readlane_b32 s31, v127, 1
	s_mov_b32 s32, s33
	s_or_saveexec_b32 s4, -1
	buffer_load_dword v127, off, s[0:3], s33 offset:308 ; 4-byte Folded Reload
	s_mov_b32 exec_lo, s4
	s_mov_b32 s33, s88
	s_waitcnt vmcnt(0) lgkmcnt(0)
	s_setpc_b64 s[30:31]
.Lfunc_end6:
	.size	_ZN12_GLOBAL__N_17runRingI11rccl_float810FuncMinMaxIS1_E11ProtoSimpleILi2ELi2ELi0ELi4ELi0ELi0EELi0ELi0ELi4ELi0EEEviiP15ncclDevWorkColl, .Lfunc_end6-_ZN12_GLOBAL__N_17runRingI11rccl_float810FuncMinMaxIS1_E11ProtoSimpleILi2ELi2ELi0ELi4ELi0ELi0EELi0ELi0ELi4ELi0EEEviiP15ncclDevWorkColl
                                        ; -- End function
	.set .L_ZN12_GLOBAL__N_17runRingI11rccl_float810FuncMinMaxIS1_E11ProtoSimpleILi2ELi2ELi0ELi4ELi0ELi0EELi0ELi0ELi4ELi0EEEviiP15ncclDevWorkColl.num_vgpr, max(128, .L__assert_fail.num_vgpr)
	.set .L_ZN12_GLOBAL__N_17runRingI11rccl_float810FuncMinMaxIS1_E11ProtoSimpleILi2ELi2ELi0ELi4ELi0ELi0EELi0ELi0ELi4ELi0EEEviiP15ncclDevWorkColl.num_agpr, max(0, .L__assert_fail.num_agpr)
	.set .L_ZN12_GLOBAL__N_17runRingI11rccl_float810FuncMinMaxIS1_E11ProtoSimpleILi2ELi2ELi0ELi4ELi0ELi0EELi0ELi0ELi4ELi0EEEviiP15ncclDevWorkColl.numbered_sgpr, max(89, .L__assert_fail.numbered_sgpr)
	.set .L_ZN12_GLOBAL__N_17runRingI11rccl_float810FuncMinMaxIS1_E11ProtoSimpleILi2ELi2ELi0ELi4ELi0ELi0EELi0ELi0ELi4ELi0EEEviiP15ncclDevWorkColl.num_named_barrier, max(0, .L__assert_fail.num_named_barrier)
	.set .L_ZN12_GLOBAL__N_17runRingI11rccl_float810FuncMinMaxIS1_E11ProtoSimpleILi2ELi2ELi0ELi4ELi0ELi0EELi0ELi0ELi4ELi0EEEviiP15ncclDevWorkColl.private_seg_size, 320+max(.L__assert_fail.private_seg_size)
	.set .L_ZN12_GLOBAL__N_17runRingI11rccl_float810FuncMinMaxIS1_E11ProtoSimpleILi2ELi2ELi0ELi4ELi0ELi0EELi0ELi0ELi4ELi0EEEviiP15ncclDevWorkColl.uses_vcc, or(1, .L__assert_fail.uses_vcc)
	.set .L_ZN12_GLOBAL__N_17runRingI11rccl_float810FuncMinMaxIS1_E11ProtoSimpleILi2ELi2ELi0ELi4ELi0ELi0EELi0ELi0ELi4ELi0EEEviiP15ncclDevWorkColl.uses_flat_scratch, or(1, .L__assert_fail.uses_flat_scratch)
	.set .L_ZN12_GLOBAL__N_17runRingI11rccl_float810FuncMinMaxIS1_E11ProtoSimpleILi2ELi2ELi0ELi4ELi0ELi0EELi0ELi0ELi4ELi0EEEviiP15ncclDevWorkColl.has_dyn_sized_stack, or(0, .L__assert_fail.has_dyn_sized_stack)
	.set .L_ZN12_GLOBAL__N_17runRingI11rccl_float810FuncMinMaxIS1_E11ProtoSimpleILi2ELi2ELi0ELi4ELi0ELi0EELi0ELi0ELi4ELi0EEEviiP15ncclDevWorkColl.has_recursion, or(1, .L__assert_fail.has_recursion)
	.set .L_ZN12_GLOBAL__N_17runRingI11rccl_float810FuncMinMaxIS1_E11ProtoSimpleILi2ELi2ELi0ELi4ELi0ELi0EELi0ELi0ELi4ELi0EEEviiP15ncclDevWorkColl.has_indirect_call, or(0, .L__assert_fail.has_indirect_call)
	.section	.AMDGPU.csdata,"",@progbits
; Function info:
; codeLenInByte = 510808
; TotalNumSgprs: 91
; NumVgprs: 128
; ScratchSize: 384
; MemoryBound: 1
	.text
	.p2align	2                               ; -- Begin function _Z53ncclDevFunc_AllReduce_RING_SIMPLE_MinMax_f8e4m3_0_0_4v
	.type	_Z53ncclDevFunc_AllReduce_RING_SIMPLE_MinMax_f8e4m3_0_0_4v,@function
_Z53ncclDevFunc_AllReduce_RING_SIMPLE_MinMax_f8e4m3_0_0_4v: ; @_Z53ncclDevFunc_AllReduce_RING_SIMPLE_MinMax_f8e4m3_0_0_4v
; %bb.0:
	s_waitcnt vmcnt(0) expcnt(0) lgkmcnt(0)
	s_mov_b32 s94, s33
	s_mov_b32 s33, s32
	s_or_saveexec_b32 s4, -1
	buffer_store_dword v43, off, s[0:3], s33 offset:16 ; 4-byte Folded Spill
	s_mov_b32 exec_lo, s4
	s_addk_i32 s32, 0x400
	buffer_store_dword v40, off, s[0:3], s33 offset:12 ; 4-byte Folded Spill
	buffer_store_dword v41, off, s[0:3], s33 offset:8 ; 4-byte Folded Spill
	;; [unrolled: 1-line block ×3, first 2 shown]
	buffer_store_dword v127, off, s[0:3], s33 ; 4-byte Folded Spill
	v_writelane_b32 v43, s34, 0
	v_writelane_b32 v43, s35, 1
	;; [unrolled: 1-line block ×4, first 2 shown]
	s_trap 2
	ds_read_b32 v0, v0
	v_mov_b32_e32 v40, v31
	s_mov_b32 s89, s12
	s_mov_b64 s[90:91], s[8:9]
	s_mov_b32 s4, exec_lo
	v_and_b32_e32 v41, 0x3ff, v40
	s_waitcnt lgkmcnt(0)
	v_cmpx_lt_i32_e64 v41, v0
	s_cbranch_execz .LBB7_5
; %bb.1:
	s_load_dword s5, s[90:91], 0x0
	v_mov_b32_e32 v1, 0
	v_mov_b32_e32 v3, v41
                                        ; implicit-def: $vgpr4
	s_waitcnt lgkmcnt(0)
	s_cmp_lt_u32 s89, s5
	s_cselect_b32 s5, 12, 18
	s_add_u32 s6, s90, s5
	s_addc_u32 s7, s91, 0
	s_mov_b32 s5, 0
	global_load_ushort v1, v1, s[6:7]
	s_trap 2
	ds_read_b32 v2, v0
	s_mov_b32 s6, 0
	s_waitcnt vmcnt(0) lgkmcnt(0)
	v_mul_lo_u32 v2, v2, v1
	s_branch .LBB7_3
	.p2align	6
.LBB7_2:                                ;   in Loop: Header=BB7_3 Depth=1
	s_or_b32 exec_lo, exec_lo, s7
	v_add_nc_u32_e32 v3, v3, v1
	v_add_nc_u32_e32 v4, v4, v2
	v_cmp_ge_i32_e32 vcc_lo, v3, v0
	s_or_b32 s6, vcc_lo, s6
	s_andn2_b32 exec_lo, exec_lo, s6
	s_cbranch_execz .LBB7_5
.LBB7_3:                                ; =>This Inner Loop Header: Depth=1
	ds_read_b32 v5, v4
	s_mov_b32 s7, exec_lo
	s_waitcnt lgkmcnt(0)
	v_and_b32_e32 v5, 0x1000000, v5
	v_cmpx_ne_u32_e32 0, v5
	s_cbranch_execz .LBB7_2
; %bb.4:                                ;   in Loop: Header=BB7_3 Depth=1
	ds_read_b64 v[5:6], v4 offset:104
	s_waitcnt lgkmcnt(0)
	flat_load_ubyte v5, v[5:6]
	v_mov_b32_e32 v6, s5
	s_waitcnt vmcnt(0) lgkmcnt(0)
	v_and_b32_e32 v5, 0xffff, v5
	ds_write_b64 v4, v[5:6] offset:104
	s_branch .LBB7_2
.LBB7_5:
	s_or_b32 exec_lo, exec_lo, s4
	s_waitcnt lgkmcnt(0)
	s_waitcnt_vscnt null, 0x0
	s_barrier
	buffer_gl0_inv
	s_trap 2
	ds_read_b32 v0, v0
	s_waitcnt lgkmcnt(0)
	v_cmp_gt_i32_e32 vcc_lo, 1, v0
	s_cbranch_vccnz .LBB7_13
; %bb.6:
	v_mov_b32_e32 v42, 5
	s_mov_b32 s92, 0
	s_inst_prefetch 0x1
	s_branch .LBB7_8
	.p2align	6
.LBB7_7:                                ;   in Loop: Header=BB7_8 Depth=1
	s_or_b32 exec_lo, exec_lo, s93
	s_trap 2
	ds_read_b32 v0, v0
	s_add_i32 s92, s92, 1
	s_waitcnt lgkmcnt(0)
	v_cmp_lt_i32_e32 vcc_lo, s92, v0
	s_cbranch_vccz .LBB7_13
.LBB7_8:                                ; =>This Inner Loop Header: Depth=1
	s_trap 2
	ds_read_b32 v0, v0
	s_cmp_eq_u32 s92, 0
	s_cbranch_scc1 .LBB7_11
; %bb.9:                                ;   in Loop: Header=BB7_8 Depth=1
	s_trap 2
	s_waitcnt lgkmcnt(0)
	ds_read_b32 v1, v0
	s_waitcnt lgkmcnt(0)
	v_xor_b32_e32 v1, v1, v0
	v_and_b32_e32 v1, 0xff0000, v1
	v_cmp_eq_u32_e32 vcc_lo, 0, v1
	s_cbranch_vccnz .LBB7_11
; %bb.10:                               ;   in Loop: Header=BB7_8 Depth=1
	s_barrier
	buffer_gl0_inv
	ds_read_b32 v0, v0
.LBB7_11:                               ;   in Loop: Header=BB7_8 Depth=1
	s_waitcnt lgkmcnt(0)
	v_lshlrev_b32_sdwa v1, v42, v0 dst_sel:DWORD dst_unused:UNUSED_PAD src0_sel:DWORD src1_sel:BYTE_2
	s_mov_b32 s93, exec_lo
	v_cmpx_lt_u32_e64 v41, v1
	s_cbranch_execz .LBB7_7
; %bb.12:                               ;   in Loop: Header=BB7_8 Depth=1
	s_mov_b64 s[4:5], src_shared_base
	v_mov_b32_e32 v31, v40
	v_mov_b32_e32 v0, v41
	;; [unrolled: 1-line block ×3, first 2 shown]
	s_getpc_b64 s[6:7]
	s_add_u32 s6, s6, _ZN12_GLOBAL__N_17runRingI11rccl_float810FuncMinMaxIS1_E11ProtoSimpleILi2ELi2ELi0ELi4ELi0ELi0EELi0ELi0ELi4ELi0EEEviiP15ncclDevWorkColl@rel32@lo+4
	s_addc_u32 s7, s7, _ZN12_GLOBAL__N_17runRingI11rccl_float810FuncMinMaxIS1_E11ProtoSimpleILi2ELi2ELi0ELi4ELi0ELi0EELi0ELi0ELi4ELi0EEEviiP15ncclDevWorkColl@rel32@hi+12
	s_mov_b64 s[8:9], s[90:91]
	s_mov_b32 s12, s89
	s_swappc_b64 s[30:31], s[6:7]
	s_branch .LBB7_7
.LBB7_13:
	s_inst_prefetch 0x2
	s_clause 0x3
	buffer_load_dword v127, off, s[0:3], s33
	buffer_load_dword v42, off, s[0:3], s33 offset:4
	buffer_load_dword v41, off, s[0:3], s33 offset:8
	;; [unrolled: 1-line block ×3, first 2 shown]
	v_readlane_b32 s30, v43, 2
	v_readlane_b32 s31, v43, 3
	;; [unrolled: 1-line block ×4, first 2 shown]
	s_mov_b32 s32, s33
	s_or_saveexec_b32 s4, -1
	buffer_load_dword v43, off, s[0:3], s33 offset:16 ; 4-byte Folded Reload
	s_mov_b32 exec_lo, s4
	s_mov_b32 s33, s94
	s_waitcnt vmcnt(0)
	s_setpc_b64 s[30:31]
.Lfunc_end7:
	.size	_Z53ncclDevFunc_AllReduce_RING_SIMPLE_MinMax_f8e4m3_0_0_4v, .Lfunc_end7-_Z53ncclDevFunc_AllReduce_RING_SIMPLE_MinMax_f8e4m3_0_0_4v
                                        ; -- End function
	.set .L_Z53ncclDevFunc_AllReduce_RING_SIMPLE_MinMax_f8e4m3_0_0_4v.num_vgpr, max(128, .L_ZN12_GLOBAL__N_17runRingI11rccl_float810FuncMinMaxIS1_E11ProtoSimpleILi2ELi2ELi0ELi4ELi0ELi0EELi0ELi0ELi4ELi0EEEviiP15ncclDevWorkColl.num_vgpr)
	.set .L_Z53ncclDevFunc_AllReduce_RING_SIMPLE_MinMax_f8e4m3_0_0_4v.num_agpr, max(0, .L_ZN12_GLOBAL__N_17runRingI11rccl_float810FuncMinMaxIS1_E11ProtoSimpleILi2ELi2ELi0ELi4ELi0ELi0EELi0ELi0ELi4ELi0EEEviiP15ncclDevWorkColl.num_agpr)
	.set .L_Z53ncclDevFunc_AllReduce_RING_SIMPLE_MinMax_f8e4m3_0_0_4v.numbered_sgpr, max(95, .L_ZN12_GLOBAL__N_17runRingI11rccl_float810FuncMinMaxIS1_E11ProtoSimpleILi2ELi2ELi0ELi4ELi0ELi0EELi0ELi0ELi4ELi0EEEviiP15ncclDevWorkColl.numbered_sgpr)
	.set .L_Z53ncclDevFunc_AllReduce_RING_SIMPLE_MinMax_f8e4m3_0_0_4v.num_named_barrier, max(0, .L_ZN12_GLOBAL__N_17runRingI11rccl_float810FuncMinMaxIS1_E11ProtoSimpleILi2ELi2ELi0ELi4ELi0ELi0EELi0ELi0ELi4ELi0EEEviiP15ncclDevWorkColl.num_named_barrier)
	.set .L_Z53ncclDevFunc_AllReduce_RING_SIMPLE_MinMax_f8e4m3_0_0_4v.private_seg_size, 32+max(.L_ZN12_GLOBAL__N_17runRingI11rccl_float810FuncMinMaxIS1_E11ProtoSimpleILi2ELi2ELi0ELi4ELi0ELi0EELi0ELi0ELi4ELi0EEEviiP15ncclDevWorkColl.private_seg_size)
	.set .L_Z53ncclDevFunc_AllReduce_RING_SIMPLE_MinMax_f8e4m3_0_0_4v.uses_vcc, or(1, .L_ZN12_GLOBAL__N_17runRingI11rccl_float810FuncMinMaxIS1_E11ProtoSimpleILi2ELi2ELi0ELi4ELi0ELi0EELi0ELi0ELi4ELi0EEEviiP15ncclDevWorkColl.uses_vcc)
	.set .L_Z53ncclDevFunc_AllReduce_RING_SIMPLE_MinMax_f8e4m3_0_0_4v.uses_flat_scratch, or(0, .L_ZN12_GLOBAL__N_17runRingI11rccl_float810FuncMinMaxIS1_E11ProtoSimpleILi2ELi2ELi0ELi4ELi0ELi0EELi0ELi0ELi4ELi0EEEviiP15ncclDevWorkColl.uses_flat_scratch)
	.set .L_Z53ncclDevFunc_AllReduce_RING_SIMPLE_MinMax_f8e4m3_0_0_4v.has_dyn_sized_stack, or(0, .L_ZN12_GLOBAL__N_17runRingI11rccl_float810FuncMinMaxIS1_E11ProtoSimpleILi2ELi2ELi0ELi4ELi0ELi0EELi0ELi0ELi4ELi0EEEviiP15ncclDevWorkColl.has_dyn_sized_stack)
	.set .L_Z53ncclDevFunc_AllReduce_RING_SIMPLE_MinMax_f8e4m3_0_0_4v.has_recursion, or(1, .L_ZN12_GLOBAL__N_17runRingI11rccl_float810FuncMinMaxIS1_E11ProtoSimpleILi2ELi2ELi0ELi4ELi0ELi0EELi0ELi0ELi4ELi0EEEviiP15ncclDevWorkColl.has_recursion)
	.set .L_Z53ncclDevFunc_AllReduce_RING_SIMPLE_MinMax_f8e4m3_0_0_4v.has_indirect_call, or(0, .L_ZN12_GLOBAL__N_17runRingI11rccl_float810FuncMinMaxIS1_E11ProtoSimpleILi2ELi2ELi0ELi4ELi0ELi0EELi0ELi0ELi4ELi0EEEviiP15ncclDevWorkColl.has_indirect_call)
	.section	.AMDGPU.csdata,"",@progbits
; Function info:
; codeLenInByte = 744
; TotalNumSgprs: 97
; NumVgprs: 128
; ScratchSize: 416
; MemoryBound: 0
	.text
	.p2alignl 6, 3214868480
	.fill 48, 4, 3214868480
	.section	.AMDGPU.gpr_maximums,"",@progbits
	.set amdgpu.max_num_vgpr, 128
	.set amdgpu.max_num_agpr, 0
	.set amdgpu.max_num_sgpr, 95
	.text
	.type	__const.__assert_fail.fmt,@object ; @__const.__assert_fail.fmt
	.section	.rodata.str1.16,"aMS",@progbits,1
	.p2align	4, 0x0
__const.__assert_fail.fmt:
	.asciz	"%s:%u: %s: Device-side assertion `%s' failed.\n"
	.size	__const.__assert_fail.fmt, 47

	.type	.str.3,@object                  ; @.str.3
	.section	.rodata.str1.1,"aMS",@progbits,1
.str.3:
	.asciz	"2*(nrecv+nsend) <= nthreads"
	.size	.str.3, 28

	.type	.str.4,@object                  ; @.str.4
.str.4:
	.asciz	"/root/src/amdgpu-assembly/repos/ROCm__rccl/hipify/src/device/prims_simple.h"
	.size	.str.4, 76

	.type	__PRETTY_FUNCTION__._ZN10PrimitivesI11rccl_float810FuncMinMaxIS0_E12FanSymmetricILi1EELi0E11ProtoSimpleILi2ELi2ELi0ELi1ELi0ELi0EELi0ELb0ELi0ELi0ELi0EEC2EiiPKiS9_PKvPvmhhhP15ncclDevWorkCollP14ncclDevWorkP2pii,@object ; @__PRETTY_FUNCTION__._ZN10PrimitivesI11rccl_float810FuncMinMaxIS0_E12FanSymmetricILi1EELi0E11ProtoSimpleILi2ELi2ELi0ELi1ELi0ELi0EELi0ELb0ELi0ELi0ELi0EEC2EiiPKiS9_PKvPvmhhhP15ncclDevWorkCollP14ncclDevWorkP2pii
__PRETTY_FUNCTION__._ZN10PrimitivesI11rccl_float810FuncMinMaxIS0_E12FanSymmetricILi1EELi0E11ProtoSimpleILi2ELi2ELi0ELi1ELi0ELi0EELi0ELb0ELi0ELi0ELi0EEC2EiiPKiS9_PKvPvmhhhP15ncclDevWorkCollP14ncclDevWorkP2pii:
	.asciz	"Primitives<rccl_float8, FuncMinMax<rccl_float8>, FanSymmetric<1>, 0, ProtoSimple<2, 2, 0, 1>, 0>::Primitives(int, int, const int *, const int *, const void *, void *, uint64_t, uint8_t, uint8_t, uint8_t, struct ncclDevWorkColl *, struct ncclDevWorkP2p *, int, int) [T = rccl_float8, RedOp = FuncMinMax<rccl_float8>, Fan = FanSymmetric<1>, Direct = 0, Proto = ProtoSimple<2, 2, 0, 1>, P2p = 0, isNetOffload = false, Metadata = 0, Pipeline = 0, useAcc = 0]"
	.size	__PRETTY_FUNCTION__._ZN10PrimitivesI11rccl_float810FuncMinMaxIS0_E12FanSymmetricILi1EELi0E11ProtoSimpleILi2ELi2ELi0ELi1ELi0ELi0EELi0ELb0ELi0ELi0ELi0EEC2EiiPKiS9_PKvPvmhhhP15ncclDevWorkCollP14ncclDevWorkP2pii, 455

	.type	__PRETTY_FUNCTION__._ZN10PrimitivesI11rccl_float810FuncMinMaxIS0_E12FanSymmetricILi1EELi0E11ProtoSimpleILi2ELi2ELi0ELi2ELi0ELi0EELi0ELb0ELi0ELi0ELi0EEC2EiiPKiS9_PKvPvmhhhP15ncclDevWorkCollP14ncclDevWorkP2pii,@object ; @__PRETTY_FUNCTION__._ZN10PrimitivesI11rccl_float810FuncMinMaxIS0_E12FanSymmetricILi1EELi0E11ProtoSimpleILi2ELi2ELi0ELi2ELi0ELi0EELi0ELb0ELi0ELi0ELi0EEC2EiiPKiS9_PKvPvmhhhP15ncclDevWorkCollP14ncclDevWorkP2pii
__PRETTY_FUNCTION__._ZN10PrimitivesI11rccl_float810FuncMinMaxIS0_E12FanSymmetricILi1EELi0E11ProtoSimpleILi2ELi2ELi0ELi2ELi0ELi0EELi0ELb0ELi0ELi0ELi0EEC2EiiPKiS9_PKvPvmhhhP15ncclDevWorkCollP14ncclDevWorkP2pii:
	.asciz	"Primitives<rccl_float8, FuncMinMax<rccl_float8>, FanSymmetric<1>, 0, ProtoSimple<2, 2, 0, 2>, 0>::Primitives(int, int, const int *, const int *, const void *, void *, uint64_t, uint8_t, uint8_t, uint8_t, struct ncclDevWorkColl *, struct ncclDevWorkP2p *, int, int) [T = rccl_float8, RedOp = FuncMinMax<rccl_float8>, Fan = FanSymmetric<1>, Direct = 0, Proto = ProtoSimple<2, 2, 0, 2>, P2p = 0, isNetOffload = false, Metadata = 0, Pipeline = 0, useAcc = 0]"
	.size	__PRETTY_FUNCTION__._ZN10PrimitivesI11rccl_float810FuncMinMaxIS0_E12FanSymmetricILi1EELi0E11ProtoSimpleILi2ELi2ELi0ELi2ELi0ELi0EELi0ELb0ELi0ELi0ELi0EEC2EiiPKiS9_PKvPvmhhhP15ncclDevWorkCollP14ncclDevWorkP2pii, 455

	.type	__PRETTY_FUNCTION__._ZN10PrimitivesI11rccl_float810FuncMinMaxIS0_E12FanSymmetricILi1EELi0E11ProtoSimpleILi2ELi2ELi0ELi4ELi0ELi0EELi0ELb0ELi0ELi0ELi0EEC2EiiPKiS9_PKvPvmhhhP15ncclDevWorkCollP14ncclDevWorkP2pii,@object ; @__PRETTY_FUNCTION__._ZN10PrimitivesI11rccl_float810FuncMinMaxIS0_E12FanSymmetricILi1EELi0E11ProtoSimpleILi2ELi2ELi0ELi4ELi0ELi0EELi0ELb0ELi0ELi0ELi0EEC2EiiPKiS9_PKvPvmhhhP15ncclDevWorkCollP14ncclDevWorkP2pii
__PRETTY_FUNCTION__._ZN10PrimitivesI11rccl_float810FuncMinMaxIS0_E12FanSymmetricILi1EELi0E11ProtoSimpleILi2ELi2ELi0ELi4ELi0ELi0EELi0ELb0ELi0ELi0ELi0EEC2EiiPKiS9_PKvPvmhhhP15ncclDevWorkCollP14ncclDevWorkP2pii:
	.asciz	"Primitives<rccl_float8, FuncMinMax<rccl_float8>, FanSymmetric<1>, 0, ProtoSimple<2, 2, 0, 4>, 0>::Primitives(int, int, const int *, const int *, const void *, void *, uint64_t, uint8_t, uint8_t, uint8_t, struct ncclDevWorkColl *, struct ncclDevWorkP2p *, int, int) [T = rccl_float8, RedOp = FuncMinMax<rccl_float8>, Fan = FanSymmetric<1>, Direct = 0, Proto = ProtoSimple<2, 2, 0, 4>, P2p = 0, isNetOffload = false, Metadata = 0, Pipeline = 0, useAcc = 0]"
	.size	__PRETTY_FUNCTION__._ZN10PrimitivesI11rccl_float810FuncMinMaxIS0_E12FanSymmetricILi1EELi0E11ProtoSimpleILi2ELi2ELi0ELi4ELi0ELi0EELi0ELb0ELi0ELi0ELi0EEC2EiiPKiS9_PKvPvmhhhP15ncclDevWorkCollP14ncclDevWorkP2pii, 455

	.type	__hip_cuid_883574b0fc28e39b,@object ; @__hip_cuid_883574b0fc28e39b
	.section	.bss,"aw",@nobits
	.globl	__hip_cuid_883574b0fc28e39b
__hip_cuid_883574b0fc28e39b:
	.byte	0                               ; 0x0
	.size	__hip_cuid_883574b0fc28e39b, 1

	.ident	"AMD clang version 22.0.0git (https://github.com/RadeonOpenCompute/llvm-project roc-7.2.4 26084 f58b06dce1f9c15707c5f808fd002e18c2accf7e)"
	.section	".note.GNU-stack","",@progbits
	.addrsig
	.addrsig_sym _Z53ncclDevFunc_AllReduce_RING_SIMPLE_MinMax_f8e4m3_0_0_1v
	.addrsig_sym _Z53ncclDevFunc_AllReduce_RING_SIMPLE_MinMax_f8e4m3_0_0_2v
	.addrsig_sym _Z53ncclDevFunc_AllReduce_RING_SIMPLE_MinMax_f8e4m3_0_0_4v
	.addrsig_sym ncclShmem
	.addrsig_sym __hip_cuid_883574b0fc28e39b
	.amdgpu_metadata
---
amdhsa.kernels:  []
amdhsa.target:   amdgcn-amd-amdhsa--gfx1030
amdhsa.version:
  - 1
  - 2
...

	.end_amdgpu_metadata
